;; amdgpu-corpus repo=zjin-lcf/HeCBench kind=compiled arch=gfx90a opt=O3
	.text
	.amdgcn_target "amdgcn-amd-amdhsa--gfx90a"
	.amdhsa_code_object_version 6
	.protected	_Z17checkCoverTravEndPiS_S_S_ii ; -- Begin function _Z17checkCoverTravEndPiS_S_S_ii
	.globl	_Z17checkCoverTravEndPiS_S_S_ii
	.p2align	8
	.type	_Z17checkCoverTravEndPiS_S_S_ii,@function
_Z17checkCoverTravEndPiS_S_S_ii:        ; @_Z17checkCoverTravEndPiS_S_S_ii
; %bb.0:
	s_load_dword s0, s[4:5], 0x34
	s_load_dwordx2 s[8:9], s[4:5], 0x20
	s_waitcnt lgkmcnt(0)
	s_and_b32 s0, s0, 0xffff
	s_mul_i32 s6, s6, s0
	v_add_u32_e32 v0, s6, v0
	v_cmp_gt_i32_e32 vcc, s9, v0
	s_and_saveexec_b64 s[0:1], vcc
	s_cbranch_execz .LBB0_6
; %bb.1:
	s_load_dwordx8 s[0:7], s[4:5], 0x0
	v_ashrrev_i32_e32 v1, 31, v0
	v_lshlrev_b64 v[2:3], 2, v[0:1]
	s_waitcnt lgkmcnt(0)
	v_mov_b32_e32 v1, s3
	v_add_co_u32_e32 v6, vcc, s2, v2
	v_addc_co_u32_e32 v7, vcc, v1, v3, vcc
	global_load_dword v1, v[6:7], off
	s_waitcnt vmcnt(0)
	v_ashrrev_i32_e32 v4, 1, v1
	v_cmp_ge_i32_e32 vcc, s8, v4
	global_store_dword v[6:7], v4, off
	s_and_saveexec_b64 s[2:3], vcc
	s_xor_b64 s[2:3], exec, s[2:3]
	s_cbranch_execz .LBB0_3
; %bb.2:
	v_mov_b32_e32 v1, s5
	v_add_co_u32_e32 v0, vcc, s4, v2
	v_addc_co_u32_e32 v1, vcc, v1, v3, vcc
	v_mov_b32_e32 v2, 0
	global_store_dword v[0:1], v2, off
                                        ; implicit-def: $vgpr2_vgpr3
                                        ; implicit-def: $vgpr4
                                        ; implicit-def: $vgpr0
.LBB0_3:
	s_andn2_saveexec_b64 s[2:3], s[2:3]
	s_cbranch_execz .LBB0_6
; %bb.4:
	v_mov_b32_e32 v5, s5
	v_add_co_u32_e32 v2, vcc, s4, v2
	v_mov_b32_e32 v1, 0
	v_addc_co_u32_e32 v3, vcc, v5, v3, vcc
	v_mov_b32_e32 v5, 1
	global_store_dword v1, v1, s[0:1]
	global_store_dword v[2:3], v5, off
	v_ashrrev_i32_e32 v5, 31, v4
	v_lshlrev_b64 v[4:5], 2, v[4:5]
	v_mov_b32_e32 v6, s7
	v_add_co_u32_e32 v4, vcc, s6, v4
	v_addc_co_u32_e32 v5, vcc, v6, v5, vcc
	v_add_u32_e32 v0, 1, v0
	global_atomic_cmpswap v0, v[4:5], v[0:1], off glc
	s_waitcnt vmcnt(0)
	v_cmp_lt_i32_e32 vcc, 0, v0
	s_and_b64 exec, exec, vcc
	s_cbranch_execz .LBB0_6
; %bb.5:
	v_sub_u32_e32 v0, 0, v0
	global_store_dword v[2:3], v0, off
.LBB0_6:
	s_endpgm
	.section	.rodata,"a",@progbits
	.p2align	6, 0x0
	.amdhsa_kernel _Z17checkCoverTravEndPiS_S_S_ii
		.amdhsa_group_segment_fixed_size 0
		.amdhsa_private_segment_fixed_size 0
		.amdhsa_kernarg_size 296
		.amdhsa_user_sgpr_count 6
		.amdhsa_user_sgpr_private_segment_buffer 1
		.amdhsa_user_sgpr_dispatch_ptr 0
		.amdhsa_user_sgpr_queue_ptr 0
		.amdhsa_user_sgpr_kernarg_segment_ptr 1
		.amdhsa_user_sgpr_dispatch_id 0
		.amdhsa_user_sgpr_flat_scratch_init 0
		.amdhsa_user_sgpr_kernarg_preload_length 0
		.amdhsa_user_sgpr_kernarg_preload_offset 0
		.amdhsa_user_sgpr_private_segment_size 0
		.amdhsa_uses_dynamic_stack 0
		.amdhsa_system_sgpr_private_segment_wavefront_offset 0
		.amdhsa_system_sgpr_workgroup_id_x 1
		.amdhsa_system_sgpr_workgroup_id_y 0
		.amdhsa_system_sgpr_workgroup_id_z 0
		.amdhsa_system_sgpr_workgroup_info 0
		.amdhsa_system_vgpr_workitem_id 0
		.amdhsa_next_free_vgpr 8
		.amdhsa_next_free_sgpr 10
		.amdhsa_accum_offset 8
		.amdhsa_reserve_vcc 1
		.amdhsa_reserve_flat_scratch 0
		.amdhsa_float_round_mode_32 0
		.amdhsa_float_round_mode_16_64 0
		.amdhsa_float_denorm_mode_32 3
		.amdhsa_float_denorm_mode_16_64 3
		.amdhsa_dx10_clamp 1
		.amdhsa_ieee_mode 1
		.amdhsa_fp16_overflow 0
		.amdhsa_tg_split 0
		.amdhsa_exception_fp_ieee_invalid_op 0
		.amdhsa_exception_fp_denorm_src 0
		.amdhsa_exception_fp_ieee_div_zero 0
		.amdhsa_exception_fp_ieee_overflow 0
		.amdhsa_exception_fp_ieee_underflow 0
		.amdhsa_exception_fp_ieee_inexact 0
		.amdhsa_exception_int_div_zero 0
	.end_amdhsa_kernel
	.text
.Lfunc_end0:
	.size	_Z17checkCoverTravEndPiS_S_S_ii, .Lfunc_end0-_Z17checkCoverTravEndPiS_S_S_ii
                                        ; -- End function
	.section	.AMDGPU.csdata,"",@progbits
; Kernel info:
; codeLenInByte = 260
; NumSgprs: 14
; NumVgprs: 8
; NumAgprs: 0
; TotalNumVgprs: 8
; ScratchSize: 0
; MemoryBound: 0
; FloatMode: 240
; IeeeMode: 1
; LDSByteSize: 0 bytes/workgroup (compile time only)
; SGPRBlocks: 1
; VGPRBlocks: 0
; NumSGPRsForWavesPerEU: 14
; NumVGPRsForWavesPerEU: 8
; AccumOffset: 8
; Occupancy: 8
; WaveLimiterHint : 1
; COMPUTE_PGM_RSRC2:SCRATCH_EN: 0
; COMPUTE_PGM_RSRC2:USER_SGPR: 6
; COMPUTE_PGM_RSRC2:TRAP_HANDLER: 0
; COMPUTE_PGM_RSRC2:TGID_X_EN: 1
; COMPUTE_PGM_RSRC2:TGID_Y_EN: 0
; COMPUTE_PGM_RSRC2:TGID_Z_EN: 0
; COMPUTE_PGM_RSRC2:TIDIG_COMP_CNT: 0
; COMPUTE_PGM_RSRC3_GFX90A:ACCUM_OFFSET: 1
; COMPUTE_PGM_RSRC3_GFX90A:TG_SPLIT: 0
	.text
	.p2align	2                               ; -- Begin function __ockl_fprintf_append_string_n
	.type	__ockl_fprintf_append_string_n,@function
__ockl_fprintf_append_string_n:         ; @__ockl_fprintf_append_string_n
; %bb.0:
	s_waitcnt vmcnt(0) expcnt(0) lgkmcnt(0)
	v_mov_b32_e32 v9, v3
	v_mov_b32_e32 v8, v2
	v_or_b32_e32 v2, 2, v0
	v_cmp_eq_u32_e32 vcc, 0, v6
	s_mov_b32 s22, 0
	v_cndmask_b32_e32 v0, v2, v0, vcc
	s_mov_b64 s[6:7], 0
	v_cmp_ne_u64_e32 vcc, 0, v[8:9]
	v_mbcnt_lo_u32_b32 v2, -1, 0
	s_and_saveexec_b64 s[4:5], vcc
	s_xor_b64 s[10:11], exec, s[4:5]
	s_cbranch_execz .LBB1_86
; %bb.1:
	s_load_dwordx2 s[12:13], s[8:9], 0x50
	v_and_b32_e32 v6, 2, v0
	v_mov_b32_e32 v31, 0
	v_and_b32_e32 v0, -3, v0
	v_mbcnt_hi_u32_b32 v32, -1, v2
	s_movk_i32 s23, 0xff1f
	v_mov_b32_e32 v12, 2
	v_mov_b32_e32 v13, 1
	s_branch .LBB1_3
.LBB1_2:                                ;   in Loop: Header=BB1_3 Depth=1
	s_or_b64 exec, exec, s[16:17]
	v_sub_co_u32_e32 v4, vcc, v4, v34
	v_subb_co_u32_e32 v5, vcc, v5, v35, vcc
	v_cmp_eq_u64_e32 vcc, 0, v[4:5]
	s_or_b64 s[6:7], vcc, s[6:7]
	v_add_co_u32_e32 v8, vcc, v8, v34
	v_addc_co_u32_e32 v9, vcc, v9, v35, vcc
	s_andn2_b64 exec, exec, s[6:7]
	s_cbranch_execz .LBB1_85
.LBB1_3:                                ; =>This Loop Header: Depth=1
                                        ;     Child Loop BB1_6 Depth 2
                                        ;     Child Loop BB1_14 Depth 2
	;; [unrolled: 1-line block ×11, first 2 shown]
	v_cmp_gt_u64_e32 vcc, 56, v[4:5]
	v_cndmask_b32_e32 v35, 0, v5, vcc
	v_cndmask_b32_e32 v34, 56, v4, vcc
	v_cmp_gt_u64_e32 vcc, 8, v[4:5]
                                        ; implicit-def: $vgpr2_vgpr3
                                        ; implicit-def: $sgpr14
	s_and_saveexec_b64 s[4:5], vcc
	s_xor_b64 s[4:5], exec, s[4:5]
	s_cbranch_execz .LBB1_9
; %bb.4:                                ;   in Loop: Header=BB1_3 Depth=1
	s_mov_b64 s[16:17], 0
	v_cmp_ne_u64_e32 vcc, 0, v[4:5]
	s_waitcnt vmcnt(0)
	v_pk_mov_b32 v[2:3], 0, 0
	s_and_saveexec_b64 s[14:15], vcc
	s_cbranch_execz .LBB1_8
; %bb.5:                                ;   in Loop: Header=BB1_3 Depth=1
	v_lshlrev_b64 v[10:11], 3, v[34:35]
	v_pk_mov_b32 v[2:3], 0, 0
	v_pk_mov_b32 v[14:15], v[8:9], v[8:9] op_sel:[0,1]
	s_mov_b64 s[18:19], 0
.LBB1_6:                                ;   Parent Loop BB1_3 Depth=1
                                        ; =>  This Inner Loop Header: Depth=2
	flat_load_ubyte v7, v[14:15]
	v_mov_b32_e32 v17, s22
	v_add_co_u32_e32 v14, vcc, 1, v14
	v_addc_co_u32_e32 v15, vcc, 0, v15, vcc
	s_waitcnt vmcnt(0) lgkmcnt(0)
	v_and_b32_e32 v16, 0xffff, v7
	v_lshlrev_b64 v[16:17], s18, v[16:17]
	s_add_u32 s18, s18, 8
	s_addc_u32 s19, s19, 0
	v_cmp_eq_u32_e32 vcc, s18, v10
	v_or_b32_e32 v3, v17, v3
	s_or_b64 s[16:17], vcc, s[16:17]
	v_or_b32_e32 v2, v16, v2
	s_andn2_b64 exec, exec, s[16:17]
	s_cbranch_execnz .LBB1_6
; %bb.7:                                ;   in Loop: Header=BB1_3 Depth=1
	s_or_b64 exec, exec, s[16:17]
.LBB1_8:                                ;   in Loop: Header=BB1_3 Depth=1
	s_or_b64 exec, exec, s[14:15]
	s_mov_b32 s14, 0
.LBB1_9:                                ;   in Loop: Header=BB1_3 Depth=1
	s_or_saveexec_b64 s[4:5], s[4:5]
	v_mov_b32_e32 v7, s14
	v_pk_mov_b32 v[10:11], v[8:9], v[8:9] op_sel:[0,1]
	s_xor_b64 exec, exec, s[4:5]
	s_cbranch_execz .LBB1_11
; %bb.10:                               ;   in Loop: Header=BB1_3 Depth=1
	s_waitcnt vmcnt(0)
	flat_load_dwordx2 v[2:3], v[8:9]
	v_add_u32_e32 v7, -8, v34
	s_waitcnt vmcnt(0) lgkmcnt(0)
	v_and_b32_e32 v10, 0xff, v3
	v_and_b32_e32 v11, 0xff00, v3
	;; [unrolled: 1-line block ×4, first 2 shown]
	v_or_b32_e32 v10, v10, v11
	v_or3_b32 v3, v10, v14, v3
	v_add_co_u32_e32 v10, vcc, 8, v8
	v_or3_b32 v2, v2, 0, 0
	v_addc_co_u32_e32 v11, vcc, 0, v9, vcc
.LBB1_11:                               ;   in Loop: Header=BB1_3 Depth=1
	s_or_b64 exec, exec, s[4:5]
	v_cmp_gt_u32_e32 vcc, 8, v7
                                        ; implicit-def: $vgpr14_vgpr15
                                        ; implicit-def: $sgpr14
	s_and_saveexec_b64 s[4:5], vcc
	s_xor_b64 s[4:5], exec, s[4:5]
	s_cbranch_execz .LBB1_17
; %bb.12:                               ;   in Loop: Header=BB1_3 Depth=1
	v_cmp_ne_u32_e32 vcc, 0, v7
	v_pk_mov_b32 v[14:15], 0, 0
	s_and_saveexec_b64 s[14:15], vcc
	s_cbranch_execz .LBB1_16
; %bb.13:                               ;   in Loop: Header=BB1_3 Depth=1
	s_mov_b64 s[16:17], 0
	v_pk_mov_b32 v[14:15], 0, 0
	s_mov_b64 s[18:19], 0
	s_mov_b64 s[20:21], 0
.LBB1_14:                               ;   Parent Loop BB1_3 Depth=1
                                        ; =>  This Inner Loop Header: Depth=2
	v_mov_b32_e32 v17, s21
	v_add_co_u32_e32 v16, vcc, s20, v10
	v_addc_co_u32_e32 v17, vcc, v11, v17, vcc
	flat_load_ubyte v16, v[16:17]
	s_add_u32 s20, s20, 1
	v_mov_b32_e32 v17, s22
	s_addc_u32 s21, s21, 0
	v_cmp_eq_u32_e32 vcc, s20, v7
	s_waitcnt vmcnt(0) lgkmcnt(0)
	v_and_b32_e32 v16, 0xffff, v16
	v_lshlrev_b64 v[16:17], s18, v[16:17]
	s_add_u32 s18, s18, 8
	s_addc_u32 s19, s19, 0
	v_or_b32_e32 v15, v17, v15
	s_or_b64 s[16:17], vcc, s[16:17]
	v_or_b32_e32 v14, v16, v14
	s_andn2_b64 exec, exec, s[16:17]
	s_cbranch_execnz .LBB1_14
; %bb.15:                               ;   in Loop: Header=BB1_3 Depth=1
	s_or_b64 exec, exec, s[16:17]
.LBB1_16:                               ;   in Loop: Header=BB1_3 Depth=1
	s_or_b64 exec, exec, s[14:15]
	s_mov_b32 s14, 0
                                        ; implicit-def: $vgpr7
.LBB1_17:                               ;   in Loop: Header=BB1_3 Depth=1
	s_or_saveexec_b64 s[4:5], s[4:5]
	v_mov_b32_e32 v18, s14
	s_xor_b64 exec, exec, s[4:5]
	s_cbranch_execz .LBB1_19
; %bb.18:                               ;   in Loop: Header=BB1_3 Depth=1
	flat_load_dwordx2 v[14:15], v[10:11]
	v_add_u32_e32 v18, -8, v7
	v_add_co_u32_e32 v10, vcc, 8, v10
	v_addc_co_u32_e32 v11, vcc, 0, v11, vcc
	s_waitcnt vmcnt(0) lgkmcnt(0)
	v_and_b32_e32 v7, 0xff, v15
	v_and_b32_e32 v16, 0xff00, v15
	;; [unrolled: 1-line block ×4, first 2 shown]
	v_or_b32_e32 v7, v7, v16
	v_or3_b32 v14, v14, 0, 0
	v_or3_b32 v15, v7, v17, v15
.LBB1_19:                               ;   in Loop: Header=BB1_3 Depth=1
	s_or_b64 exec, exec, s[4:5]
	v_cmp_gt_u32_e32 vcc, 8, v18
                                        ; implicit-def: $sgpr14
	s_and_saveexec_b64 s[4:5], vcc
	s_xor_b64 s[4:5], exec, s[4:5]
	s_cbranch_execz .LBB1_25
; %bb.20:                               ;   in Loop: Header=BB1_3 Depth=1
	v_cmp_ne_u32_e32 vcc, 0, v18
	v_pk_mov_b32 v[16:17], 0, 0
	s_and_saveexec_b64 s[14:15], vcc
	s_cbranch_execz .LBB1_24
; %bb.21:                               ;   in Loop: Header=BB1_3 Depth=1
	s_mov_b64 s[16:17], 0
	v_pk_mov_b32 v[16:17], 0, 0
	s_mov_b64 s[18:19], 0
	s_mov_b64 s[20:21], 0
.LBB1_22:                               ;   Parent Loop BB1_3 Depth=1
                                        ; =>  This Inner Loop Header: Depth=2
	v_mov_b32_e32 v7, s21
	v_add_co_u32_e32 v20, vcc, s20, v10
	v_addc_co_u32_e32 v21, vcc, v11, v7, vcc
	flat_load_ubyte v7, v[20:21]
	s_add_u32 s20, s20, 1
	v_mov_b32_e32 v21, s22
	s_addc_u32 s21, s21, 0
	v_cmp_eq_u32_e32 vcc, s20, v18
	s_waitcnt vmcnt(0) lgkmcnt(0)
	v_and_b32_e32 v20, 0xffff, v7
	v_lshlrev_b64 v[20:21], s18, v[20:21]
	s_add_u32 s18, s18, 8
	s_addc_u32 s19, s19, 0
	v_or_b32_e32 v17, v21, v17
	s_or_b64 s[16:17], vcc, s[16:17]
	v_or_b32_e32 v16, v20, v16
	s_andn2_b64 exec, exec, s[16:17]
	s_cbranch_execnz .LBB1_22
; %bb.23:                               ;   in Loop: Header=BB1_3 Depth=1
	s_or_b64 exec, exec, s[16:17]
.LBB1_24:                               ;   in Loop: Header=BB1_3 Depth=1
	s_or_b64 exec, exec, s[14:15]
	s_mov_b32 s14, 0
                                        ; implicit-def: $vgpr18
.LBB1_25:                               ;   in Loop: Header=BB1_3 Depth=1
	s_or_saveexec_b64 s[4:5], s[4:5]
	v_mov_b32_e32 v7, s14
	s_xor_b64 exec, exec, s[4:5]
	s_cbranch_execz .LBB1_27
; %bb.26:                               ;   in Loop: Header=BB1_3 Depth=1
	flat_load_dwordx2 v[16:17], v[10:11]
	v_add_u32_e32 v7, -8, v18
	v_add_co_u32_e32 v10, vcc, 8, v10
	v_addc_co_u32_e32 v11, vcc, 0, v11, vcc
	s_waitcnt vmcnt(0) lgkmcnt(0)
	v_and_b32_e32 v18, 0xff, v17
	v_and_b32_e32 v19, 0xff00, v17
	;; [unrolled: 1-line block ×4, first 2 shown]
	v_or_b32_e32 v18, v18, v19
	v_or3_b32 v16, v16, 0, 0
	v_or3_b32 v17, v18, v20, v17
.LBB1_27:                               ;   in Loop: Header=BB1_3 Depth=1
	s_or_b64 exec, exec, s[4:5]
	v_cmp_gt_u32_e32 vcc, 8, v7
                                        ; implicit-def: $vgpr18_vgpr19
                                        ; implicit-def: $sgpr14
	s_and_saveexec_b64 s[4:5], vcc
	s_xor_b64 s[4:5], exec, s[4:5]
	s_cbranch_execz .LBB1_33
; %bb.28:                               ;   in Loop: Header=BB1_3 Depth=1
	v_cmp_ne_u32_e32 vcc, 0, v7
	v_pk_mov_b32 v[18:19], 0, 0
	s_and_saveexec_b64 s[14:15], vcc
	s_cbranch_execz .LBB1_32
; %bb.29:                               ;   in Loop: Header=BB1_3 Depth=1
	s_mov_b64 s[16:17], 0
	v_pk_mov_b32 v[18:19], 0, 0
	s_mov_b64 s[18:19], 0
	s_mov_b64 s[20:21], 0
.LBB1_30:                               ;   Parent Loop BB1_3 Depth=1
                                        ; =>  This Inner Loop Header: Depth=2
	v_mov_b32_e32 v21, s21
	v_add_co_u32_e32 v20, vcc, s20, v10
	v_addc_co_u32_e32 v21, vcc, v11, v21, vcc
	flat_load_ubyte v20, v[20:21]
	s_add_u32 s20, s20, 1
	v_mov_b32_e32 v21, s22
	s_addc_u32 s21, s21, 0
	v_cmp_eq_u32_e32 vcc, s20, v7
	s_waitcnt vmcnt(0) lgkmcnt(0)
	v_and_b32_e32 v20, 0xffff, v20
	v_lshlrev_b64 v[20:21], s18, v[20:21]
	s_add_u32 s18, s18, 8
	s_addc_u32 s19, s19, 0
	v_or_b32_e32 v19, v21, v19
	s_or_b64 s[16:17], vcc, s[16:17]
	v_or_b32_e32 v18, v20, v18
	s_andn2_b64 exec, exec, s[16:17]
	s_cbranch_execnz .LBB1_30
; %bb.31:                               ;   in Loop: Header=BB1_3 Depth=1
	s_or_b64 exec, exec, s[16:17]
.LBB1_32:                               ;   in Loop: Header=BB1_3 Depth=1
	s_or_b64 exec, exec, s[14:15]
	s_mov_b32 s14, 0
                                        ; implicit-def: $vgpr7
.LBB1_33:                               ;   in Loop: Header=BB1_3 Depth=1
	s_or_saveexec_b64 s[4:5], s[4:5]
	v_mov_b32_e32 v22, s14
	s_xor_b64 exec, exec, s[4:5]
	s_cbranch_execz .LBB1_35
; %bb.34:                               ;   in Loop: Header=BB1_3 Depth=1
	flat_load_dwordx2 v[18:19], v[10:11]
	v_add_u32_e32 v22, -8, v7
	v_add_co_u32_e32 v10, vcc, 8, v10
	v_addc_co_u32_e32 v11, vcc, 0, v11, vcc
	s_waitcnt vmcnt(0) lgkmcnt(0)
	v_and_b32_e32 v7, 0xff, v19
	v_and_b32_e32 v20, 0xff00, v19
	;; [unrolled: 1-line block ×4, first 2 shown]
	v_or_b32_e32 v7, v7, v20
	v_or3_b32 v18, v18, 0, 0
	v_or3_b32 v19, v7, v21, v19
.LBB1_35:                               ;   in Loop: Header=BB1_3 Depth=1
	s_or_b64 exec, exec, s[4:5]
	v_cmp_gt_u32_e32 vcc, 8, v22
                                        ; implicit-def: $sgpr14
	s_and_saveexec_b64 s[4:5], vcc
	s_xor_b64 s[4:5], exec, s[4:5]
	s_cbranch_execz .LBB1_41
; %bb.36:                               ;   in Loop: Header=BB1_3 Depth=1
	v_cmp_ne_u32_e32 vcc, 0, v22
	v_pk_mov_b32 v[20:21], 0, 0
	s_and_saveexec_b64 s[14:15], vcc
	s_cbranch_execz .LBB1_40
; %bb.37:                               ;   in Loop: Header=BB1_3 Depth=1
	s_mov_b64 s[16:17], 0
	v_pk_mov_b32 v[20:21], 0, 0
	s_mov_b64 s[18:19], 0
	s_mov_b64 s[20:21], 0
.LBB1_38:                               ;   Parent Loop BB1_3 Depth=1
                                        ; =>  This Inner Loop Header: Depth=2
	v_mov_b32_e32 v7, s21
	v_add_co_u32_e32 v24, vcc, s20, v10
	v_addc_co_u32_e32 v25, vcc, v11, v7, vcc
	flat_load_ubyte v7, v[24:25]
	s_add_u32 s20, s20, 1
	v_mov_b32_e32 v25, s22
	s_addc_u32 s21, s21, 0
	v_cmp_eq_u32_e32 vcc, s20, v22
	s_waitcnt vmcnt(0) lgkmcnt(0)
	v_and_b32_e32 v24, 0xffff, v7
	v_lshlrev_b64 v[24:25], s18, v[24:25]
	s_add_u32 s18, s18, 8
	s_addc_u32 s19, s19, 0
	v_or_b32_e32 v21, v25, v21
	s_or_b64 s[16:17], vcc, s[16:17]
	v_or_b32_e32 v20, v24, v20
	s_andn2_b64 exec, exec, s[16:17]
	s_cbranch_execnz .LBB1_38
; %bb.39:                               ;   in Loop: Header=BB1_3 Depth=1
	s_or_b64 exec, exec, s[16:17]
.LBB1_40:                               ;   in Loop: Header=BB1_3 Depth=1
	s_or_b64 exec, exec, s[14:15]
	s_mov_b32 s14, 0
                                        ; implicit-def: $vgpr22
.LBB1_41:                               ;   in Loop: Header=BB1_3 Depth=1
	s_or_saveexec_b64 s[4:5], s[4:5]
	v_mov_b32_e32 v7, s14
	s_xor_b64 exec, exec, s[4:5]
	s_cbranch_execz .LBB1_43
; %bb.42:                               ;   in Loop: Header=BB1_3 Depth=1
	flat_load_dwordx2 v[20:21], v[10:11]
	v_add_u32_e32 v7, -8, v22
	v_add_co_u32_e32 v10, vcc, 8, v10
	v_addc_co_u32_e32 v11, vcc, 0, v11, vcc
	s_waitcnt vmcnt(0) lgkmcnt(0)
	v_and_b32_e32 v22, 0xff, v21
	v_and_b32_e32 v23, 0xff00, v21
	;; [unrolled: 1-line block ×4, first 2 shown]
	v_or_b32_e32 v22, v22, v23
	v_or3_b32 v20, v20, 0, 0
	v_or3_b32 v21, v22, v24, v21
.LBB1_43:                               ;   in Loop: Header=BB1_3 Depth=1
	s_or_b64 exec, exec, s[4:5]
	v_cmp_gt_u32_e32 vcc, 8, v7
                                        ; implicit-def: $vgpr22_vgpr23
                                        ; implicit-def: $sgpr14
	s_and_saveexec_b64 s[4:5], vcc
	s_xor_b64 s[4:5], exec, s[4:5]
	s_cbranch_execz .LBB1_49
; %bb.44:                               ;   in Loop: Header=BB1_3 Depth=1
	v_cmp_ne_u32_e32 vcc, 0, v7
	v_pk_mov_b32 v[22:23], 0, 0
	s_and_saveexec_b64 s[14:15], vcc
	s_cbranch_execz .LBB1_48
; %bb.45:                               ;   in Loop: Header=BB1_3 Depth=1
	s_mov_b64 s[16:17], 0
	v_pk_mov_b32 v[22:23], 0, 0
	s_mov_b64 s[18:19], 0
	s_mov_b64 s[20:21], 0
.LBB1_46:                               ;   Parent Loop BB1_3 Depth=1
                                        ; =>  This Inner Loop Header: Depth=2
	v_mov_b32_e32 v25, s21
	v_add_co_u32_e32 v24, vcc, s20, v10
	v_addc_co_u32_e32 v25, vcc, v11, v25, vcc
	flat_load_ubyte v24, v[24:25]
	s_add_u32 s20, s20, 1
	v_mov_b32_e32 v25, s22
	s_addc_u32 s21, s21, 0
	v_cmp_eq_u32_e32 vcc, s20, v7
	s_waitcnt vmcnt(0) lgkmcnt(0)
	v_and_b32_e32 v24, 0xffff, v24
	v_lshlrev_b64 v[24:25], s18, v[24:25]
	s_add_u32 s18, s18, 8
	s_addc_u32 s19, s19, 0
	v_or_b32_e32 v23, v25, v23
	s_or_b64 s[16:17], vcc, s[16:17]
	v_or_b32_e32 v22, v24, v22
	s_andn2_b64 exec, exec, s[16:17]
	s_cbranch_execnz .LBB1_46
; %bb.47:                               ;   in Loop: Header=BB1_3 Depth=1
	s_or_b64 exec, exec, s[16:17]
.LBB1_48:                               ;   in Loop: Header=BB1_3 Depth=1
	s_or_b64 exec, exec, s[14:15]
	s_mov_b32 s14, 0
                                        ; implicit-def: $vgpr7
.LBB1_49:                               ;   in Loop: Header=BB1_3 Depth=1
	s_or_saveexec_b64 s[4:5], s[4:5]
	v_mov_b32_e32 v26, s14
	s_xor_b64 exec, exec, s[4:5]
	s_cbranch_execz .LBB1_51
; %bb.50:                               ;   in Loop: Header=BB1_3 Depth=1
	flat_load_dwordx2 v[22:23], v[10:11]
	v_add_u32_e32 v26, -8, v7
	v_add_co_u32_e32 v10, vcc, 8, v10
	v_addc_co_u32_e32 v11, vcc, 0, v11, vcc
	s_waitcnt vmcnt(0) lgkmcnt(0)
	v_and_b32_e32 v7, 0xff, v23
	v_and_b32_e32 v24, 0xff00, v23
	;; [unrolled: 1-line block ×4, first 2 shown]
	v_or_b32_e32 v7, v7, v24
	v_or3_b32 v22, v22, 0, 0
	v_or3_b32 v23, v7, v25, v23
.LBB1_51:                               ;   in Loop: Header=BB1_3 Depth=1
	s_or_b64 exec, exec, s[4:5]
	v_cmp_gt_u32_e32 vcc, 8, v26
	s_and_saveexec_b64 s[4:5], vcc
	s_xor_b64 s[4:5], exec, s[4:5]
	s_cbranch_execz .LBB1_57
; %bb.52:                               ;   in Loop: Header=BB1_3 Depth=1
	v_cmp_ne_u32_e32 vcc, 0, v26
	v_pk_mov_b32 v[24:25], 0, 0
	s_and_saveexec_b64 s[14:15], vcc
	s_cbranch_execz .LBB1_56
; %bb.53:                               ;   in Loop: Header=BB1_3 Depth=1
	s_mov_b64 s[16:17], 0
	v_pk_mov_b32 v[24:25], 0, 0
	s_mov_b64 s[18:19], 0
.LBB1_54:                               ;   Parent Loop BB1_3 Depth=1
                                        ; =>  This Inner Loop Header: Depth=2
	flat_load_ubyte v7, v[10:11]
	v_mov_b32_e32 v29, s22
	v_add_co_u32_e32 v10, vcc, 1, v10
	v_add_u32_e32 v26, -1, v26
	v_addc_co_u32_e32 v11, vcc, 0, v11, vcc
	v_cmp_eq_u32_e32 vcc, 0, v26
	s_waitcnt vmcnt(0) lgkmcnt(0)
	v_and_b32_e32 v28, 0xffff, v7
	v_lshlrev_b64 v[28:29], s18, v[28:29]
	s_add_u32 s18, s18, 8
	s_addc_u32 s19, s19, 0
	v_or_b32_e32 v25, v29, v25
	s_or_b64 s[16:17], vcc, s[16:17]
	v_or_b32_e32 v24, v28, v24
	s_andn2_b64 exec, exec, s[16:17]
	s_cbranch_execnz .LBB1_54
; %bb.55:                               ;   in Loop: Header=BB1_3 Depth=1
	s_or_b64 exec, exec, s[16:17]
.LBB1_56:                               ;   in Loop: Header=BB1_3 Depth=1
	s_or_b64 exec, exec, s[14:15]
                                        ; implicit-def: $vgpr10_vgpr11
.LBB1_57:                               ;   in Loop: Header=BB1_3 Depth=1
	s_andn2_saveexec_b64 s[4:5], s[4:5]
	s_cbranch_execz .LBB1_59
; %bb.58:                               ;   in Loop: Header=BB1_3 Depth=1
	flat_load_dwordx2 v[10:11], v[10:11]
	s_waitcnt vmcnt(0) lgkmcnt(0)
	v_and_b32_e32 v7, 0xff, v11
	v_and_b32_e32 v24, 0xff00, v11
	;; [unrolled: 1-line block ×4, first 2 shown]
	v_or_b32_e32 v7, v7, v24
	v_or3_b32 v25, v7, v25, v11
	v_or3_b32 v24, v10, 0, 0
.LBB1_59:                               ;   in Loop: Header=BB1_3 Depth=1
	s_or_b64 exec, exec, s[4:5]
	v_readfirstlane_b32 s4, v32
	v_cmp_eq_u32_e64 s[4:5], s4, v32
	v_pk_mov_b32 v[10:11], 0, 0
	s_and_saveexec_b64 s[14:15], s[4:5]
	s_cbranch_execz .LBB1_65
; %bb.60:                               ;   in Loop: Header=BB1_3 Depth=1
	s_waitcnt lgkmcnt(0)
	global_load_dwordx2 v[28:29], v31, s[12:13] offset:24 glc
	s_waitcnt vmcnt(0)
	buffer_invl2
	buffer_wbinvl1_vol
	global_load_dwordx2 v[10:11], v31, s[12:13] offset:40
	global_load_dwordx2 v[26:27], v31, s[12:13]
	s_waitcnt vmcnt(1)
	v_and_b32_e32 v7, v10, v28
	v_and_b32_e32 v10, v11, v29
	v_mul_lo_u32 v10, v10, 24
	v_mul_hi_u32 v11, v7, 24
	v_mul_lo_u32 v7, v7, 24
	v_add_u32_e32 v11, v11, v10
	s_waitcnt vmcnt(0)
	v_add_co_u32_e32 v10, vcc, v26, v7
	v_addc_co_u32_e32 v11, vcc, v27, v11, vcc
	global_load_dwordx2 v[26:27], v[10:11], off glc
	s_waitcnt vmcnt(0)
	global_atomic_cmpswap_x2 v[10:11], v31, v[26:29], s[12:13] offset:24 glc
	s_waitcnt vmcnt(0)
	buffer_invl2
	buffer_wbinvl1_vol
	v_cmp_ne_u64_e32 vcc, v[10:11], v[28:29]
	s_and_saveexec_b64 s[16:17], vcc
	s_cbranch_execz .LBB1_64
; %bb.61:                               ;   in Loop: Header=BB1_3 Depth=1
	s_mov_b64 s[18:19], 0
.LBB1_62:                               ;   Parent Loop BB1_3 Depth=1
                                        ; =>  This Inner Loop Header: Depth=2
	s_sleep 1
	global_load_dwordx2 v[26:27], v31, s[12:13] offset:40
	global_load_dwordx2 v[36:37], v31, s[12:13]
	v_pk_mov_b32 v[28:29], v[10:11], v[10:11] op_sel:[0,1]
	s_waitcnt vmcnt(1)
	v_and_b32_e32 v10, v26, v28
	s_waitcnt vmcnt(0)
	v_mad_u64_u32 v[10:11], s[20:21], v10, 24, v[36:37]
	v_and_b32_e32 v7, v27, v29
	v_mov_b32_e32 v26, v11
	v_mad_u64_u32 v[26:27], s[20:21], v7, 24, v[26:27]
	v_mov_b32_e32 v11, v26
	global_load_dwordx2 v[26:27], v[10:11], off glc
	s_waitcnt vmcnt(0)
	global_atomic_cmpswap_x2 v[10:11], v31, v[26:29], s[12:13] offset:24 glc
	s_waitcnt vmcnt(0)
	buffer_invl2
	buffer_wbinvl1_vol
	v_cmp_eq_u64_e32 vcc, v[10:11], v[28:29]
	s_or_b64 s[18:19], vcc, s[18:19]
	s_andn2_b64 exec, exec, s[18:19]
	s_cbranch_execnz .LBB1_62
; %bb.63:                               ;   in Loop: Header=BB1_3 Depth=1
	s_or_b64 exec, exec, s[18:19]
.LBB1_64:                               ;   in Loop: Header=BB1_3 Depth=1
	s_or_b64 exec, exec, s[16:17]
.LBB1_65:                               ;   in Loop: Header=BB1_3 Depth=1
	s_or_b64 exec, exec, s[14:15]
	s_waitcnt lgkmcnt(0)
	global_load_dwordx2 v[36:37], v31, s[12:13] offset:40
	global_load_dwordx4 v[26:29], v31, s[12:13]
	v_readfirstlane_b32 s14, v10
	v_readfirstlane_b32 s15, v11
	s_mov_b64 s[16:17], exec
	s_waitcnt vmcnt(1)
	v_readfirstlane_b32 s18, v36
	v_readfirstlane_b32 s19, v37
	s_and_b64 s[18:19], s[14:15], s[18:19]
	s_mul_i32 s20, s19, 24
	s_mul_hi_u32 s21, s18, 24
	s_mul_i32 s24, s18, 24
	s_add_i32 s20, s21, s20
	v_mov_b32_e32 v7, s20
	s_waitcnt vmcnt(0)
	v_add_co_u32_e32 v36, vcc, s24, v26
	v_addc_co_u32_e32 v37, vcc, v27, v7, vcc
	s_and_saveexec_b64 s[20:21], s[4:5]
	s_cbranch_execz .LBB1_67
; %bb.66:                               ;   in Loop: Header=BB1_3 Depth=1
	v_pk_mov_b32 v[10:11], s[16:17], s[16:17] op_sel:[0,1]
	global_store_dwordx4 v[36:37], v[10:13], off offset:8
.LBB1_67:                               ;   in Loop: Header=BB1_3 Depth=1
	s_or_b64 exec, exec, s[20:21]
	s_lshl_b64 s[16:17], s[18:19], 12
	v_mov_b32_e32 v7, s17
	v_add_co_u32_e32 v10, vcc, s16, v28
	v_addc_co_u32_e32 v7, vcc, v29, v7, vcc
	v_or_b32_e32 v11, 0, v1
	v_cmp_lt_u64_e32 vcc, 56, v[4:5]
	v_or_b32_e32 v28, v0, v6
	v_cndmask_b32_e32 v1, v11, v1, vcc
	v_lshl_add_u32 v11, v34, 2, 28
	v_cndmask_b32_e32 v0, v28, v0, vcc
	v_and_b32_e32 v11, 0x1e0, v11
	v_and_or_b32 v0, v0, s23, v11
	v_lshlrev_b32_e32 v11, 6, v32
	v_readfirstlane_b32 s16, v10
	v_readfirstlane_b32 s17, v7
	s_nop 4
	global_store_dwordx4 v11, v[0:3], s[16:17]
	global_store_dwordx4 v11, v[14:17], s[16:17] offset:16
	global_store_dwordx4 v11, v[18:21], s[16:17] offset:32
	;; [unrolled: 1-line block ×3, first 2 shown]
	s_and_saveexec_b64 s[16:17], s[4:5]
	s_cbranch_execz .LBB1_75
; %bb.68:                               ;   in Loop: Header=BB1_3 Depth=1
	global_load_dwordx2 v[18:19], v31, s[12:13] offset:32 glc
	global_load_dwordx2 v[0:1], v31, s[12:13] offset:40
	v_mov_b32_e32 v16, s14
	v_mov_b32_e32 v17, s15
	s_waitcnt vmcnt(0)
	v_readfirstlane_b32 s18, v0
	v_readfirstlane_b32 s19, v1
	s_and_b64 s[18:19], s[18:19], s[14:15]
	s_mul_i32 s19, s19, 24
	s_mul_hi_u32 s20, s18, 24
	s_mul_i32 s18, s18, 24
	s_add_i32 s19, s20, s19
	v_mov_b32_e32 v0, s19
	v_add_co_u32_e32 v14, vcc, s18, v26
	v_addc_co_u32_e32 v15, vcc, v27, v0, vcc
	global_store_dwordx2 v[14:15], v[18:19], off
	buffer_wbl2
	s_waitcnt vmcnt(0)
	global_atomic_cmpswap_x2 v[2:3], v31, v[16:19], s[12:13] offset:32 glc
	s_waitcnt vmcnt(0)
	v_cmp_ne_u64_e32 vcc, v[2:3], v[18:19]
	s_and_saveexec_b64 s[18:19], vcc
	s_cbranch_execz .LBB1_71
; %bb.69:                               ;   in Loop: Header=BB1_3 Depth=1
	s_mov_b64 s[20:21], 0
.LBB1_70:                               ;   Parent Loop BB1_3 Depth=1
                                        ; =>  This Inner Loop Header: Depth=2
	s_sleep 1
	global_store_dwordx2 v[14:15], v[2:3], off
	v_mov_b32_e32 v0, s14
	v_mov_b32_e32 v1, s15
	buffer_wbl2
	s_waitcnt vmcnt(0)
	global_atomic_cmpswap_x2 v[0:1], v31, v[0:3], s[12:13] offset:32 glc
	s_waitcnt vmcnt(0)
	v_cmp_eq_u64_e32 vcc, v[0:1], v[2:3]
	s_or_b64 s[20:21], vcc, s[20:21]
	v_pk_mov_b32 v[2:3], v[0:1], v[0:1] op_sel:[0,1]
	s_andn2_b64 exec, exec, s[20:21]
	s_cbranch_execnz .LBB1_70
.LBB1_71:                               ;   in Loop: Header=BB1_3 Depth=1
	s_or_b64 exec, exec, s[18:19]
	global_load_dwordx2 v[0:1], v31, s[12:13] offset:16
	s_mov_b64 s[20:21], exec
	v_mbcnt_lo_u32_b32 v2, s20, 0
	v_mbcnt_hi_u32_b32 v2, s21, v2
	v_cmp_eq_u32_e32 vcc, 0, v2
	s_and_saveexec_b64 s[18:19], vcc
	s_cbranch_execz .LBB1_73
; %bb.72:                               ;   in Loop: Header=BB1_3 Depth=1
	s_bcnt1_i32_b64 s20, s[20:21]
	v_mov_b32_e32 v30, s20
	buffer_wbl2
	s_waitcnt vmcnt(0)
	global_atomic_add_x2 v[0:1], v[30:31], off offset:8
.LBB1_73:                               ;   in Loop: Header=BB1_3 Depth=1
	s_or_b64 exec, exec, s[18:19]
	s_waitcnt vmcnt(0)
	global_load_dwordx2 v[2:3], v[0:1], off offset:16
	s_waitcnt vmcnt(0)
	v_cmp_eq_u64_e32 vcc, 0, v[2:3]
	s_cbranch_vccnz .LBB1_75
; %bb.74:                               ;   in Loop: Header=BB1_3 Depth=1
	global_load_dword v30, v[0:1], off offset:24
	s_waitcnt vmcnt(0)
	v_and_b32_e32 v0, 0xffffff, v30
	v_readfirstlane_b32 m0, v0
	buffer_wbl2
	global_store_dwordx2 v[2:3], v[30:31], off
	s_sendmsg sendmsg(MSG_INTERRUPT)
.LBB1_75:                               ;   in Loop: Header=BB1_3 Depth=1
	s_or_b64 exec, exec, s[16:17]
	v_add_co_u32_e32 v0, vcc, v10, v11
	v_addc_co_u32_e32 v1, vcc, 0, v7, vcc
	s_branch .LBB1_79
.LBB1_76:                               ;   in Loop: Header=BB1_79 Depth=2
	s_or_b64 exec, exec, s[16:17]
	v_readfirstlane_b32 s16, v2
	s_cmp_eq_u32 s16, 0
	s_cbranch_scc1 .LBB1_78
; %bb.77:                               ;   in Loop: Header=BB1_79 Depth=2
	s_sleep 1
	s_cbranch_execnz .LBB1_79
	s_branch .LBB1_81
.LBB1_78:                               ;   in Loop: Header=BB1_3 Depth=1
	s_branch .LBB1_81
.LBB1_79:                               ;   Parent Loop BB1_3 Depth=1
                                        ; =>  This Inner Loop Header: Depth=2
	v_mov_b32_e32 v2, 1
	s_and_saveexec_b64 s[16:17], s[4:5]
	s_cbranch_execz .LBB1_76
; %bb.80:                               ;   in Loop: Header=BB1_79 Depth=2
	global_load_dword v2, v[36:37], off offset:20 glc
	s_waitcnt vmcnt(0)
	buffer_invl2
	buffer_wbinvl1_vol
	v_and_b32_e32 v2, 1, v2
	s_branch .LBB1_76
.LBB1_81:                               ;   in Loop: Header=BB1_3 Depth=1
	global_load_dwordx4 v[0:3], v[0:1], off
	s_and_saveexec_b64 s[16:17], s[4:5]
	s_cbranch_execz .LBB1_2
; %bb.82:                               ;   in Loop: Header=BB1_3 Depth=1
	global_load_dwordx2 v[2:3], v31, s[12:13] offset:40
	global_load_dwordx2 v[10:11], v31, s[12:13] offset:24 glc
	global_load_dwordx2 v[18:19], v31, s[12:13]
	v_mov_b32_e32 v7, s15
	s_waitcnt vmcnt(2)
	v_add_co_u32_e32 v17, vcc, 1, v2
	v_addc_co_u32_e32 v20, vcc, 0, v3, vcc
	v_add_co_u32_e32 v14, vcc, s14, v17
	v_addc_co_u32_e32 v15, vcc, v20, v7, vcc
	v_cmp_eq_u64_e32 vcc, 0, v[14:15]
	v_cndmask_b32_e32 v15, v15, v20, vcc
	v_cndmask_b32_e32 v14, v14, v17, vcc
	v_and_b32_e32 v3, v15, v3
	v_and_b32_e32 v2, v14, v2
	v_mul_lo_u32 v3, v3, 24
	v_mul_hi_u32 v7, v2, 24
	v_mul_lo_u32 v2, v2, 24
	v_add_u32_e32 v3, v7, v3
	s_waitcnt vmcnt(0)
	v_add_co_u32_e32 v2, vcc, v18, v2
	v_addc_co_u32_e32 v3, vcc, v19, v3, vcc
	v_mov_b32_e32 v16, v10
	global_store_dwordx2 v[2:3], v[10:11], off
	v_mov_b32_e32 v17, v11
	buffer_wbl2
	s_waitcnt vmcnt(0)
	global_atomic_cmpswap_x2 v[16:17], v31, v[14:17], s[12:13] offset:24 glc
	s_waitcnt vmcnt(0)
	v_cmp_ne_u64_e32 vcc, v[16:17], v[10:11]
	s_and_b64 exec, exec, vcc
	s_cbranch_execz .LBB1_2
; %bb.83:                               ;   in Loop: Header=BB1_3 Depth=1
	s_mov_b64 s[4:5], 0
.LBB1_84:                               ;   Parent Loop BB1_3 Depth=1
                                        ; =>  This Inner Loop Header: Depth=2
	s_sleep 1
	global_store_dwordx2 v[2:3], v[16:17], off
	buffer_wbl2
	s_waitcnt vmcnt(0)
	global_atomic_cmpswap_x2 v[10:11], v31, v[14:17], s[12:13] offset:24 glc
	s_waitcnt vmcnt(0)
	v_cmp_eq_u64_e32 vcc, v[10:11], v[16:17]
	s_or_b64 s[4:5], vcc, s[4:5]
	v_pk_mov_b32 v[16:17], v[10:11], v[10:11] op_sel:[0,1]
	s_andn2_b64 exec, exec, s[4:5]
	s_cbranch_execnz .LBB1_84
	s_branch .LBB1_2
.LBB1_85:
	s_or_b64 exec, exec, s[6:7]
                                        ; implicit-def: $vgpr0
                                        ; implicit-def: $vgpr1
                                        ; implicit-def: $vgpr2
.LBB1_86:
	s_andn2_saveexec_b64 s[6:7], s[10:11]
	s_cbranch_execz .LBB1_109
; %bb.87:
	s_load_dwordx2 s[8:9], s[8:9], 0x50
	s_waitcnt vmcnt(0)
	v_mbcnt_hi_u32_b32 v3, -1, v2
	v_readfirstlane_b32 s4, v3
	v_cmp_eq_u32_e64 s[4:5], s4, v3
	v_pk_mov_b32 v[8:9], 0, 0
	s_and_saveexec_b64 s[10:11], s[4:5]
	s_cbranch_execz .LBB1_93
; %bb.88:
	v_mov_b32_e32 v2, 0
	s_waitcnt lgkmcnt(0)
	global_load_dwordx2 v[6:7], v2, s[8:9] offset:24 glc
	s_waitcnt vmcnt(0)
	buffer_invl2
	buffer_wbinvl1_vol
	global_load_dwordx2 v[4:5], v2, s[8:9] offset:40
	global_load_dwordx2 v[8:9], v2, s[8:9]
	s_waitcnt vmcnt(1)
	v_and_b32_e32 v4, v4, v6
	v_and_b32_e32 v5, v5, v7
	v_mul_lo_u32 v5, v5, 24
	v_mul_hi_u32 v10, v4, 24
	v_mul_lo_u32 v4, v4, 24
	v_add_u32_e32 v5, v10, v5
	s_waitcnt vmcnt(0)
	v_add_co_u32_e32 v4, vcc, v8, v4
	v_addc_co_u32_e32 v5, vcc, v9, v5, vcc
	global_load_dwordx2 v[4:5], v[4:5], off glc
	s_waitcnt vmcnt(0)
	global_atomic_cmpswap_x2 v[8:9], v2, v[4:7], s[8:9] offset:24 glc
	s_waitcnt vmcnt(0)
	buffer_invl2
	buffer_wbinvl1_vol
	v_cmp_ne_u64_e32 vcc, v[8:9], v[6:7]
	s_and_saveexec_b64 s[12:13], vcc
	s_cbranch_execz .LBB1_92
; %bb.89:
	s_mov_b64 s[14:15], 0
.LBB1_90:                               ; =>This Inner Loop Header: Depth=1
	s_sleep 1
	global_load_dwordx2 v[4:5], v2, s[8:9] offset:40
	global_load_dwordx2 v[10:11], v2, s[8:9]
	v_pk_mov_b32 v[6:7], v[8:9], v[8:9] op_sel:[0,1]
	s_waitcnt vmcnt(1)
	v_and_b32_e32 v4, v4, v6
	v_and_b32_e32 v9, v5, v7
	s_waitcnt vmcnt(0)
	v_mad_u64_u32 v[4:5], s[16:17], v4, 24, v[10:11]
	v_mov_b32_e32 v8, v5
	v_mad_u64_u32 v[8:9], s[16:17], v9, 24, v[8:9]
	v_mov_b32_e32 v5, v8
	global_load_dwordx2 v[4:5], v[4:5], off glc
	s_waitcnt vmcnt(0)
	global_atomic_cmpswap_x2 v[8:9], v2, v[4:7], s[8:9] offset:24 glc
	s_waitcnt vmcnt(0)
	buffer_invl2
	buffer_wbinvl1_vol
	v_cmp_eq_u64_e32 vcc, v[8:9], v[6:7]
	s_or_b64 s[14:15], vcc, s[14:15]
	s_andn2_b64 exec, exec, s[14:15]
	s_cbranch_execnz .LBB1_90
; %bb.91:
	s_or_b64 exec, exec, s[14:15]
.LBB1_92:
	s_or_b64 exec, exec, s[12:13]
.LBB1_93:
	s_or_b64 exec, exec, s[10:11]
	v_mov_b32_e32 v2, 0
	s_waitcnt lgkmcnt(0)
	global_load_dwordx2 v[10:11], v2, s[8:9] offset:40
	global_load_dwordx4 v[4:7], v2, s[8:9]
	v_readfirstlane_b32 s10, v8
	v_readfirstlane_b32 s11, v9
	s_mov_b64 s[12:13], exec
	s_waitcnt vmcnt(1)
	v_readfirstlane_b32 s14, v10
	v_readfirstlane_b32 s15, v11
	s_and_b64 s[14:15], s[10:11], s[14:15]
	s_mul_i32 s16, s15, 24
	s_mul_hi_u32 s17, s14, 24
	s_mul_i32 s18, s14, 24
	s_add_i32 s16, s17, s16
	v_mov_b32_e32 v9, s16
	s_waitcnt vmcnt(0)
	v_add_co_u32_e32 v8, vcc, s18, v4
	v_addc_co_u32_e32 v9, vcc, v5, v9, vcc
	s_and_saveexec_b64 s[16:17], s[4:5]
	s_cbranch_execz .LBB1_95
; %bb.94:
	v_pk_mov_b32 v[10:11], s[12:13], s[12:13] op_sel:[0,1]
	v_mov_b32_e32 v12, 2
	v_mov_b32_e32 v13, 1
	global_store_dwordx4 v[8:9], v[10:13], off offset:8
.LBB1_95:
	s_or_b64 exec, exec, s[16:17]
	s_lshl_b64 s[12:13], s[14:15], 12
	v_mov_b32_e32 v10, s13
	v_add_co_u32_e32 v6, vcc, s12, v6
	s_movk_i32 s12, 0xff1f
	v_addc_co_u32_e32 v7, vcc, v7, v10, vcc
	v_and_or_b32 v0, v0, s12, 32
	s_mov_b32 s12, 0
	v_lshlrev_b32_e32 v10, 6, v3
	v_mov_b32_e32 v3, v2
	v_readfirstlane_b32 s16, v6
	v_readfirstlane_b32 s17, v7
	s_mov_b32 s13, s12
	s_mov_b32 s14, s12
	s_mov_b32 s15, s12
	s_nop 1
	global_store_dwordx4 v10, v[0:3], s[16:17]
	s_nop 0
	v_pk_mov_b32 v[0:1], s[12:13], s[12:13] op_sel:[0,1]
	v_pk_mov_b32 v[2:3], s[14:15], s[14:15] op_sel:[0,1]
	global_store_dwordx4 v10, v[0:3], s[16:17] offset:16
	global_store_dwordx4 v10, v[0:3], s[16:17] offset:32
	;; [unrolled: 1-line block ×3, first 2 shown]
	s_and_saveexec_b64 s[12:13], s[4:5]
	s_cbranch_execz .LBB1_103
; %bb.96:
	v_mov_b32_e32 v6, 0
	global_load_dwordx2 v[12:13], v6, s[8:9] offset:32 glc
	global_load_dwordx2 v[0:1], v6, s[8:9] offset:40
	v_mov_b32_e32 v10, s10
	v_mov_b32_e32 v11, s11
	s_waitcnt vmcnt(0)
	v_and_b32_e32 v0, s10, v0
	v_and_b32_e32 v1, s11, v1
	v_mul_lo_u32 v1, v1, 24
	v_mul_hi_u32 v2, v0, 24
	v_mul_lo_u32 v0, v0, 24
	v_add_u32_e32 v1, v2, v1
	v_add_co_u32_e32 v4, vcc, v4, v0
	v_addc_co_u32_e32 v5, vcc, v5, v1, vcc
	global_store_dwordx2 v[4:5], v[12:13], off
	buffer_wbl2
	s_waitcnt vmcnt(0)
	global_atomic_cmpswap_x2 v[2:3], v6, v[10:13], s[8:9] offset:32 glc
	s_waitcnt vmcnt(0)
	v_cmp_ne_u64_e32 vcc, v[2:3], v[12:13]
	s_and_saveexec_b64 s[14:15], vcc
	s_cbranch_execz .LBB1_99
; %bb.97:
	s_mov_b64 s[16:17], 0
.LBB1_98:                               ; =>This Inner Loop Header: Depth=1
	s_sleep 1
	global_store_dwordx2 v[4:5], v[2:3], off
	v_mov_b32_e32 v0, s10
	v_mov_b32_e32 v1, s11
	buffer_wbl2
	s_waitcnt vmcnt(0)
	global_atomic_cmpswap_x2 v[0:1], v6, v[0:3], s[8:9] offset:32 glc
	s_waitcnt vmcnt(0)
	v_cmp_eq_u64_e32 vcc, v[0:1], v[2:3]
	s_or_b64 s[16:17], vcc, s[16:17]
	v_pk_mov_b32 v[2:3], v[0:1], v[0:1] op_sel:[0,1]
	s_andn2_b64 exec, exec, s[16:17]
	s_cbranch_execnz .LBB1_98
.LBB1_99:
	s_or_b64 exec, exec, s[14:15]
	v_mov_b32_e32 v3, 0
	global_load_dwordx2 v[0:1], v3, s[8:9] offset:16
	s_mov_b64 s[14:15], exec
	v_mbcnt_lo_u32_b32 v2, s14, 0
	v_mbcnt_hi_u32_b32 v2, s15, v2
	v_cmp_eq_u32_e32 vcc, 0, v2
	s_and_saveexec_b64 s[16:17], vcc
	s_cbranch_execz .LBB1_101
; %bb.100:
	s_bcnt1_i32_b64 s14, s[14:15]
	v_mov_b32_e32 v2, s14
	buffer_wbl2
	s_waitcnt vmcnt(0)
	global_atomic_add_x2 v[0:1], v[2:3], off offset:8
.LBB1_101:
	s_or_b64 exec, exec, s[16:17]
	s_waitcnt vmcnt(0)
	global_load_dwordx2 v[2:3], v[0:1], off offset:16
	s_waitcnt vmcnt(0)
	v_cmp_eq_u64_e32 vcc, 0, v[2:3]
	s_cbranch_vccnz .LBB1_103
; %bb.102:
	global_load_dword v0, v[0:1], off offset:24
	v_mov_b32_e32 v1, 0
	buffer_wbl2
	s_waitcnt vmcnt(0)
	global_store_dwordx2 v[2:3], v[0:1], off
	v_and_b32_e32 v0, 0xffffff, v0
	v_readfirstlane_b32 m0, v0
	s_sendmsg sendmsg(MSG_INTERRUPT)
.LBB1_103:
	s_or_b64 exec, exec, s[12:13]
	s_branch .LBB1_107
.LBB1_104:                              ;   in Loop: Header=BB1_107 Depth=1
	s_or_b64 exec, exec, s[12:13]
	v_readfirstlane_b32 s12, v0
	s_cmp_eq_u32 s12, 0
	s_cbranch_scc1 .LBB1_106
; %bb.105:                              ;   in Loop: Header=BB1_107 Depth=1
	s_sleep 1
	s_cbranch_execnz .LBB1_107
	s_branch .LBB1_110
.LBB1_106:
	s_branch .LBB1_110
.LBB1_107:                              ; =>This Inner Loop Header: Depth=1
	v_mov_b32_e32 v0, 1
	s_and_saveexec_b64 s[12:13], s[4:5]
	s_cbranch_execz .LBB1_104
; %bb.108:                              ;   in Loop: Header=BB1_107 Depth=1
	global_load_dword v0, v[8:9], off offset:20 glc
	s_waitcnt vmcnt(0)
	buffer_invl2
	buffer_wbinvl1_vol
	v_and_b32_e32 v0, 1, v0
	s_branch .LBB1_104
.LBB1_109:
	s_or_b64 exec, exec, s[6:7]
	s_waitcnt vmcnt(0) lgkmcnt(0)
	s_setpc_b64 s[30:31]
.LBB1_110:
	s_and_saveexec_b64 s[12:13], s[4:5]
	s_cbranch_execz .LBB1_113
; %bb.111:
	v_mov_b32_e32 v6, 0
	global_load_dwordx2 v[4:5], v6, s[8:9] offset:40
	global_load_dwordx2 v[8:9], v6, s[8:9] offset:24 glc
	global_load_dwordx2 v[10:11], v6, s[8:9]
	v_mov_b32_e32 v1, s11
	s_mov_b64 s[4:5], 0
	s_waitcnt vmcnt(2)
	v_add_co_u32_e32 v3, vcc, 1, v4
	v_addc_co_u32_e32 v7, vcc, 0, v5, vcc
	v_add_co_u32_e32 v0, vcc, s10, v3
	v_addc_co_u32_e32 v1, vcc, v7, v1, vcc
	v_cmp_eq_u64_e32 vcc, 0, v[0:1]
	v_cndmask_b32_e32 v1, v1, v7, vcc
	v_cndmask_b32_e32 v0, v0, v3, vcc
	v_and_b32_e32 v3, v1, v5
	v_and_b32_e32 v4, v0, v4
	v_mul_lo_u32 v3, v3, 24
	v_mul_hi_u32 v5, v4, 24
	v_mul_lo_u32 v4, v4, 24
	v_add_u32_e32 v3, v5, v3
	s_waitcnt vmcnt(0)
	v_add_co_u32_e32 v4, vcc, v10, v4
	v_addc_co_u32_e32 v5, vcc, v11, v3, vcc
	v_mov_b32_e32 v2, v8
	global_store_dwordx2 v[4:5], v[8:9], off
	v_mov_b32_e32 v3, v9
	buffer_wbl2
	s_waitcnt vmcnt(0)
	global_atomic_cmpswap_x2 v[2:3], v6, v[0:3], s[8:9] offset:24 glc
	s_waitcnt vmcnt(0)
	v_cmp_ne_u64_e32 vcc, v[2:3], v[8:9]
	s_and_b64 exec, exec, vcc
	s_cbranch_execz .LBB1_113
.LBB1_112:                              ; =>This Inner Loop Header: Depth=1
	s_sleep 1
	global_store_dwordx2 v[4:5], v[2:3], off
	buffer_wbl2
	s_waitcnt vmcnt(0)
	global_atomic_cmpswap_x2 v[8:9], v6, v[0:3], s[8:9] offset:24 glc
	s_waitcnt vmcnt(0)
	v_cmp_eq_u64_e32 vcc, v[8:9], v[2:3]
	s_or_b64 s[4:5], vcc, s[4:5]
	v_pk_mov_b32 v[2:3], v[8:9], v[8:9] op_sel:[0,1]
	s_andn2_b64 exec, exec, s[4:5]
	s_cbranch_execnz .LBB1_112
.LBB1_113:
	s_or_b64 exec, exec, s[12:13]
	s_or_b64 exec, exec, s[6:7]
	s_waitcnt vmcnt(0) lgkmcnt(0)
	s_setpc_b64 s[30:31]
.Lfunc_end1:
	.size	__ockl_fprintf_append_string_n, .Lfunc_end1-__ockl_fprintf_append_string_n
                                        ; -- End function
	.section	.AMDGPU.csdata,"",@progbits
; Function info:
; codeLenInByte = 4372
; NumSgprs: 36
; NumVgprs: 38
; NumAgprs: 0
; TotalNumVgprs: 38
; ScratchSize: 0
; MemoryBound: 0
	.text
	.p2align	2                               ; -- Begin function __assert_fail
	.type	__assert_fail,@function
__assert_fail:                          ; @__assert_fail
; %bb.0:
	s_waitcnt vmcnt(0) expcnt(0) lgkmcnt(0)
	s_mov_b32 s25, s33
	s_mov_b32 s33, s32
	s_or_saveexec_b64 s[4:5], -1
	buffer_store_dword v40, off, s[0:3], s33 offset:48 ; 4-byte Folded Spill
	s_mov_b64 exec, s[4:5]
	v_writelane_b32 v40, s30, 0
	s_addk_i32 s32, 0x1000
	v_writelane_b32 v40, s31, 1
	s_getpc_b64 s[4:5]
	s_add_u32 s4, s4, __const.__assert_fail.fmt@rel32@lo+4
	s_addc_u32 s5, s5, __const.__assert_fail.fmt@rel32@hi+12
	s_load_dwordx4 s[4:7], s[4:5], 0x0
	v_mov_b32_e32 v35, v6
	v_mov_b32_e32 v6, v0
	v_mov_b32_e32 v0, 0xa2e
	buffer_store_short v0, off, s[0:3], s33 offset:44
	v_mov_b32_e32 v0, 0x64656c69
	buffer_store_dword v0, off, s[0:3], s33 offset:40
	v_mov_b32_e32 v0, 0x61662027
	s_getpc_b64 s[10:11]
	s_add_u32 s10, s10, __const.__assert_fail.fmt@rel32@lo+20
	s_addc_u32 s11, s11, __const.__assert_fail.fmt@rel32@hi+28
	buffer_store_dword v0, off, s[0:3], s33 offset:36
	v_mov_b32_e32 v0, 0x73256020
	s_load_dwordx4 s[12:15], s[10:11], 0x0
	buffer_store_dword v0, off, s[0:3], s33 offset:32
	s_waitcnt lgkmcnt(0)
	v_mov_b32_e32 v0, s7
	buffer_store_dword v0, off, s[0:3], s33 offset:12
	v_mov_b32_e32 v0, s6
	buffer_store_dword v0, off, s[0:3], s33 offset:8
	v_mov_b32_e32 v0, s5
	buffer_store_dword v0, off, s[0:3], s33 offset:4
	v_mov_b32_e32 v0, s4
	buffer_store_dword v0, off, s[0:3], s33
	v_mov_b32_e32 v0, s15
	buffer_store_dword v0, off, s[0:3], s33 offset:28
	v_mov_b32_e32 v0, s14
	buffer_store_dword v0, off, s[0:3], s33 offset:24
	;; [unrolled: 2-line block ×3, first 2 shown]
	v_mov_b32_e32 v0, s12
	s_load_dwordx2 s[10:11], s[8:9], 0x50
	buffer_store_dword v0, off, s[0:3], s33 offset:16
	v_mbcnt_lo_u32_b32 v0, -1, 0
	v_mbcnt_hi_u32_b32 v53, -1, v0
	v_readfirstlane_b32 s4, v53
	v_mov_b32_e32 v34, v5
	v_mov_b32_e32 v7, v1
	;; [unrolled: 1-line block ×3, first 2 shown]
	v_cmp_eq_u32_e64 s[4:5], s4, v53
	v_pk_mov_b32 v[0:1], 0, 0
	buffer_store_byte v5, off, s[0:3], s33 offset:46
	s_and_saveexec_b64 s[6:7], s[4:5]
	s_cbranch_execz .LBB2_6
; %bb.1:
	s_waitcnt lgkmcnt(0)
	global_load_dwordx2 v[10:11], v5, s[10:11] offset:24 glc
	s_waitcnt vmcnt(0)
	buffer_invl2
	buffer_wbinvl1_vol
	global_load_dwordx2 v[0:1], v5, s[10:11] offset:40
	global_load_dwordx2 v[8:9], v5, s[10:11]
	s_waitcnt vmcnt(1)
	v_and_b32_e32 v0, v0, v10
	v_and_b32_e32 v1, v1, v11
	v_mul_lo_u32 v1, v1, 24
	v_mul_hi_u32 v12, v0, 24
	v_mul_lo_u32 v0, v0, 24
	v_add_u32_e32 v1, v12, v1
	s_waitcnt vmcnt(0)
	v_add_co_u32_e32 v0, vcc, v8, v0
	v_addc_co_u32_e32 v1, vcc, v9, v1, vcc
	global_load_dwordx2 v[8:9], v[0:1], off glc
	s_waitcnt vmcnt(0)
	global_atomic_cmpswap_x2 v[0:1], v5, v[8:11], s[10:11] offset:24 glc
	s_waitcnt vmcnt(0)
	buffer_invl2
	buffer_wbinvl1_vol
	v_cmp_ne_u64_e32 vcc, v[0:1], v[10:11]
	s_and_saveexec_b64 s[12:13], vcc
	s_cbranch_execz .LBB2_5
; %bb.2:
	s_mov_b64 s[14:15], 0
.LBB2_3:                                ; =>This Inner Loop Header: Depth=1
	s_sleep 1
	global_load_dwordx2 v[8:9], v5, s[10:11] offset:40
	global_load_dwordx2 v[12:13], v5, s[10:11]
	v_pk_mov_b32 v[10:11], v[0:1], v[0:1] op_sel:[0,1]
	s_waitcnt vmcnt(1)
	v_and_b32_e32 v0, v8, v10
	s_waitcnt vmcnt(0)
	v_mad_u64_u32 v[0:1], s[16:17], v0, 24, v[12:13]
	v_and_b32_e32 v9, v9, v11
	v_mov_b32_e32 v8, v1
	v_mad_u64_u32 v[8:9], s[16:17], v9, 24, v[8:9]
	v_mov_b32_e32 v1, v8
	global_load_dwordx2 v[8:9], v[0:1], off glc
	s_waitcnt vmcnt(0)
	global_atomic_cmpswap_x2 v[0:1], v5, v[8:11], s[10:11] offset:24 glc
	s_waitcnt vmcnt(0)
	buffer_invl2
	buffer_wbinvl1_vol
	v_cmp_eq_u64_e32 vcc, v[0:1], v[10:11]
	s_or_b64 s[14:15], vcc, s[14:15]
	s_andn2_b64 exec, exec, s[14:15]
	s_cbranch_execnz .LBB2_3
; %bb.4:
	s_or_b64 exec, exec, s[14:15]
.LBB2_5:
	s_or_b64 exec, exec, s[12:13]
.LBB2_6:
	s_or_b64 exec, exec, s[6:7]
	s_waitcnt lgkmcnt(0)
	global_load_dwordx2 v[12:13], v5, s[10:11] offset:40
	global_load_dwordx4 v[8:11], v5, s[10:11]
	v_readfirstlane_b32 s6, v0
	v_readfirstlane_b32 s7, v1
	s_mov_b64 s[12:13], exec
	s_waitcnt vmcnt(1)
	v_readfirstlane_b32 s14, v12
	v_readfirstlane_b32 s15, v13
	s_and_b64 s[14:15], s[6:7], s[14:15]
	s_mul_i32 s16, s15, 24
	s_mul_hi_u32 s17, s14, 24
	s_mul_i32 s18, s14, 24
	s_add_i32 s16, s17, s16
	v_mov_b32_e32 v1, s16
	s_waitcnt vmcnt(0)
	v_add_co_u32_e32 v0, vcc, s18, v8
	v_addc_co_u32_e32 v1, vcc, v9, v1, vcc
	s_and_saveexec_b64 s[16:17], s[4:5]
	s_cbranch_execz .LBB2_8
; %bb.7:
	v_pk_mov_b32 v[12:13], s[12:13], s[12:13] op_sel:[0,1]
	v_mov_b32_e32 v14, 2
	v_mov_b32_e32 v15, 1
	global_store_dwordx4 v[0:1], v[12:15], off offset:8
.LBB2_8:
	s_or_b64 exec, exec, s[16:17]
	s_lshl_b64 s[12:13], s[14:15], 12
	v_mov_b32_e32 v5, s13
	v_add_co_u32_e32 v14, vcc, s12, v10
	v_addc_co_u32_e32 v5, vcc, v11, v5, vcc
	s_mov_b32 s12, 0
	v_mov_b32_e32 v11, 0
	v_lshlrev_b32_e32 v52, 6, v53
	v_mov_b32_e32 v10, 33
	v_mov_b32_e32 v12, 1
	;; [unrolled: 1-line block ×3, first 2 shown]
	v_readfirstlane_b32 s16, v14
	v_readfirstlane_b32 s17, v5
	s_mov_b32 s13, s12
	v_add_co_u32_e32 v16, vcc, v14, v52
	s_mov_b32 s14, s12
	s_mov_b32 s15, s12
	s_nop 0
	global_store_dwordx4 v52, v[10:13], s[16:17]
	v_addc_co_u32_e32 v17, vcc, 0, v5, vcc
	v_pk_mov_b32 v[12:13], s[12:13], s[12:13] op_sel:[0,1]
	v_pk_mov_b32 v[14:15], s[14:15], s[14:15] op_sel:[0,1]
	global_store_dwordx4 v52, v[12:15], s[16:17] offset:16
	global_store_dwordx4 v52, v[12:15], s[16:17] offset:32
	;; [unrolled: 1-line block ×3, first 2 shown]
	s_and_saveexec_b64 s[12:13], s[4:5]
	s_cbranch_execz .LBB2_16
; %bb.9:
	global_load_dwordx2 v[20:21], v11, s[10:11] offset:32 glc
	global_load_dwordx2 v[12:13], v11, s[10:11] offset:40
	v_mov_b32_e32 v18, s6
	v_mov_b32_e32 v19, s7
	s_waitcnt vmcnt(0)
	v_and_b32_e32 v5, s6, v12
	v_and_b32_e32 v10, s7, v13
	v_mul_lo_u32 v10, v10, 24
	v_mul_hi_u32 v12, v5, 24
	v_mul_lo_u32 v5, v5, 24
	v_add_u32_e32 v10, v12, v10
	v_add_co_u32_e32 v8, vcc, v8, v5
	v_addc_co_u32_e32 v9, vcc, v9, v10, vcc
	global_store_dwordx2 v[8:9], v[20:21], off
	buffer_wbl2
	s_waitcnt vmcnt(0)
	global_atomic_cmpswap_x2 v[14:15], v11, v[18:21], s[10:11] offset:32 glc
	s_waitcnt vmcnt(0)
	v_cmp_ne_u64_e32 vcc, v[14:15], v[20:21]
	s_and_saveexec_b64 s[14:15], vcc
	s_cbranch_execz .LBB2_12
; %bb.10:
	s_mov_b64 s[16:17], 0
.LBB2_11:                               ; =>This Inner Loop Header: Depth=1
	s_sleep 1
	global_store_dwordx2 v[8:9], v[14:15], off
	v_mov_b32_e32 v12, s6
	v_mov_b32_e32 v13, s7
	buffer_wbl2
	s_waitcnt vmcnt(0)
	global_atomic_cmpswap_x2 v[12:13], v11, v[12:15], s[10:11] offset:32 glc
	s_waitcnt vmcnt(0)
	v_cmp_eq_u64_e32 vcc, v[12:13], v[14:15]
	s_or_b64 s[16:17], vcc, s[16:17]
	v_pk_mov_b32 v[14:15], v[12:13], v[12:13] op_sel:[0,1]
	s_andn2_b64 exec, exec, s[16:17]
	s_cbranch_execnz .LBB2_11
.LBB2_12:
	s_or_b64 exec, exec, s[14:15]
	v_mov_b32_e32 v11, 0
	global_load_dwordx2 v[8:9], v11, s[10:11] offset:16
	s_mov_b64 s[14:15], exec
	v_mbcnt_lo_u32_b32 v5, s14, 0
	v_mbcnt_hi_u32_b32 v5, s15, v5
	v_cmp_eq_u32_e32 vcc, 0, v5
	s_and_saveexec_b64 s[16:17], vcc
	s_cbranch_execz .LBB2_14
; %bb.13:
	s_bcnt1_i32_b64 s14, s[14:15]
	v_mov_b32_e32 v10, s14
	buffer_wbl2
	s_waitcnt vmcnt(0)
	global_atomic_add_x2 v[8:9], v[10:11], off offset:8
.LBB2_14:
	s_or_b64 exec, exec, s[16:17]
	s_waitcnt vmcnt(0)
	global_load_dwordx2 v[10:11], v[8:9], off offset:16
	s_waitcnt vmcnt(0)
	v_cmp_eq_u64_e32 vcc, 0, v[10:11]
	s_cbranch_vccnz .LBB2_16
; %bb.15:
	global_load_dword v8, v[8:9], off offset:24
	v_mov_b32_e32 v9, 0
	s_waitcnt vmcnt(0)
	v_and_b32_e32 v5, 0xffffff, v8
	v_readfirstlane_b32 m0, v5
	buffer_wbl2
	global_store_dwordx2 v[10:11], v[8:9], off
	s_sendmsg sendmsg(MSG_INTERRUPT)
.LBB2_16:
	s_or_b64 exec, exec, s[12:13]
	s_branch .LBB2_20
.LBB2_17:                               ;   in Loop: Header=BB2_20 Depth=1
	s_or_b64 exec, exec, s[12:13]
	v_readfirstlane_b32 s12, v5
	s_cmp_eq_u32 s12, 0
	s_cbranch_scc1 .LBB2_19
; %bb.18:                               ;   in Loop: Header=BB2_20 Depth=1
	s_sleep 1
	s_cbranch_execnz .LBB2_20
	s_branch .LBB2_22
.LBB2_19:
	s_branch .LBB2_22
.LBB2_20:                               ; =>This Inner Loop Header: Depth=1
	v_mov_b32_e32 v5, 1
	s_and_saveexec_b64 s[12:13], s[4:5]
	s_cbranch_execz .LBB2_17
; %bb.21:                               ;   in Loop: Header=BB2_20 Depth=1
	global_load_dword v5, v[0:1], off offset:20 glc
	s_waitcnt vmcnt(0)
	buffer_invl2
	buffer_wbinvl1_vol
	v_and_b32_e32 v5, 1, v5
	s_branch .LBB2_17
.LBB2_22:
	global_load_dwordx2 v[12:13], v[16:17], off
	s_and_saveexec_b64 s[12:13], s[4:5]
	s_cbranch_execz .LBB2_25
; %bb.23:
	v_mov_b32_e32 v5, 0
	global_load_dwordx2 v[0:1], v5, s[10:11] offset:40
	global_load_dwordx2 v[14:15], v5, s[10:11] offset:24 glc
	global_load_dwordx2 v[16:17], v5, s[10:11]
	v_mov_b32_e32 v9, s7
	s_mov_b64 s[4:5], 0
	s_waitcnt vmcnt(2)
	v_add_co_u32_e32 v11, vcc, 1, v0
	v_addc_co_u32_e32 v18, vcc, 0, v1, vcc
	v_add_co_u32_e32 v8, vcc, s6, v11
	v_addc_co_u32_e32 v9, vcc, v18, v9, vcc
	v_cmp_eq_u64_e32 vcc, 0, v[8:9]
	v_cndmask_b32_e32 v9, v9, v18, vcc
	v_cndmask_b32_e32 v8, v8, v11, vcc
	v_and_b32_e32 v1, v9, v1
	v_and_b32_e32 v0, v8, v0
	v_mul_lo_u32 v1, v1, 24
	v_mul_hi_u32 v11, v0, 24
	v_mul_lo_u32 v0, v0, 24
	v_add_u32_e32 v1, v11, v1
	s_waitcnt vmcnt(0)
	v_add_co_u32_e32 v0, vcc, v16, v0
	v_addc_co_u32_e32 v1, vcc, v17, v1, vcc
	v_mov_b32_e32 v10, v14
	global_store_dwordx2 v[0:1], v[14:15], off
	v_mov_b32_e32 v11, v15
	buffer_wbl2
	s_waitcnt vmcnt(0)
	global_atomic_cmpswap_x2 v[10:11], v5, v[8:11], s[10:11] offset:24 glc
	s_waitcnt vmcnt(0)
	v_cmp_ne_u64_e32 vcc, v[10:11], v[14:15]
	s_and_b64 exec, exec, vcc
	s_cbranch_execz .LBB2_25
.LBB2_24:                               ; =>This Inner Loop Header: Depth=1
	s_sleep 1
	global_store_dwordx2 v[0:1], v[10:11], off
	buffer_wbl2
	s_waitcnt vmcnt(0)
	global_atomic_cmpswap_x2 v[14:15], v5, v[8:11], s[10:11] offset:24 glc
	s_waitcnt vmcnt(0)
	v_cmp_eq_u64_e32 vcc, v[14:15], v[10:11]
	s_or_b64 s[4:5], vcc, s[4:5]
	v_pk_mov_b32 v[10:11], v[14:15], v[14:15] op_sel:[0,1]
	s_andn2_b64 exec, exec, s[4:5]
	s_cbranch_execnz .LBB2_24
.LBB2_25:
	s_or_b64 exec, exec, s[12:13]
	v_lshrrev_b32_e64 v1, 6, s33
	s_mov_b64 s[4:5], 0
.LBB2_26:                               ; =>This Inner Loop Header: Depth=1
	buffer_load_ubyte v5, v1, s[0:3], 0 offen
	v_add_u32_e32 v0, 1, v1
	v_mov_b32_e32 v1, v0
	s_waitcnt vmcnt(0)
	v_cmp_eq_u16_e32 vcc, 0, v5
	s_or_b64 s[4:5], vcc, s[4:5]
	s_andn2_b64 exec, exec, s[4:5]
	s_cbranch_execnz .LBB2_26
; %bb.27:
	s_or_b64 exec, exec, s[4:5]
	v_lshrrev_b32_e64 v37, 6, s33
	v_cmp_ne_u32_e32 vcc, -1, v37
	s_cbranch_vccz .LBB2_112
; %bb.28:
	v_lshrrev_b32_e64 v1, 6, s33
	v_subrev_u32_e32 v0, v1, v0
	v_ashrrev_i32_e32 v1, 31, v0
	v_and_b32_e32 v36, 2, v12
	v_mov_b32_e32 v39, 0
	v_and_b32_e32 v8, -3, v12
	v_mov_b32_e32 v9, v13
	s_mov_b64 s[12:13], 0
	s_mov_b32 s20, 0
	s_movk_i32 s21, 0xff1f
	v_mov_b32_e32 v16, 2
	v_mov_b32_e32 v17, 1
	s_branch .LBB2_30
.LBB2_29:                               ;   in Loop: Header=BB2_30 Depth=1
	s_or_b64 exec, exec, s[6:7]
	v_sub_co_u32_e32 v0, vcc, v0, v50
	v_subb_co_u32_e32 v1, vcc, v1, v15, vcc
	v_cmp_eq_u64_e32 vcc, 0, v[0:1]
	s_or_b64 s[12:13], vcc, s[12:13]
	v_add_u32_e32 v37, v37, v50
	s_andn2_b64 exec, exec, s[12:13]
	s_cbranch_execz .LBB2_113
.LBB2_30:                               ; =>This Loop Header: Depth=1
                                        ;     Child Loop BB2_33 Depth 2
                                        ;     Child Loop BB2_41 Depth 2
	;; [unrolled: 1-line block ×11, first 2 shown]
	v_cmp_gt_u64_e32 vcc, 56, v[0:1]
	v_cndmask_b32_e32 v50, 56, v0, vcc
	v_cmp_gt_u64_e64 s[4:5], 8, v[0:1]
                                        ; implicit-def: $vgpr10_vgpr11
                                        ; implicit-def: $sgpr14
	s_and_saveexec_b64 s[6:7], s[4:5]
	s_xor_b64 s[6:7], exec, s[6:7]
	s_cbranch_execz .LBB2_36
; %bb.31:                               ;   in Loop: Header=BB2_30 Depth=1
	s_mov_b64 s[16:17], 0
	v_cmp_ne_u64_e64 s[4:5], 0, v[0:1]
	s_waitcnt vmcnt(0)
	v_pk_mov_b32 v[10:11], 0, 0
	s_and_saveexec_b64 s[14:15], s[4:5]
	s_cbranch_execz .LBB2_35
; %bb.32:                               ;   in Loop: Header=BB2_30 Depth=1
	s_mov_b32 s22, 0
	v_pk_mov_b32 v[10:11], 0, 0
	s_mov_b64 s[18:19], 0
.LBB2_33:                               ;   Parent Loop BB2_30 Depth=1
                                        ; =>  This Inner Loop Header: Depth=2
	v_add_u32_e32 v5, s22, v37
	buffer_load_ubyte v5, v5, s[0:3], 0 offen
	v_mov_b32_e32 v15, s20
	s_add_i32 s22, s22, 1
	v_cmp_eq_u32_e64 s[4:5], s22, v50
	s_waitcnt vmcnt(0)
	v_and_b32_e32 v14, 0xffff, v5
	v_lshlrev_b64 v[14:15], s18, v[14:15]
	s_add_u32 s18, s18, 8
	s_addc_u32 s19, s19, 0
	v_or_b32_e32 v11, v15, v11
	s_or_b64 s[16:17], s[4:5], s[16:17]
	v_or_b32_e32 v10, v14, v10
	s_andn2_b64 exec, exec, s[16:17]
	s_cbranch_execnz .LBB2_33
; %bb.34:                               ;   in Loop: Header=BB2_30 Depth=1
	s_or_b64 exec, exec, s[16:17]
.LBB2_35:                               ;   in Loop: Header=BB2_30 Depth=1
	s_or_b64 exec, exec, s[14:15]
	s_mov_b32 s14, 0
.LBB2_36:                               ;   in Loop: Header=BB2_30 Depth=1
	s_or_saveexec_b64 s[4:5], s[6:7]
	v_mov_b32_e32 v14, s14
	v_mov_b32_e32 v5, v37
	s_xor_b64 exec, exec, s[4:5]
	s_cbranch_execz .LBB2_38
; %bb.37:                               ;   in Loop: Header=BB2_30 Depth=1
	buffer_load_dword v5, v37, s[0:3], 0 offen offset:4
	buffer_load_dword v10, v37, s[0:3], 0 offen
	v_add_u32_e32 v14, -8, v50
	s_waitcnt vmcnt(1)
	v_and_b32_e32 v11, 0xff, v5
	v_and_b32_e32 v15, 0xff00, v5
	s_waitcnt vmcnt(0)
	v_or3_b32 v10, v10, 0, 0
	v_and_b32_e32 v18, 0xff0000, v5
	v_and_b32_e32 v5, 0xff000000, v5
	v_or3_b32 v11, 0, v11, v15
	v_or3_b32 v10, v10, 0, 0
	;; [unrolled: 1-line block ×3, first 2 shown]
	v_add_u32_e32 v5, 8, v37
.LBB2_38:                               ;   in Loop: Header=BB2_30 Depth=1
	s_or_b64 exec, exec, s[4:5]
	v_cmp_gt_u32_e64 s[4:5], 8, v14
                                        ; implicit-def: $vgpr18_vgpr19
                                        ; implicit-def: $sgpr14
	s_and_saveexec_b64 s[6:7], s[4:5]
	s_xor_b64 s[6:7], exec, s[6:7]
	s_cbranch_execz .LBB2_44
; %bb.39:                               ;   in Loop: Header=BB2_30 Depth=1
	v_cmp_ne_u32_e64 s[4:5], 0, v14
	v_pk_mov_b32 v[18:19], 0, 0
	s_and_saveexec_b64 s[14:15], s[4:5]
	s_cbranch_execz .LBB2_43
; %bb.40:                               ;   in Loop: Header=BB2_30 Depth=1
	s_mov_b32 s22, 0
	s_mov_b64 s[16:17], 0
	v_pk_mov_b32 v[18:19], 0, 0
	s_mov_b64 s[18:19], 0
.LBB2_41:                               ;   Parent Loop BB2_30 Depth=1
                                        ; =>  This Inner Loop Header: Depth=2
	v_add_u32_e32 v15, s22, v5
	buffer_load_ubyte v15, v15, s[0:3], 0 offen
	v_mov_b32_e32 v21, s20
	s_add_i32 s22, s22, 1
	v_cmp_eq_u32_e64 s[4:5], s22, v14
	s_waitcnt vmcnt(0)
	v_and_b32_e32 v20, 0xffff, v15
	v_lshlrev_b64 v[20:21], s18, v[20:21]
	s_add_u32 s18, s18, 8
	s_addc_u32 s19, s19, 0
	v_or_b32_e32 v19, v21, v19
	s_or_b64 s[16:17], s[4:5], s[16:17]
	v_or_b32_e32 v18, v20, v18
	s_andn2_b64 exec, exec, s[16:17]
	s_cbranch_execnz .LBB2_41
; %bb.42:                               ;   in Loop: Header=BB2_30 Depth=1
	s_or_b64 exec, exec, s[16:17]
.LBB2_43:                               ;   in Loop: Header=BB2_30 Depth=1
	s_or_b64 exec, exec, s[14:15]
	s_mov_b32 s14, 0
                                        ; implicit-def: $vgpr14
.LBB2_44:                               ;   in Loop: Header=BB2_30 Depth=1
	s_or_saveexec_b64 s[4:5], s[6:7]
	v_mov_b32_e32 v15, s14
	s_xor_b64 exec, exec, s[4:5]
	s_cbranch_execz .LBB2_46
; %bb.45:                               ;   in Loop: Header=BB2_30 Depth=1
	buffer_load_dword v18, v5, s[0:3], 0 offen offset:4
	buffer_load_dword v19, v5, s[0:3], 0 offen
	v_add_u32_e32 v15, -8, v14
	v_add_u32_e32 v5, 8, v5
	s_waitcnt vmcnt(1)
	v_and_b32_e32 v14, 0xff, v18
	v_and_b32_e32 v20, 0xff00, v18
	s_waitcnt vmcnt(0)
	v_or3_b32 v19, v19, 0, 0
	v_and_b32_e32 v21, 0xff0000, v18
	v_and_b32_e32 v22, 0xff000000, v18
	v_or3_b32 v14, 0, v14, v20
	v_or3_b32 v18, v19, 0, 0
	;; [unrolled: 1-line block ×3, first 2 shown]
.LBB2_46:                               ;   in Loop: Header=BB2_30 Depth=1
	s_or_b64 exec, exec, s[4:5]
	v_cmp_gt_u32_e64 s[4:5], 8, v15
                                        ; implicit-def: $sgpr14
	s_and_saveexec_b64 s[6:7], s[4:5]
	s_xor_b64 s[6:7], exec, s[6:7]
	s_cbranch_execz .LBB2_52
; %bb.47:                               ;   in Loop: Header=BB2_30 Depth=1
	v_cmp_ne_u32_e64 s[4:5], 0, v15
	v_pk_mov_b32 v[20:21], 0, 0
	s_and_saveexec_b64 s[14:15], s[4:5]
	s_cbranch_execz .LBB2_51
; %bb.48:                               ;   in Loop: Header=BB2_30 Depth=1
	s_mov_b32 s22, 0
	s_mov_b64 s[16:17], 0
	v_pk_mov_b32 v[20:21], 0, 0
	s_mov_b64 s[18:19], 0
.LBB2_49:                               ;   Parent Loop BB2_30 Depth=1
                                        ; =>  This Inner Loop Header: Depth=2
	v_add_u32_e32 v14, s22, v5
	buffer_load_ubyte v14, v14, s[0:3], 0 offen
	v_mov_b32_e32 v23, s20
	s_add_i32 s22, s22, 1
	v_cmp_eq_u32_e64 s[4:5], s22, v15
	s_waitcnt vmcnt(0)
	v_and_b32_e32 v22, 0xffff, v14
	v_lshlrev_b64 v[22:23], s18, v[22:23]
	s_add_u32 s18, s18, 8
	s_addc_u32 s19, s19, 0
	v_or_b32_e32 v21, v23, v21
	s_or_b64 s[16:17], s[4:5], s[16:17]
	v_or_b32_e32 v20, v22, v20
	s_andn2_b64 exec, exec, s[16:17]
	s_cbranch_execnz .LBB2_49
; %bb.50:                               ;   in Loop: Header=BB2_30 Depth=1
	s_or_b64 exec, exec, s[16:17]
.LBB2_51:                               ;   in Loop: Header=BB2_30 Depth=1
	s_or_b64 exec, exec, s[14:15]
	s_mov_b32 s14, 0
                                        ; implicit-def: $vgpr15
.LBB2_52:                               ;   in Loop: Header=BB2_30 Depth=1
	s_or_saveexec_b64 s[4:5], s[6:7]
	v_mov_b32_e32 v14, s14
	s_xor_b64 exec, exec, s[4:5]
	s_cbranch_execz .LBB2_54
; %bb.53:                               ;   in Loop: Header=BB2_30 Depth=1
	buffer_load_dword v20, v5, s[0:3], 0 offen offset:4
	buffer_load_dword v21, v5, s[0:3], 0 offen
	v_add_u32_e32 v14, -8, v15
	v_add_u32_e32 v5, 8, v5
	s_waitcnt vmcnt(1)
	v_and_b32_e32 v15, 0xff, v20
	v_and_b32_e32 v22, 0xff00, v20
	s_waitcnt vmcnt(0)
	v_or3_b32 v21, v21, 0, 0
	v_and_b32_e32 v23, 0xff0000, v20
	v_and_b32_e32 v24, 0xff000000, v20
	v_or3_b32 v15, 0, v15, v22
	v_or3_b32 v20, v21, 0, 0
	;; [unrolled: 1-line block ×3, first 2 shown]
.LBB2_54:                               ;   in Loop: Header=BB2_30 Depth=1
	s_or_b64 exec, exec, s[4:5]
	v_cmp_gt_u32_e64 s[4:5], 8, v14
                                        ; implicit-def: $vgpr22_vgpr23
                                        ; implicit-def: $sgpr14
	s_and_saveexec_b64 s[6:7], s[4:5]
	s_xor_b64 s[6:7], exec, s[6:7]
	s_cbranch_execz .LBB2_60
; %bb.55:                               ;   in Loop: Header=BB2_30 Depth=1
	v_cmp_ne_u32_e64 s[4:5], 0, v14
	v_pk_mov_b32 v[22:23], 0, 0
	s_and_saveexec_b64 s[14:15], s[4:5]
	s_cbranch_execz .LBB2_59
; %bb.56:                               ;   in Loop: Header=BB2_30 Depth=1
	s_mov_b32 s22, 0
	s_mov_b64 s[16:17], 0
	v_pk_mov_b32 v[22:23], 0, 0
	s_mov_b64 s[18:19], 0
.LBB2_57:                               ;   Parent Loop BB2_30 Depth=1
                                        ; =>  This Inner Loop Header: Depth=2
	v_add_u32_e32 v15, s22, v5
	buffer_load_ubyte v15, v15, s[0:3], 0 offen
	v_mov_b32_e32 v25, s20
	s_add_i32 s22, s22, 1
	v_cmp_eq_u32_e64 s[4:5], s22, v14
	s_waitcnt vmcnt(0)
	v_and_b32_e32 v24, 0xffff, v15
	v_lshlrev_b64 v[24:25], s18, v[24:25]
	s_add_u32 s18, s18, 8
	s_addc_u32 s19, s19, 0
	v_or_b32_e32 v23, v25, v23
	s_or_b64 s[16:17], s[4:5], s[16:17]
	v_or_b32_e32 v22, v24, v22
	s_andn2_b64 exec, exec, s[16:17]
	s_cbranch_execnz .LBB2_57
; %bb.58:                               ;   in Loop: Header=BB2_30 Depth=1
	s_or_b64 exec, exec, s[16:17]
.LBB2_59:                               ;   in Loop: Header=BB2_30 Depth=1
	s_or_b64 exec, exec, s[14:15]
	s_mov_b32 s14, 0
                                        ; implicit-def: $vgpr14
.LBB2_60:                               ;   in Loop: Header=BB2_30 Depth=1
	s_or_saveexec_b64 s[4:5], s[6:7]
	v_mov_b32_e32 v15, s14
	s_xor_b64 exec, exec, s[4:5]
	s_cbranch_execz .LBB2_62
; %bb.61:                               ;   in Loop: Header=BB2_30 Depth=1
	buffer_load_dword v22, v5, s[0:3], 0 offen offset:4
	buffer_load_dword v23, v5, s[0:3], 0 offen
	v_add_u32_e32 v15, -8, v14
	v_add_u32_e32 v5, 8, v5
	s_waitcnt vmcnt(1)
	v_and_b32_e32 v14, 0xff, v22
	v_and_b32_e32 v24, 0xff00, v22
	s_waitcnt vmcnt(0)
	v_or3_b32 v23, v23, 0, 0
	v_and_b32_e32 v25, 0xff0000, v22
	v_and_b32_e32 v26, 0xff000000, v22
	v_or3_b32 v14, 0, v14, v24
	v_or3_b32 v22, v23, 0, 0
	;; [unrolled: 1-line block ×3, first 2 shown]
.LBB2_62:                               ;   in Loop: Header=BB2_30 Depth=1
	s_or_b64 exec, exec, s[4:5]
	v_cmp_gt_u32_e64 s[4:5], 8, v15
                                        ; implicit-def: $sgpr14
	s_and_saveexec_b64 s[6:7], s[4:5]
	s_xor_b64 s[6:7], exec, s[6:7]
	s_cbranch_execz .LBB2_68
; %bb.63:                               ;   in Loop: Header=BB2_30 Depth=1
	v_cmp_ne_u32_e64 s[4:5], 0, v15
	v_pk_mov_b32 v[24:25], 0, 0
	s_and_saveexec_b64 s[14:15], s[4:5]
	s_cbranch_execz .LBB2_67
; %bb.64:                               ;   in Loop: Header=BB2_30 Depth=1
	s_mov_b32 s22, 0
	s_mov_b64 s[16:17], 0
	v_pk_mov_b32 v[24:25], 0, 0
	s_mov_b64 s[18:19], 0
.LBB2_65:                               ;   Parent Loop BB2_30 Depth=1
                                        ; =>  This Inner Loop Header: Depth=2
	v_add_u32_e32 v14, s22, v5
	buffer_load_ubyte v14, v14, s[0:3], 0 offen
	v_mov_b32_e32 v27, s20
	s_add_i32 s22, s22, 1
	v_cmp_eq_u32_e64 s[4:5], s22, v15
	s_waitcnt vmcnt(0)
	v_and_b32_e32 v26, 0xffff, v14
	v_lshlrev_b64 v[26:27], s18, v[26:27]
	s_add_u32 s18, s18, 8
	s_addc_u32 s19, s19, 0
	v_or_b32_e32 v25, v27, v25
	s_or_b64 s[16:17], s[4:5], s[16:17]
	v_or_b32_e32 v24, v26, v24
	s_andn2_b64 exec, exec, s[16:17]
	s_cbranch_execnz .LBB2_65
; %bb.66:                               ;   in Loop: Header=BB2_30 Depth=1
	s_or_b64 exec, exec, s[16:17]
.LBB2_67:                               ;   in Loop: Header=BB2_30 Depth=1
	s_or_b64 exec, exec, s[14:15]
	s_mov_b32 s14, 0
                                        ; implicit-def: $vgpr15
.LBB2_68:                               ;   in Loop: Header=BB2_30 Depth=1
	s_or_saveexec_b64 s[4:5], s[6:7]
	v_mov_b32_e32 v14, s14
	s_xor_b64 exec, exec, s[4:5]
	s_cbranch_execz .LBB2_70
; %bb.69:                               ;   in Loop: Header=BB2_30 Depth=1
	buffer_load_dword v24, v5, s[0:3], 0 offen offset:4
	buffer_load_dword v25, v5, s[0:3], 0 offen
	v_add_u32_e32 v14, -8, v15
	v_add_u32_e32 v5, 8, v5
	s_waitcnt vmcnt(1)
	v_and_b32_e32 v15, 0xff, v24
	v_and_b32_e32 v26, 0xff00, v24
	s_waitcnt vmcnt(0)
	v_or3_b32 v25, v25, 0, 0
	v_and_b32_e32 v27, 0xff0000, v24
	v_and_b32_e32 v28, 0xff000000, v24
	v_or3_b32 v15, 0, v15, v26
	v_or3_b32 v24, v25, 0, 0
	;; [unrolled: 1-line block ×3, first 2 shown]
.LBB2_70:                               ;   in Loop: Header=BB2_30 Depth=1
	s_or_b64 exec, exec, s[4:5]
	v_cmp_gt_u32_e64 s[4:5], 8, v14
                                        ; implicit-def: $vgpr26_vgpr27
                                        ; implicit-def: $sgpr14
	s_and_saveexec_b64 s[6:7], s[4:5]
	s_xor_b64 s[6:7], exec, s[6:7]
	s_cbranch_execz .LBB2_76
; %bb.71:                               ;   in Loop: Header=BB2_30 Depth=1
	v_cmp_ne_u32_e64 s[4:5], 0, v14
	v_pk_mov_b32 v[26:27], 0, 0
	s_and_saveexec_b64 s[14:15], s[4:5]
	s_cbranch_execz .LBB2_75
; %bb.72:                               ;   in Loop: Header=BB2_30 Depth=1
	s_mov_b32 s22, 0
	s_mov_b64 s[16:17], 0
	v_pk_mov_b32 v[26:27], 0, 0
	s_mov_b64 s[18:19], 0
.LBB2_73:                               ;   Parent Loop BB2_30 Depth=1
                                        ; =>  This Inner Loop Header: Depth=2
	v_add_u32_e32 v15, s22, v5
	buffer_load_ubyte v15, v15, s[0:3], 0 offen
	v_mov_b32_e32 v29, s20
	s_add_i32 s22, s22, 1
	v_cmp_eq_u32_e64 s[4:5], s22, v14
	s_waitcnt vmcnt(0)
	v_and_b32_e32 v28, 0xffff, v15
	v_lshlrev_b64 v[28:29], s18, v[28:29]
	s_add_u32 s18, s18, 8
	s_addc_u32 s19, s19, 0
	v_or_b32_e32 v27, v29, v27
	s_or_b64 s[16:17], s[4:5], s[16:17]
	v_or_b32_e32 v26, v28, v26
	s_andn2_b64 exec, exec, s[16:17]
	s_cbranch_execnz .LBB2_73
; %bb.74:                               ;   in Loop: Header=BB2_30 Depth=1
	s_or_b64 exec, exec, s[16:17]
.LBB2_75:                               ;   in Loop: Header=BB2_30 Depth=1
	s_or_b64 exec, exec, s[14:15]
	s_mov_b32 s14, 0
                                        ; implicit-def: $vgpr14
.LBB2_76:                               ;   in Loop: Header=BB2_30 Depth=1
	s_or_saveexec_b64 s[4:5], s[6:7]
	v_mov_b32_e32 v15, s14
	s_xor_b64 exec, exec, s[4:5]
	s_cbranch_execz .LBB2_78
; %bb.77:                               ;   in Loop: Header=BB2_30 Depth=1
	buffer_load_dword v26, v5, s[0:3], 0 offen offset:4
	buffer_load_dword v27, v5, s[0:3], 0 offen
	v_add_u32_e32 v15, -8, v14
	v_add_u32_e32 v5, 8, v5
	s_waitcnt vmcnt(1)
	v_and_b32_e32 v14, 0xff, v26
	v_and_b32_e32 v28, 0xff00, v26
	s_waitcnt vmcnt(0)
	v_or3_b32 v27, v27, 0, 0
	v_and_b32_e32 v29, 0xff0000, v26
	v_and_b32_e32 v30, 0xff000000, v26
	v_or3_b32 v14, 0, v14, v28
	v_or3_b32 v26, v27, 0, 0
	;; [unrolled: 1-line block ×3, first 2 shown]
.LBB2_78:                               ;   in Loop: Header=BB2_30 Depth=1
	s_or_b64 exec, exec, s[4:5]
	v_cmp_gt_u32_e64 s[4:5], 8, v15
	s_and_saveexec_b64 s[6:7], s[4:5]
	s_xor_b64 s[6:7], exec, s[6:7]
	s_cbranch_execz .LBB2_84
; %bb.79:                               ;   in Loop: Header=BB2_30 Depth=1
	v_cmp_ne_u32_e64 s[4:5], 0, v15
	v_pk_mov_b32 v[28:29], 0, 0
	s_and_saveexec_b64 s[14:15], s[4:5]
	s_cbranch_execz .LBB2_83
; %bb.80:                               ;   in Loop: Header=BB2_30 Depth=1
	s_mov_b64 s[16:17], 0
	v_pk_mov_b32 v[28:29], 0, 0
	s_mov_b64 s[18:19], 0
.LBB2_81:                               ;   Parent Loop BB2_30 Depth=1
                                        ; =>  This Inner Loop Header: Depth=2
	buffer_load_ubyte v14, v5, s[0:3], 0 offen
	v_mov_b32_e32 v31, s20
	v_add_u32_e32 v15, -1, v15
	v_cmp_eq_u32_e64 s[4:5], 0, v15
	v_add_u32_e32 v5, 1, v5
	s_waitcnt vmcnt(0)
	v_and_b32_e32 v30, 0xffff, v14
	v_lshlrev_b64 v[30:31], s18, v[30:31]
	s_add_u32 s18, s18, 8
	s_addc_u32 s19, s19, 0
	v_or_b32_e32 v29, v31, v29
	s_or_b64 s[16:17], s[4:5], s[16:17]
	v_or_b32_e32 v28, v30, v28
	s_andn2_b64 exec, exec, s[16:17]
	s_cbranch_execnz .LBB2_81
; %bb.82:                               ;   in Loop: Header=BB2_30 Depth=1
	s_or_b64 exec, exec, s[16:17]
.LBB2_83:                               ;   in Loop: Header=BB2_30 Depth=1
	s_or_b64 exec, exec, s[14:15]
                                        ; implicit-def: $vgpr5
.LBB2_84:                               ;   in Loop: Header=BB2_30 Depth=1
	s_andn2_saveexec_b64 s[4:5], s[6:7]
	s_cbranch_execz .LBB2_86
; %bb.85:                               ;   in Loop: Header=BB2_30 Depth=1
	buffer_load_dword v14, v5, s[0:3], 0 offen offset:4
	s_nop 0
	buffer_load_dword v5, v5, s[0:3], 0 offen
	s_waitcnt vmcnt(1)
	v_and_b32_e32 v15, 0xff, v14
	v_and_b32_e32 v28, 0xff00, v14
	s_waitcnt vmcnt(0)
	v_or3_b32 v5, v5, 0, 0
	v_and_b32_e32 v29, 0xff0000, v14
	v_and_b32_e32 v14, 0xff000000, v14
	v_or3_b32 v15, 0, v15, v28
	v_or3_b32 v29, v15, v29, v14
	;; [unrolled: 1-line block ×3, first 2 shown]
.LBB2_86:                               ;   in Loop: Header=BB2_30 Depth=1
	s_or_b64 exec, exec, s[4:5]
	v_readfirstlane_b32 s4, v53
	v_cmp_eq_u32_e64 s[4:5], s4, v53
	v_pk_mov_b32 v[14:15], 0, 0
	s_and_saveexec_b64 s[14:15], s[4:5]
	s_cbranch_execz .LBB2_92
; %bb.87:                               ;   in Loop: Header=BB2_30 Depth=1
	global_load_dwordx2 v[32:33], v39, s[10:11] offset:24 glc
	s_waitcnt vmcnt(0)
	buffer_invl2
	buffer_wbinvl1_vol
	global_load_dwordx2 v[14:15], v39, s[10:11] offset:40
	global_load_dwordx2 v[30:31], v39, s[10:11]
	s_waitcnt vmcnt(1)
	v_and_b32_e32 v5, v14, v32
	v_and_b32_e32 v14, v15, v33
	v_mul_lo_u32 v14, v14, 24
	v_mul_hi_u32 v15, v5, 24
	v_mul_lo_u32 v5, v5, 24
	v_add_u32_e32 v15, v15, v14
	s_waitcnt vmcnt(0)
	v_add_co_u32_e64 v14, s[6:7], v30, v5
	v_addc_co_u32_e64 v15, s[6:7], v31, v15, s[6:7]
	global_load_dwordx2 v[30:31], v[14:15], off glc
	s_waitcnt vmcnt(0)
	global_atomic_cmpswap_x2 v[14:15], v39, v[30:33], s[10:11] offset:24 glc
	s_waitcnt vmcnt(0)
	buffer_invl2
	buffer_wbinvl1_vol
	v_cmp_ne_u64_e64 s[6:7], v[14:15], v[32:33]
	s_and_saveexec_b64 s[16:17], s[6:7]
	s_cbranch_execz .LBB2_91
; %bb.88:                               ;   in Loop: Header=BB2_30 Depth=1
	s_mov_b64 s[18:19], 0
.LBB2_89:                               ;   Parent Loop BB2_30 Depth=1
                                        ; =>  This Inner Loop Header: Depth=2
	s_sleep 1
	global_load_dwordx2 v[30:31], v39, s[10:11] offset:40
	global_load_dwordx2 v[48:49], v39, s[10:11]
	v_pk_mov_b32 v[32:33], v[14:15], v[14:15] op_sel:[0,1]
	s_waitcnt vmcnt(1)
	v_and_b32_e32 v14, v30, v32
	s_waitcnt vmcnt(0)
	v_mad_u64_u32 v[14:15], s[6:7], v14, 24, v[48:49]
	v_and_b32_e32 v5, v31, v33
	v_mov_b32_e32 v30, v15
	v_mad_u64_u32 v[30:31], s[6:7], v5, 24, v[30:31]
	v_mov_b32_e32 v15, v30
	global_load_dwordx2 v[30:31], v[14:15], off glc
	s_waitcnt vmcnt(0)
	global_atomic_cmpswap_x2 v[14:15], v39, v[30:33], s[10:11] offset:24 glc
	s_waitcnt vmcnt(0)
	buffer_invl2
	buffer_wbinvl1_vol
	v_cmp_eq_u64_e64 s[6:7], v[14:15], v[32:33]
	s_or_b64 s[18:19], s[6:7], s[18:19]
	s_andn2_b64 exec, exec, s[18:19]
	s_cbranch_execnz .LBB2_89
; %bb.90:                               ;   in Loop: Header=BB2_30 Depth=1
	s_or_b64 exec, exec, s[18:19]
.LBB2_91:                               ;   in Loop: Header=BB2_30 Depth=1
	s_or_b64 exec, exec, s[16:17]
.LBB2_92:                               ;   in Loop: Header=BB2_30 Depth=1
	s_or_b64 exec, exec, s[14:15]
	global_load_dwordx2 v[48:49], v39, s[10:11] offset:40
	global_load_dwordx4 v[30:33], v39, s[10:11]
	v_readfirstlane_b32 s14, v14
	v_readfirstlane_b32 s15, v15
	s_mov_b64 s[16:17], exec
	s_waitcnt vmcnt(1)
	v_readfirstlane_b32 s6, v48
	v_readfirstlane_b32 s7, v49
	s_and_b64 s[18:19], s[14:15], s[6:7]
	s_mul_i32 s6, s19, 24
	s_mul_hi_u32 s7, s18, 24
	s_mul_i32 s22, s18, 24
	s_add_i32 s6, s7, s6
	v_mov_b32_e32 v5, s6
	s_waitcnt vmcnt(0)
	v_add_co_u32_e64 v48, s[6:7], s22, v30
	v_addc_co_u32_e64 v49, s[6:7], v31, v5, s[6:7]
	s_and_saveexec_b64 s[6:7], s[4:5]
	s_cbranch_execz .LBB2_94
; %bb.93:                               ;   in Loop: Header=BB2_30 Depth=1
	v_pk_mov_b32 v[14:15], s[16:17], s[16:17] op_sel:[0,1]
	global_store_dwordx4 v[48:49], v[14:17], off offset:8
.LBB2_94:                               ;   in Loop: Header=BB2_30 Depth=1
	s_or_b64 exec, exec, s[6:7]
	s_lshl_b64 s[6:7], s[18:19], 12
	v_cndmask_b32_e32 v15, 0, v1, vcc
	v_mov_b32_e32 v5, s7
	v_add_co_u32_e32 v14, vcc, s6, v32
	v_addc_co_u32_e32 v5, vcc, v33, v5, vcc
	v_or_b32_e32 v32, 0, v9
	v_cmp_lt_u64_e32 vcc, 56, v[0:1]
	v_or_b32_e32 v33, v8, v36
	v_cndmask_b32_e32 v9, v32, v9, vcc
	v_lshl_add_u32 v32, v50, 2, 28
	v_cndmask_b32_e32 v8, v33, v8, vcc
	v_and_b32_e32 v32, 0x1e0, v32
	v_and_or_b32 v8, v8, s21, v32
	v_readfirstlane_b32 s6, v14
	v_readfirstlane_b32 s7, v5
	s_nop 4
	global_store_dwordx4 v52, v[8:11], s[6:7]
	global_store_dwordx4 v52, v[18:21], s[6:7] offset:16
	global_store_dwordx4 v52, v[22:25], s[6:7] offset:32
	;; [unrolled: 1-line block ×3, first 2 shown]
	s_and_saveexec_b64 s[6:7], s[4:5]
	s_cbranch_execz .LBB2_102
; %bb.95:                               ;   in Loop: Header=BB2_30 Depth=1
	global_load_dwordx2 v[22:23], v39, s[10:11] offset:32 glc
	global_load_dwordx2 v[8:9], v39, s[10:11] offset:40
	v_mov_b32_e32 v20, s14
	v_mov_b32_e32 v21, s15
	s_waitcnt vmcnt(0)
	v_readfirstlane_b32 s16, v8
	v_readfirstlane_b32 s17, v9
	s_and_b64 s[16:17], s[16:17], s[14:15]
	s_mul_i32 s17, s17, 24
	s_mul_hi_u32 s18, s16, 24
	s_mul_i32 s16, s16, 24
	s_add_i32 s17, s18, s17
	v_mov_b32_e32 v8, s17
	v_add_co_u32_e32 v18, vcc, s16, v30
	v_addc_co_u32_e32 v19, vcc, v31, v8, vcc
	global_store_dwordx2 v[18:19], v[22:23], off
	buffer_wbl2
	s_waitcnt vmcnt(0)
	global_atomic_cmpswap_x2 v[10:11], v39, v[20:23], s[10:11] offset:32 glc
	s_waitcnt vmcnt(0)
	v_cmp_ne_u64_e32 vcc, v[10:11], v[22:23]
	s_and_saveexec_b64 s[16:17], vcc
	s_cbranch_execz .LBB2_98
; %bb.96:                               ;   in Loop: Header=BB2_30 Depth=1
	s_mov_b64 s[18:19], 0
.LBB2_97:                               ;   Parent Loop BB2_30 Depth=1
                                        ; =>  This Inner Loop Header: Depth=2
	s_sleep 1
	global_store_dwordx2 v[18:19], v[10:11], off
	v_mov_b32_e32 v8, s14
	v_mov_b32_e32 v9, s15
	buffer_wbl2
	s_waitcnt vmcnt(0)
	global_atomic_cmpswap_x2 v[8:9], v39, v[8:11], s[10:11] offset:32 glc
	s_waitcnt vmcnt(0)
	v_cmp_eq_u64_e32 vcc, v[8:9], v[10:11]
	s_or_b64 s[18:19], vcc, s[18:19]
	v_pk_mov_b32 v[10:11], v[8:9], v[8:9] op_sel:[0,1]
	s_andn2_b64 exec, exec, s[18:19]
	s_cbranch_execnz .LBB2_97
.LBB2_98:                               ;   in Loop: Header=BB2_30 Depth=1
	s_or_b64 exec, exec, s[16:17]
	global_load_dwordx2 v[8:9], v39, s[10:11] offset:16
	s_mov_b64 s[18:19], exec
	v_mbcnt_lo_u32_b32 v10, s18, 0
	v_mbcnt_hi_u32_b32 v10, s19, v10
	v_cmp_eq_u32_e32 vcc, 0, v10
	s_and_saveexec_b64 s[16:17], vcc
	s_cbranch_execz .LBB2_100
; %bb.99:                               ;   in Loop: Header=BB2_30 Depth=1
	s_bcnt1_i32_b64 s18, s[18:19]
	v_mov_b32_e32 v38, s18
	buffer_wbl2
	s_waitcnt vmcnt(0)
	global_atomic_add_x2 v[8:9], v[38:39], off offset:8
.LBB2_100:                              ;   in Loop: Header=BB2_30 Depth=1
	s_or_b64 exec, exec, s[16:17]
	s_waitcnt vmcnt(0)
	global_load_dwordx2 v[10:11], v[8:9], off offset:16
	s_waitcnt vmcnt(0)
	v_cmp_eq_u64_e32 vcc, 0, v[10:11]
	s_cbranch_vccnz .LBB2_102
; %bb.101:                              ;   in Loop: Header=BB2_30 Depth=1
	global_load_dword v38, v[8:9], off offset:24
	s_waitcnt vmcnt(0)
	v_and_b32_e32 v8, 0xffffff, v38
	v_readfirstlane_b32 m0, v8
	buffer_wbl2
	global_store_dwordx2 v[10:11], v[38:39], off
	s_sendmsg sendmsg(MSG_INTERRUPT)
.LBB2_102:                              ;   in Loop: Header=BB2_30 Depth=1
	s_or_b64 exec, exec, s[6:7]
	v_add_co_u32_e32 v8, vcc, v14, v52
	v_addc_co_u32_e32 v9, vcc, 0, v5, vcc
	s_branch .LBB2_106
.LBB2_103:                              ;   in Loop: Header=BB2_106 Depth=2
	s_or_b64 exec, exec, s[6:7]
	v_readfirstlane_b32 s6, v5
	s_cmp_eq_u32 s6, 0
	s_cbranch_scc1 .LBB2_105
; %bb.104:                              ;   in Loop: Header=BB2_106 Depth=2
	s_sleep 1
	s_cbranch_execnz .LBB2_106
	s_branch .LBB2_108
.LBB2_105:                              ;   in Loop: Header=BB2_30 Depth=1
	s_branch .LBB2_108
.LBB2_106:                              ;   Parent Loop BB2_30 Depth=1
                                        ; =>  This Inner Loop Header: Depth=2
	v_mov_b32_e32 v5, 1
	s_and_saveexec_b64 s[6:7], s[4:5]
	s_cbranch_execz .LBB2_103
; %bb.107:                              ;   in Loop: Header=BB2_106 Depth=2
	global_load_dword v5, v[48:49], off offset:20 glc
	s_waitcnt vmcnt(0)
	buffer_invl2
	buffer_wbinvl1_vol
	v_and_b32_e32 v5, 1, v5
	s_branch .LBB2_103
.LBB2_108:                              ;   in Loop: Header=BB2_30 Depth=1
	global_load_dwordx4 v[8:11], v[8:9], off
	s_and_saveexec_b64 s[6:7], s[4:5]
	s_cbranch_execz .LBB2_29
; %bb.109:                              ;   in Loop: Header=BB2_30 Depth=1
	global_load_dwordx2 v[10:11], v39, s[10:11] offset:40
	global_load_dwordx2 v[22:23], v39, s[10:11] offset:24 glc
	global_load_dwordx2 v[24:25], v39, s[10:11]
	v_mov_b32_e32 v5, s15
	s_waitcnt vmcnt(2)
	v_add_co_u32_e32 v14, vcc, 1, v10
	v_addc_co_u32_e32 v21, vcc, 0, v11, vcc
	v_add_co_u32_e32 v18, vcc, s14, v14
	v_addc_co_u32_e32 v19, vcc, v21, v5, vcc
	v_cmp_eq_u64_e32 vcc, 0, v[18:19]
	v_cndmask_b32_e32 v19, v19, v21, vcc
	v_cndmask_b32_e32 v18, v18, v14, vcc
	v_and_b32_e32 v5, v19, v11
	v_and_b32_e32 v10, v18, v10
	v_mul_lo_u32 v5, v5, 24
	v_mul_hi_u32 v11, v10, 24
	v_mul_lo_u32 v10, v10, 24
	v_add_u32_e32 v5, v11, v5
	s_waitcnt vmcnt(0)
	v_add_co_u32_e32 v10, vcc, v24, v10
	v_addc_co_u32_e32 v11, vcc, v25, v5, vcc
	v_mov_b32_e32 v20, v22
	global_store_dwordx2 v[10:11], v[22:23], off
	v_mov_b32_e32 v21, v23
	buffer_wbl2
	s_waitcnt vmcnt(0)
	global_atomic_cmpswap_x2 v[20:21], v39, v[18:21], s[10:11] offset:24 glc
	s_waitcnt vmcnt(0)
	v_cmp_ne_u64_e32 vcc, v[20:21], v[22:23]
	s_and_b64 exec, exec, vcc
	s_cbranch_execz .LBB2_29
; %bb.110:                              ;   in Loop: Header=BB2_30 Depth=1
	s_mov_b64 s[4:5], 0
.LBB2_111:                              ;   Parent Loop BB2_30 Depth=1
                                        ; =>  This Inner Loop Header: Depth=2
	s_sleep 1
	global_store_dwordx2 v[10:11], v[20:21], off
	buffer_wbl2
	s_waitcnt vmcnt(0)
	global_atomic_cmpswap_x2 v[22:23], v39, v[18:21], s[10:11] offset:24 glc
	s_waitcnt vmcnt(0)
	v_cmp_eq_u64_e32 vcc, v[22:23], v[20:21]
	s_or_b64 s[4:5], vcc, s[4:5]
	v_pk_mov_b32 v[20:21], v[22:23], v[22:23] op_sel:[0,1]
	s_andn2_b64 exec, exec, s[4:5]
	s_cbranch_execnz .LBB2_111
	s_branch .LBB2_29
.LBB2_112:
                                        ; implicit-def: $vgpr8_vgpr9
	s_cbranch_execnz .LBB2_114
	s_branch .LBB2_140
.LBB2_113:
	s_or_b64 exec, exec, s[12:13]
	s_branch .LBB2_140
.LBB2_114:
	v_readfirstlane_b32 s4, v53
	v_cmp_eq_u32_e64 s[4:5], s4, v53
	v_pk_mov_b32 v[0:1], 0, 0
	s_and_saveexec_b64 s[6:7], s[4:5]
	s_cbranch_execz .LBB2_120
; %bb.115:
	v_mov_b32_e32 v5, 0
	global_load_dwordx2 v[10:11], v5, s[10:11] offset:24 glc
	s_waitcnt vmcnt(0)
	buffer_invl2
	buffer_wbinvl1_vol
	global_load_dwordx2 v[0:1], v5, s[10:11] offset:40
	global_load_dwordx2 v[8:9], v5, s[10:11]
	s_waitcnt vmcnt(1)
	v_and_b32_e32 v0, v0, v10
	v_and_b32_e32 v1, v1, v11
	v_mul_lo_u32 v1, v1, 24
	v_mul_hi_u32 v14, v0, 24
	v_mul_lo_u32 v0, v0, 24
	v_add_u32_e32 v1, v14, v1
	s_waitcnt vmcnt(0)
	v_add_co_u32_e32 v0, vcc, v8, v0
	v_addc_co_u32_e32 v1, vcc, v9, v1, vcc
	global_load_dwordx2 v[8:9], v[0:1], off glc
	s_waitcnt vmcnt(0)
	global_atomic_cmpswap_x2 v[0:1], v5, v[8:11], s[10:11] offset:24 glc
	s_waitcnt vmcnt(0)
	buffer_invl2
	buffer_wbinvl1_vol
	v_cmp_ne_u64_e32 vcc, v[0:1], v[10:11]
	s_and_saveexec_b64 s[12:13], vcc
	s_cbranch_execz .LBB2_119
; %bb.116:
	s_mov_b64 s[14:15], 0
.LBB2_117:                              ; =>This Inner Loop Header: Depth=1
	s_sleep 1
	global_load_dwordx2 v[8:9], v5, s[10:11] offset:40
	global_load_dwordx2 v[14:15], v5, s[10:11]
	v_pk_mov_b32 v[10:11], v[0:1], v[0:1] op_sel:[0,1]
	s_waitcnt vmcnt(1)
	v_and_b32_e32 v0, v8, v10
	s_waitcnt vmcnt(0)
	v_mad_u64_u32 v[0:1], s[16:17], v0, 24, v[14:15]
	v_and_b32_e32 v9, v9, v11
	v_mov_b32_e32 v8, v1
	v_mad_u64_u32 v[8:9], s[16:17], v9, 24, v[8:9]
	v_mov_b32_e32 v1, v8
	global_load_dwordx2 v[8:9], v[0:1], off glc
	s_waitcnt vmcnt(0)
	global_atomic_cmpswap_x2 v[0:1], v5, v[8:11], s[10:11] offset:24 glc
	s_waitcnt vmcnt(0)
	buffer_invl2
	buffer_wbinvl1_vol
	v_cmp_eq_u64_e32 vcc, v[0:1], v[10:11]
	s_or_b64 s[14:15], vcc, s[14:15]
	s_andn2_b64 exec, exec, s[14:15]
	s_cbranch_execnz .LBB2_117
; %bb.118:
	s_or_b64 exec, exec, s[14:15]
.LBB2_119:
	s_or_b64 exec, exec, s[12:13]
.LBB2_120:
	s_or_b64 exec, exec, s[6:7]
	v_mov_b32_e32 v14, 0
	global_load_dwordx2 v[16:17], v14, s[10:11] offset:40
	global_load_dwordx4 v[8:11], v14, s[10:11]
	v_readfirstlane_b32 s6, v0
	v_readfirstlane_b32 s7, v1
	s_mov_b64 s[12:13], exec
	s_waitcnt vmcnt(1)
	v_readfirstlane_b32 s14, v16
	v_readfirstlane_b32 s15, v17
	s_and_b64 s[14:15], s[6:7], s[14:15]
	s_mul_i32 s16, s15, 24
	s_mul_hi_u32 s17, s14, 24
	s_mul_i32 s18, s14, 24
	s_add_i32 s16, s17, s16
	v_mov_b32_e32 v1, s16
	s_waitcnt vmcnt(0)
	v_add_co_u32_e32 v0, vcc, s18, v8
	v_addc_co_u32_e32 v1, vcc, v9, v1, vcc
	s_and_saveexec_b64 s[16:17], s[4:5]
	s_cbranch_execz .LBB2_122
; %bb.121:
	v_pk_mov_b32 v[16:17], s[12:13], s[12:13] op_sel:[0,1]
	v_mov_b32_e32 v18, 2
	v_mov_b32_e32 v19, 1
	global_store_dwordx4 v[0:1], v[16:19], off offset:8
.LBB2_122:
	s_or_b64 exec, exec, s[16:17]
	s_lshl_b64 s[12:13], s[14:15], 12
	v_mov_b32_e32 v5, s13
	v_add_co_u32_e32 v10, vcc, s12, v10
	s_movk_i32 s12, 0xff1f
	v_addc_co_u32_e32 v5, vcc, v11, v5, vcc
	v_and_or_b32 v12, v12, s12, 32
	s_mov_b32 s12, 0
	v_mov_b32_e32 v15, v14
	v_readfirstlane_b32 s16, v10
	v_readfirstlane_b32 s17, v5
	s_mov_b32 s13, s12
	v_add_co_u32_e32 v16, vcc, v10, v52
	s_mov_b32 s14, s12
	s_mov_b32 s15, s12
	s_nop 0
	global_store_dwordx4 v52, v[12:15], s[16:17]
	v_pk_mov_b32 v[10:11], s[12:13], s[12:13] op_sel:[0,1]
	v_addc_co_u32_e32 v17, vcc, 0, v5, vcc
	v_pk_mov_b32 v[12:13], s[14:15], s[14:15] op_sel:[0,1]
	global_store_dwordx4 v52, v[10:13], s[16:17] offset:16
	global_store_dwordx4 v52, v[10:13], s[16:17] offset:32
	;; [unrolled: 1-line block ×3, first 2 shown]
	s_and_saveexec_b64 s[12:13], s[4:5]
	s_cbranch_execz .LBB2_130
; %bb.123:
	v_mov_b32_e32 v5, 0
	global_load_dwordx2 v[20:21], v5, s[10:11] offset:32 glc
	global_load_dwordx2 v[10:11], v5, s[10:11] offset:40
	v_mov_b32_e32 v18, s6
	v_mov_b32_e32 v19, s7
	s_waitcnt vmcnt(0)
	v_readfirstlane_b32 s14, v10
	v_readfirstlane_b32 s15, v11
	s_and_b64 s[14:15], s[14:15], s[6:7]
	s_mul_i32 s15, s15, 24
	s_mul_hi_u32 s16, s14, 24
	s_mul_i32 s14, s14, 24
	s_add_i32 s15, s16, s15
	v_mov_b32_e32 v10, s15
	v_add_co_u32_e32 v12, vcc, s14, v8
	v_addc_co_u32_e32 v13, vcc, v9, v10, vcc
	global_store_dwordx2 v[12:13], v[20:21], off
	buffer_wbl2
	s_waitcnt vmcnt(0)
	global_atomic_cmpswap_x2 v[10:11], v5, v[18:21], s[10:11] offset:32 glc
	s_waitcnt vmcnt(0)
	v_cmp_ne_u64_e32 vcc, v[10:11], v[20:21]
	s_and_saveexec_b64 s[14:15], vcc
	s_cbranch_execz .LBB2_126
; %bb.124:
	s_mov_b64 s[16:17], 0
.LBB2_125:                              ; =>This Inner Loop Header: Depth=1
	s_sleep 1
	global_store_dwordx2 v[12:13], v[10:11], off
	v_mov_b32_e32 v8, s6
	v_mov_b32_e32 v9, s7
	buffer_wbl2
	s_waitcnt vmcnt(0)
	global_atomic_cmpswap_x2 v[8:9], v5, v[8:11], s[10:11] offset:32 glc
	s_waitcnt vmcnt(0)
	v_cmp_eq_u64_e32 vcc, v[8:9], v[10:11]
	s_or_b64 s[16:17], vcc, s[16:17]
	v_pk_mov_b32 v[10:11], v[8:9], v[8:9] op_sel:[0,1]
	s_andn2_b64 exec, exec, s[16:17]
	s_cbranch_execnz .LBB2_125
.LBB2_126:
	s_or_b64 exec, exec, s[14:15]
	v_mov_b32_e32 v11, 0
	global_load_dwordx2 v[8:9], v11, s[10:11] offset:16
	s_mov_b64 s[14:15], exec
	v_mbcnt_lo_u32_b32 v5, s14, 0
	v_mbcnt_hi_u32_b32 v5, s15, v5
	v_cmp_eq_u32_e32 vcc, 0, v5
	s_and_saveexec_b64 s[16:17], vcc
	s_cbranch_execz .LBB2_128
; %bb.127:
	s_bcnt1_i32_b64 s14, s[14:15]
	v_mov_b32_e32 v10, s14
	buffer_wbl2
	s_waitcnt vmcnt(0)
	global_atomic_add_x2 v[8:9], v[10:11], off offset:8
.LBB2_128:
	s_or_b64 exec, exec, s[16:17]
	s_waitcnt vmcnt(0)
	global_load_dwordx2 v[10:11], v[8:9], off offset:16
	s_waitcnt vmcnt(0)
	v_cmp_eq_u64_e32 vcc, 0, v[10:11]
	s_cbranch_vccnz .LBB2_130
; %bb.129:
	global_load_dword v8, v[8:9], off offset:24
	v_mov_b32_e32 v9, 0
	s_waitcnt vmcnt(0)
	v_and_b32_e32 v5, 0xffffff, v8
	v_readfirstlane_b32 m0, v5
	buffer_wbl2
	global_store_dwordx2 v[10:11], v[8:9], off
	s_sendmsg sendmsg(MSG_INTERRUPT)
.LBB2_130:
	s_or_b64 exec, exec, s[12:13]
	s_branch .LBB2_134
.LBB2_131:                              ;   in Loop: Header=BB2_134 Depth=1
	s_or_b64 exec, exec, s[12:13]
	v_readfirstlane_b32 s12, v5
	s_cmp_eq_u32 s12, 0
	s_cbranch_scc1 .LBB2_133
; %bb.132:                              ;   in Loop: Header=BB2_134 Depth=1
	s_sleep 1
	s_cbranch_execnz .LBB2_134
	s_branch .LBB2_136
.LBB2_133:
	s_branch .LBB2_136
.LBB2_134:                              ; =>This Inner Loop Header: Depth=1
	v_mov_b32_e32 v5, 1
	s_and_saveexec_b64 s[12:13], s[4:5]
	s_cbranch_execz .LBB2_131
; %bb.135:                              ;   in Loop: Header=BB2_134 Depth=1
	global_load_dword v5, v[0:1], off offset:20 glc
	s_waitcnt vmcnt(0)
	buffer_invl2
	buffer_wbinvl1_vol
	v_and_b32_e32 v5, 1, v5
	s_branch .LBB2_131
.LBB2_136:
	global_load_dwordx2 v[8:9], v[16:17], off
	s_and_saveexec_b64 s[12:13], s[4:5]
	s_cbranch_execz .LBB2_139
; %bb.137:
	v_mov_b32_e32 v5, 0
	global_load_dwordx2 v[0:1], v5, s[10:11] offset:40
	global_load_dwordx2 v[14:15], v5, s[10:11] offset:24 glc
	global_load_dwordx2 v[16:17], v5, s[10:11]
	v_mov_b32_e32 v11, s7
	s_mov_b64 s[4:5], 0
	s_waitcnt vmcnt(2)
	v_add_co_u32_e32 v13, vcc, 1, v0
	v_addc_co_u32_e32 v18, vcc, 0, v1, vcc
	v_add_co_u32_e32 v10, vcc, s6, v13
	v_addc_co_u32_e32 v11, vcc, v18, v11, vcc
	v_cmp_eq_u64_e32 vcc, 0, v[10:11]
	v_cndmask_b32_e32 v11, v11, v18, vcc
	v_cndmask_b32_e32 v10, v10, v13, vcc
	v_and_b32_e32 v1, v11, v1
	v_and_b32_e32 v0, v10, v0
	v_mul_lo_u32 v1, v1, 24
	v_mul_hi_u32 v13, v0, 24
	v_mul_lo_u32 v0, v0, 24
	v_add_u32_e32 v1, v13, v1
	s_waitcnt vmcnt(0)
	v_add_co_u32_e32 v0, vcc, v16, v0
	v_addc_co_u32_e32 v1, vcc, v17, v1, vcc
	v_mov_b32_e32 v12, v14
	global_store_dwordx2 v[0:1], v[14:15], off
	v_mov_b32_e32 v13, v15
	buffer_wbl2
	s_waitcnt vmcnt(0)
	global_atomic_cmpswap_x2 v[12:13], v5, v[10:13], s[10:11] offset:24 glc
	s_waitcnt vmcnt(0)
	v_cmp_ne_u64_e32 vcc, v[12:13], v[14:15]
	s_and_b64 exec, exec, vcc
	s_cbranch_execz .LBB2_139
.LBB2_138:                              ; =>This Inner Loop Header: Depth=1
	s_sleep 1
	global_store_dwordx2 v[0:1], v[12:13], off
	buffer_wbl2
	s_waitcnt vmcnt(0)
	global_atomic_cmpswap_x2 v[14:15], v5, v[10:13], s[10:11] offset:24 glc
	s_waitcnt vmcnt(0)
	v_cmp_eq_u64_e32 vcc, v[14:15], v[12:13]
	s_or_b64 s[4:5], vcc, s[4:5]
	v_pk_mov_b32 v[12:13], v[14:15], v[14:15] op_sel:[0,1]
	s_andn2_b64 exec, exec, s[4:5]
	s_cbranch_execnz .LBB2_138
.LBB2_139:
	s_or_b64 exec, exec, s[12:13]
.LBB2_140:
	s_mov_b64 s[4:5], 0
	s_waitcnt vmcnt(0)
	v_pk_mov_b32 v[10:11], v[2:3], v[2:3] op_sel:[0,1]
.LBB2_141:                              ; =>This Inner Loop Header: Depth=1
	flat_load_ubyte v5, v[10:11]
	v_add_co_u32_e32 v0, vcc, 1, v10
	v_addc_co_u32_e32 v1, vcc, 0, v11, vcc
	v_pk_mov_b32 v[10:11], v[0:1], v[0:1] op_sel:[0,1]
	s_waitcnt vmcnt(0) lgkmcnt(0)
	v_cmp_eq_u16_e32 vcc, 0, v5
	s_or_b64 s[4:5], vcc, s[4:5]
	s_andn2_b64 exec, exec, s[4:5]
	s_cbranch_execnz .LBB2_141
; %bb.142:
	s_or_b64 exec, exec, s[4:5]
	s_mov_b64 s[6:7], 0
	v_cmp_ne_u64_e32 vcc, 0, v[2:3]
	s_and_saveexec_b64 s[4:5], vcc
	s_xor_b64 s[12:13], exec, s[4:5]
	s_cbranch_execz .LBB2_228
; %bb.143:
	v_sub_u32_e32 v0, v0, v2
	v_ashrrev_i32_e32 v1, 31, v0
	v_and_b32_e32 v36, 2, v8
	v_mov_b32_e32 v39, 0
	v_and_b32_e32 v8, -3, v8
	s_mov_b32 s22, 0
	s_movk_i32 s23, 0xff1f
	v_mov_b32_e32 v12, 2
	v_mov_b32_e32 v13, 1
	s_branch .LBB2_145
.LBB2_144:                              ;   in Loop: Header=BB2_145 Depth=1
	s_or_b64 exec, exec, s[16:17]
	v_sub_co_u32_e32 v0, vcc, v0, v48
	v_subb_co_u32_e32 v1, vcc, v1, v49, vcc
	v_cmp_eq_u64_e32 vcc, 0, v[0:1]
	s_or_b64 s[6:7], vcc, s[6:7]
	v_add_co_u32_e32 v2, vcc, v2, v48
	v_addc_co_u32_e32 v3, vcc, v3, v49, vcc
	s_andn2_b64 exec, exec, s[6:7]
	s_cbranch_execz .LBB2_227
.LBB2_145:                              ; =>This Loop Header: Depth=1
                                        ;     Child Loop BB2_148 Depth 2
                                        ;     Child Loop BB2_156 Depth 2
	;; [unrolled: 1-line block ×11, first 2 shown]
	v_cmp_gt_u64_e32 vcc, 56, v[0:1]
	v_cndmask_b32_e32 v49, 0, v1, vcc
	v_cndmask_b32_e32 v48, 56, v0, vcc
	v_cmp_gt_u64_e32 vcc, 8, v[0:1]
                                        ; implicit-def: $vgpr16_vgpr17
                                        ; implicit-def: $sgpr14
	s_and_saveexec_b64 s[4:5], vcc
	s_xor_b64 s[4:5], exec, s[4:5]
	s_cbranch_execz .LBB2_151
; %bb.146:                              ;   in Loop: Header=BB2_145 Depth=1
	s_mov_b64 s[16:17], 0
	v_cmp_ne_u64_e32 vcc, 0, v[0:1]
	v_pk_mov_b32 v[16:17], 0, 0
	s_and_saveexec_b64 s[14:15], vcc
	s_cbranch_execz .LBB2_150
; %bb.147:                              ;   in Loop: Header=BB2_145 Depth=1
	s_waitcnt vmcnt(0)
	v_lshlrev_b64 v[10:11], 3, v[48:49]
	v_pk_mov_b32 v[16:17], 0, 0
	v_pk_mov_b32 v[14:15], v[2:3], v[2:3] op_sel:[0,1]
	s_mov_b64 s[18:19], 0
.LBB2_148:                              ;   Parent Loop BB2_145 Depth=1
                                        ; =>  This Inner Loop Header: Depth=2
	flat_load_ubyte v5, v[14:15]
	v_mov_b32_e32 v19, s22
	v_add_co_u32_e32 v14, vcc, 1, v14
	v_addc_co_u32_e32 v15, vcc, 0, v15, vcc
	s_waitcnt vmcnt(0) lgkmcnt(0)
	v_and_b32_e32 v18, 0xffff, v5
	v_lshlrev_b64 v[18:19], s18, v[18:19]
	s_add_u32 s18, s18, 8
	s_addc_u32 s19, s19, 0
	v_cmp_eq_u32_e32 vcc, s18, v10
	v_or_b32_e32 v17, v19, v17
	s_or_b64 s[16:17], vcc, s[16:17]
	v_or_b32_e32 v16, v18, v16
	s_andn2_b64 exec, exec, s[16:17]
	s_cbranch_execnz .LBB2_148
; %bb.149:                              ;   in Loop: Header=BB2_145 Depth=1
	s_or_b64 exec, exec, s[16:17]
.LBB2_150:                              ;   in Loop: Header=BB2_145 Depth=1
	s_or_b64 exec, exec, s[14:15]
	s_mov_b32 s14, 0
.LBB2_151:                              ;   in Loop: Header=BB2_145 Depth=1
	s_or_saveexec_b64 s[4:5], s[4:5]
	v_mov_b32_e32 v5, s14
	s_waitcnt vmcnt(0)
	v_pk_mov_b32 v[10:11], v[2:3], v[2:3] op_sel:[0,1]
	s_xor_b64 exec, exec, s[4:5]
	s_cbranch_execz .LBB2_153
; %bb.152:                              ;   in Loop: Header=BB2_145 Depth=1
	flat_load_dwordx2 v[10:11], v[2:3]
	v_add_u32_e32 v5, -8, v48
	s_waitcnt vmcnt(0) lgkmcnt(0)
	v_and_b32_e32 v14, 0xff, v11
	v_and_b32_e32 v15, 0xff00, v11
	;; [unrolled: 1-line block ×4, first 2 shown]
	v_or3_b32 v16, v10, 0, 0
	v_or_b32_e32 v10, v14, v15
	v_or3_b32 v17, v10, v17, v11
	v_add_co_u32_e32 v10, vcc, 8, v2
	v_addc_co_u32_e32 v11, vcc, 0, v3, vcc
.LBB2_153:                              ;   in Loop: Header=BB2_145 Depth=1
	s_or_b64 exec, exec, s[4:5]
	v_cmp_gt_u32_e32 vcc, 8, v5
                                        ; implicit-def: $vgpr18_vgpr19
                                        ; implicit-def: $sgpr14
	s_and_saveexec_b64 s[4:5], vcc
	s_xor_b64 s[4:5], exec, s[4:5]
	s_cbranch_execz .LBB2_159
; %bb.154:                              ;   in Loop: Header=BB2_145 Depth=1
	v_cmp_ne_u32_e32 vcc, 0, v5
	v_pk_mov_b32 v[18:19], 0, 0
	s_and_saveexec_b64 s[14:15], vcc
	s_cbranch_execz .LBB2_158
; %bb.155:                              ;   in Loop: Header=BB2_145 Depth=1
	s_mov_b64 s[16:17], 0
	v_pk_mov_b32 v[18:19], 0, 0
	s_mov_b64 s[18:19], 0
	s_mov_b64 s[20:21], 0
.LBB2_156:                              ;   Parent Loop BB2_145 Depth=1
                                        ; =>  This Inner Loop Header: Depth=2
	v_mov_b32_e32 v15, s21
	v_add_co_u32_e32 v14, vcc, s20, v10
	v_addc_co_u32_e32 v15, vcc, v11, v15, vcc
	flat_load_ubyte v14, v[14:15]
	s_add_u32 s20, s20, 1
	v_mov_b32_e32 v15, s22
	s_addc_u32 s21, s21, 0
	v_cmp_eq_u32_e32 vcc, s20, v5
	s_waitcnt vmcnt(0) lgkmcnt(0)
	v_and_b32_e32 v14, 0xffff, v14
	v_lshlrev_b64 v[14:15], s18, v[14:15]
	s_add_u32 s18, s18, 8
	s_addc_u32 s19, s19, 0
	v_or_b32_e32 v19, v15, v19
	s_or_b64 s[16:17], vcc, s[16:17]
	v_or_b32_e32 v18, v14, v18
	s_andn2_b64 exec, exec, s[16:17]
	s_cbranch_execnz .LBB2_156
; %bb.157:                              ;   in Loop: Header=BB2_145 Depth=1
	s_or_b64 exec, exec, s[16:17]
.LBB2_158:                              ;   in Loop: Header=BB2_145 Depth=1
	s_or_b64 exec, exec, s[14:15]
	s_mov_b32 s14, 0
                                        ; implicit-def: $vgpr5
.LBB2_159:                              ;   in Loop: Header=BB2_145 Depth=1
	s_or_saveexec_b64 s[4:5], s[4:5]
	v_mov_b32_e32 v14, s14
	s_xor_b64 exec, exec, s[4:5]
	s_cbranch_execz .LBB2_161
; %bb.160:                              ;   in Loop: Header=BB2_145 Depth=1
	flat_load_dwordx2 v[18:19], v[10:11]
	v_add_u32_e32 v14, -8, v5
	v_add_co_u32_e32 v10, vcc, 8, v10
	v_addc_co_u32_e32 v11, vcc, 0, v11, vcc
	s_waitcnt vmcnt(0) lgkmcnt(0)
	v_and_b32_e32 v5, 0xff, v19
	v_and_b32_e32 v15, 0xff00, v19
	;; [unrolled: 1-line block ×4, first 2 shown]
	v_or_b32_e32 v5, v5, v15
	v_or3_b32 v18, v18, 0, 0
	v_or3_b32 v19, v5, v20, v19
.LBB2_161:                              ;   in Loop: Header=BB2_145 Depth=1
	s_or_b64 exec, exec, s[4:5]
	v_cmp_gt_u32_e32 vcc, 8, v14
                                        ; implicit-def: $sgpr14
	s_and_saveexec_b64 s[4:5], vcc
	s_xor_b64 s[4:5], exec, s[4:5]
	s_cbranch_execz .LBB2_167
; %bb.162:                              ;   in Loop: Header=BB2_145 Depth=1
	v_cmp_ne_u32_e32 vcc, 0, v14
	v_pk_mov_b32 v[20:21], 0, 0
	s_and_saveexec_b64 s[14:15], vcc
	s_cbranch_execz .LBB2_166
; %bb.163:                              ;   in Loop: Header=BB2_145 Depth=1
	s_mov_b64 s[16:17], 0
	v_pk_mov_b32 v[20:21], 0, 0
	s_mov_b64 s[18:19], 0
	s_mov_b64 s[20:21], 0
.LBB2_164:                              ;   Parent Loop BB2_145 Depth=1
                                        ; =>  This Inner Loop Header: Depth=2
	v_mov_b32_e32 v5, s21
	v_add_co_u32_e32 v22, vcc, s20, v10
	v_addc_co_u32_e32 v23, vcc, v11, v5, vcc
	flat_load_ubyte v5, v[22:23]
	s_add_u32 s20, s20, 1
	v_mov_b32_e32 v23, s22
	s_addc_u32 s21, s21, 0
	v_cmp_eq_u32_e32 vcc, s20, v14
	s_waitcnt vmcnt(0) lgkmcnt(0)
	v_and_b32_e32 v22, 0xffff, v5
	v_lshlrev_b64 v[22:23], s18, v[22:23]
	s_add_u32 s18, s18, 8
	s_addc_u32 s19, s19, 0
	v_or_b32_e32 v21, v23, v21
	s_or_b64 s[16:17], vcc, s[16:17]
	v_or_b32_e32 v20, v22, v20
	s_andn2_b64 exec, exec, s[16:17]
	s_cbranch_execnz .LBB2_164
; %bb.165:                              ;   in Loop: Header=BB2_145 Depth=1
	s_or_b64 exec, exec, s[16:17]
.LBB2_166:                              ;   in Loop: Header=BB2_145 Depth=1
	s_or_b64 exec, exec, s[14:15]
	s_mov_b32 s14, 0
                                        ; implicit-def: $vgpr14
.LBB2_167:                              ;   in Loop: Header=BB2_145 Depth=1
	s_or_saveexec_b64 s[4:5], s[4:5]
	v_mov_b32_e32 v5, s14
	s_xor_b64 exec, exec, s[4:5]
	s_cbranch_execz .LBB2_169
; %bb.168:                              ;   in Loop: Header=BB2_145 Depth=1
	flat_load_dwordx2 v[20:21], v[10:11]
	v_add_u32_e32 v5, -8, v14
	v_add_co_u32_e32 v10, vcc, 8, v10
	v_addc_co_u32_e32 v11, vcc, 0, v11, vcc
	s_waitcnt vmcnt(0) lgkmcnt(0)
	v_and_b32_e32 v14, 0xff, v21
	v_and_b32_e32 v15, 0xff00, v21
	;; [unrolled: 1-line block ×4, first 2 shown]
	v_or_b32_e32 v14, v14, v15
	v_or3_b32 v20, v20, 0, 0
	v_or3_b32 v21, v14, v22, v21
.LBB2_169:                              ;   in Loop: Header=BB2_145 Depth=1
	s_or_b64 exec, exec, s[4:5]
	v_cmp_gt_u32_e32 vcc, 8, v5
                                        ; implicit-def: $vgpr22_vgpr23
                                        ; implicit-def: $sgpr14
	s_and_saveexec_b64 s[4:5], vcc
	s_xor_b64 s[4:5], exec, s[4:5]
	s_cbranch_execz .LBB2_175
; %bb.170:                              ;   in Loop: Header=BB2_145 Depth=1
	v_cmp_ne_u32_e32 vcc, 0, v5
	v_pk_mov_b32 v[22:23], 0, 0
	s_and_saveexec_b64 s[14:15], vcc
	s_cbranch_execz .LBB2_174
; %bb.171:                              ;   in Loop: Header=BB2_145 Depth=1
	s_mov_b64 s[16:17], 0
	v_pk_mov_b32 v[22:23], 0, 0
	s_mov_b64 s[18:19], 0
	s_mov_b64 s[20:21], 0
.LBB2_172:                              ;   Parent Loop BB2_145 Depth=1
                                        ; =>  This Inner Loop Header: Depth=2
	v_mov_b32_e32 v15, s21
	v_add_co_u32_e32 v14, vcc, s20, v10
	v_addc_co_u32_e32 v15, vcc, v11, v15, vcc
	flat_load_ubyte v14, v[14:15]
	s_add_u32 s20, s20, 1
	v_mov_b32_e32 v15, s22
	s_addc_u32 s21, s21, 0
	v_cmp_eq_u32_e32 vcc, s20, v5
	s_waitcnt vmcnt(0) lgkmcnt(0)
	v_and_b32_e32 v14, 0xffff, v14
	v_lshlrev_b64 v[14:15], s18, v[14:15]
	s_add_u32 s18, s18, 8
	s_addc_u32 s19, s19, 0
	v_or_b32_e32 v23, v15, v23
	s_or_b64 s[16:17], vcc, s[16:17]
	v_or_b32_e32 v22, v14, v22
	s_andn2_b64 exec, exec, s[16:17]
	s_cbranch_execnz .LBB2_172
; %bb.173:                              ;   in Loop: Header=BB2_145 Depth=1
	s_or_b64 exec, exec, s[16:17]
.LBB2_174:                              ;   in Loop: Header=BB2_145 Depth=1
	s_or_b64 exec, exec, s[14:15]
	s_mov_b32 s14, 0
                                        ; implicit-def: $vgpr5
.LBB2_175:                              ;   in Loop: Header=BB2_145 Depth=1
	s_or_saveexec_b64 s[4:5], s[4:5]
	v_mov_b32_e32 v14, s14
	s_xor_b64 exec, exec, s[4:5]
	s_cbranch_execz .LBB2_177
; %bb.176:                              ;   in Loop: Header=BB2_145 Depth=1
	flat_load_dwordx2 v[22:23], v[10:11]
	v_add_u32_e32 v14, -8, v5
	v_add_co_u32_e32 v10, vcc, 8, v10
	v_addc_co_u32_e32 v11, vcc, 0, v11, vcc
	s_waitcnt vmcnt(0) lgkmcnt(0)
	v_and_b32_e32 v5, 0xff, v23
	v_and_b32_e32 v15, 0xff00, v23
	;; [unrolled: 1-line block ×4, first 2 shown]
	v_or_b32_e32 v5, v5, v15
	v_or3_b32 v22, v22, 0, 0
	v_or3_b32 v23, v5, v24, v23
.LBB2_177:                              ;   in Loop: Header=BB2_145 Depth=1
	s_or_b64 exec, exec, s[4:5]
	v_cmp_gt_u32_e32 vcc, 8, v14
                                        ; implicit-def: $sgpr14
	s_and_saveexec_b64 s[4:5], vcc
	s_xor_b64 s[4:5], exec, s[4:5]
	s_cbranch_execz .LBB2_183
; %bb.178:                              ;   in Loop: Header=BB2_145 Depth=1
	v_cmp_ne_u32_e32 vcc, 0, v14
	v_pk_mov_b32 v[24:25], 0, 0
	s_and_saveexec_b64 s[14:15], vcc
	s_cbranch_execz .LBB2_182
; %bb.179:                              ;   in Loop: Header=BB2_145 Depth=1
	s_mov_b64 s[16:17], 0
	v_pk_mov_b32 v[24:25], 0, 0
	s_mov_b64 s[18:19], 0
	s_mov_b64 s[20:21], 0
.LBB2_180:                              ;   Parent Loop BB2_145 Depth=1
                                        ; =>  This Inner Loop Header: Depth=2
	v_mov_b32_e32 v5, s21
	v_add_co_u32_e32 v26, vcc, s20, v10
	v_addc_co_u32_e32 v27, vcc, v11, v5, vcc
	flat_load_ubyte v5, v[26:27]
	s_add_u32 s20, s20, 1
	v_mov_b32_e32 v27, s22
	s_addc_u32 s21, s21, 0
	v_cmp_eq_u32_e32 vcc, s20, v14
	s_waitcnt vmcnt(0) lgkmcnt(0)
	v_and_b32_e32 v26, 0xffff, v5
	v_lshlrev_b64 v[26:27], s18, v[26:27]
	s_add_u32 s18, s18, 8
	s_addc_u32 s19, s19, 0
	v_or_b32_e32 v25, v27, v25
	s_or_b64 s[16:17], vcc, s[16:17]
	v_or_b32_e32 v24, v26, v24
	s_andn2_b64 exec, exec, s[16:17]
	s_cbranch_execnz .LBB2_180
; %bb.181:                              ;   in Loop: Header=BB2_145 Depth=1
	s_or_b64 exec, exec, s[16:17]
.LBB2_182:                              ;   in Loop: Header=BB2_145 Depth=1
	s_or_b64 exec, exec, s[14:15]
	s_mov_b32 s14, 0
                                        ; implicit-def: $vgpr14
.LBB2_183:                              ;   in Loop: Header=BB2_145 Depth=1
	s_or_saveexec_b64 s[4:5], s[4:5]
	v_mov_b32_e32 v5, s14
	s_xor_b64 exec, exec, s[4:5]
	s_cbranch_execz .LBB2_185
; %bb.184:                              ;   in Loop: Header=BB2_145 Depth=1
	flat_load_dwordx2 v[24:25], v[10:11]
	v_add_u32_e32 v5, -8, v14
	v_add_co_u32_e32 v10, vcc, 8, v10
	v_addc_co_u32_e32 v11, vcc, 0, v11, vcc
	s_waitcnt vmcnt(0) lgkmcnt(0)
	v_and_b32_e32 v14, 0xff, v25
	v_and_b32_e32 v15, 0xff00, v25
	;; [unrolled: 1-line block ×4, first 2 shown]
	v_or_b32_e32 v14, v14, v15
	v_or3_b32 v24, v24, 0, 0
	v_or3_b32 v25, v14, v26, v25
.LBB2_185:                              ;   in Loop: Header=BB2_145 Depth=1
	s_or_b64 exec, exec, s[4:5]
	v_cmp_gt_u32_e32 vcc, 8, v5
                                        ; implicit-def: $vgpr26_vgpr27
                                        ; implicit-def: $sgpr14
	s_and_saveexec_b64 s[4:5], vcc
	s_xor_b64 s[4:5], exec, s[4:5]
	s_cbranch_execz .LBB2_191
; %bb.186:                              ;   in Loop: Header=BB2_145 Depth=1
	v_cmp_ne_u32_e32 vcc, 0, v5
	v_pk_mov_b32 v[26:27], 0, 0
	s_and_saveexec_b64 s[14:15], vcc
	s_cbranch_execz .LBB2_190
; %bb.187:                              ;   in Loop: Header=BB2_145 Depth=1
	s_mov_b64 s[16:17], 0
	v_pk_mov_b32 v[26:27], 0, 0
	s_mov_b64 s[18:19], 0
	s_mov_b64 s[20:21], 0
.LBB2_188:                              ;   Parent Loop BB2_145 Depth=1
                                        ; =>  This Inner Loop Header: Depth=2
	v_mov_b32_e32 v15, s21
	v_add_co_u32_e32 v14, vcc, s20, v10
	v_addc_co_u32_e32 v15, vcc, v11, v15, vcc
	flat_load_ubyte v14, v[14:15]
	s_add_u32 s20, s20, 1
	v_mov_b32_e32 v15, s22
	s_addc_u32 s21, s21, 0
	v_cmp_eq_u32_e32 vcc, s20, v5
	s_waitcnt vmcnt(0) lgkmcnt(0)
	v_and_b32_e32 v14, 0xffff, v14
	v_lshlrev_b64 v[14:15], s18, v[14:15]
	s_add_u32 s18, s18, 8
	s_addc_u32 s19, s19, 0
	v_or_b32_e32 v27, v15, v27
	s_or_b64 s[16:17], vcc, s[16:17]
	v_or_b32_e32 v26, v14, v26
	s_andn2_b64 exec, exec, s[16:17]
	s_cbranch_execnz .LBB2_188
; %bb.189:                              ;   in Loop: Header=BB2_145 Depth=1
	s_or_b64 exec, exec, s[16:17]
.LBB2_190:                              ;   in Loop: Header=BB2_145 Depth=1
	s_or_b64 exec, exec, s[14:15]
	s_mov_b32 s14, 0
                                        ; implicit-def: $vgpr5
.LBB2_191:                              ;   in Loop: Header=BB2_145 Depth=1
	s_or_saveexec_b64 s[4:5], s[4:5]
	v_mov_b32_e32 v14, s14
	s_xor_b64 exec, exec, s[4:5]
	s_cbranch_execz .LBB2_193
; %bb.192:                              ;   in Loop: Header=BB2_145 Depth=1
	flat_load_dwordx2 v[26:27], v[10:11]
	v_add_u32_e32 v14, -8, v5
	v_add_co_u32_e32 v10, vcc, 8, v10
	v_addc_co_u32_e32 v11, vcc, 0, v11, vcc
	s_waitcnt vmcnt(0) lgkmcnt(0)
	v_and_b32_e32 v5, 0xff, v27
	v_and_b32_e32 v15, 0xff00, v27
	;; [unrolled: 1-line block ×4, first 2 shown]
	v_or_b32_e32 v5, v5, v15
	v_or3_b32 v26, v26, 0, 0
	v_or3_b32 v27, v5, v28, v27
.LBB2_193:                              ;   in Loop: Header=BB2_145 Depth=1
	s_or_b64 exec, exec, s[4:5]
	v_cmp_gt_u32_e32 vcc, 8, v14
	s_and_saveexec_b64 s[4:5], vcc
	s_xor_b64 s[4:5], exec, s[4:5]
	s_cbranch_execz .LBB2_199
; %bb.194:                              ;   in Loop: Header=BB2_145 Depth=1
	v_cmp_ne_u32_e32 vcc, 0, v14
	v_pk_mov_b32 v[28:29], 0, 0
	s_and_saveexec_b64 s[14:15], vcc
	s_cbranch_execz .LBB2_198
; %bb.195:                              ;   in Loop: Header=BB2_145 Depth=1
	s_mov_b64 s[16:17], 0
	v_pk_mov_b32 v[28:29], 0, 0
	s_mov_b64 s[18:19], 0
.LBB2_196:                              ;   Parent Loop BB2_145 Depth=1
                                        ; =>  This Inner Loop Header: Depth=2
	flat_load_ubyte v5, v[10:11]
	v_mov_b32_e32 v31, s22
	v_add_co_u32_e32 v10, vcc, 1, v10
	v_add_u32_e32 v14, -1, v14
	v_addc_co_u32_e32 v11, vcc, 0, v11, vcc
	v_cmp_eq_u32_e32 vcc, 0, v14
	s_waitcnt vmcnt(0) lgkmcnt(0)
	v_and_b32_e32 v30, 0xffff, v5
	v_lshlrev_b64 v[30:31], s18, v[30:31]
	s_add_u32 s18, s18, 8
	s_addc_u32 s19, s19, 0
	v_or_b32_e32 v29, v31, v29
	s_or_b64 s[16:17], vcc, s[16:17]
	v_or_b32_e32 v28, v30, v28
	s_andn2_b64 exec, exec, s[16:17]
	s_cbranch_execnz .LBB2_196
; %bb.197:                              ;   in Loop: Header=BB2_145 Depth=1
	s_or_b64 exec, exec, s[16:17]
.LBB2_198:                              ;   in Loop: Header=BB2_145 Depth=1
	s_or_b64 exec, exec, s[14:15]
                                        ; implicit-def: $vgpr10_vgpr11
.LBB2_199:                              ;   in Loop: Header=BB2_145 Depth=1
	s_andn2_saveexec_b64 s[4:5], s[4:5]
	s_cbranch_execz .LBB2_201
; %bb.200:                              ;   in Loop: Header=BB2_145 Depth=1
	flat_load_dwordx2 v[10:11], v[10:11]
	s_waitcnt vmcnt(0) lgkmcnt(0)
	v_and_b32_e32 v5, 0xff, v11
	v_and_b32_e32 v14, 0xff00, v11
	;; [unrolled: 1-line block ×4, first 2 shown]
	v_or_b32_e32 v5, v5, v14
	v_or3_b32 v29, v5, v15, v11
	v_or3_b32 v28, v10, 0, 0
.LBB2_201:                              ;   in Loop: Header=BB2_145 Depth=1
	s_or_b64 exec, exec, s[4:5]
	v_readfirstlane_b32 s4, v53
	v_cmp_eq_u32_e64 s[4:5], s4, v53
	v_pk_mov_b32 v[10:11], 0, 0
	s_and_saveexec_b64 s[14:15], s[4:5]
	s_cbranch_execz .LBB2_207
; %bb.202:                              ;   in Loop: Header=BB2_145 Depth=1
	global_load_dwordx2 v[32:33], v39, s[10:11] offset:24 glc
	s_waitcnt vmcnt(0)
	buffer_invl2
	buffer_wbinvl1_vol
	global_load_dwordx2 v[10:11], v39, s[10:11] offset:40
	global_load_dwordx2 v[14:15], v39, s[10:11]
	s_waitcnt vmcnt(1)
	v_and_b32_e32 v5, v10, v32
	v_and_b32_e32 v10, v11, v33
	v_mul_lo_u32 v10, v10, 24
	v_mul_hi_u32 v11, v5, 24
	v_mul_lo_u32 v5, v5, 24
	v_add_u32_e32 v11, v11, v10
	s_waitcnt vmcnt(0)
	v_add_co_u32_e32 v10, vcc, v14, v5
	v_addc_co_u32_e32 v11, vcc, v15, v11, vcc
	global_load_dwordx2 v[30:31], v[10:11], off glc
	s_waitcnt vmcnt(0)
	global_atomic_cmpswap_x2 v[10:11], v39, v[30:33], s[10:11] offset:24 glc
	s_waitcnt vmcnt(0)
	buffer_invl2
	buffer_wbinvl1_vol
	v_cmp_ne_u64_e32 vcc, v[10:11], v[32:33]
	s_and_saveexec_b64 s[16:17], vcc
	s_cbranch_execz .LBB2_206
; %bb.203:                              ;   in Loop: Header=BB2_145 Depth=1
	s_mov_b64 s[18:19], 0
.LBB2_204:                              ;   Parent Loop BB2_145 Depth=1
                                        ; =>  This Inner Loop Header: Depth=2
	s_sleep 1
	global_load_dwordx2 v[14:15], v39, s[10:11] offset:40
	global_load_dwordx2 v[30:31], v39, s[10:11]
	v_pk_mov_b32 v[32:33], v[10:11], v[10:11] op_sel:[0,1]
	s_waitcnt vmcnt(1)
	v_and_b32_e32 v10, v14, v32
	s_waitcnt vmcnt(0)
	v_mad_u64_u32 v[10:11], s[20:21], v10, 24, v[30:31]
	v_and_b32_e32 v5, v15, v33
	v_mov_b32_e32 v14, v11
	v_mad_u64_u32 v[14:15], s[20:21], v5, 24, v[14:15]
	v_mov_b32_e32 v11, v14
	global_load_dwordx2 v[30:31], v[10:11], off glc
	s_waitcnt vmcnt(0)
	global_atomic_cmpswap_x2 v[10:11], v39, v[30:33], s[10:11] offset:24 glc
	s_waitcnt vmcnt(0)
	buffer_invl2
	buffer_wbinvl1_vol
	v_cmp_eq_u64_e32 vcc, v[10:11], v[32:33]
	s_or_b64 s[18:19], vcc, s[18:19]
	s_andn2_b64 exec, exec, s[18:19]
	s_cbranch_execnz .LBB2_204
; %bb.205:                              ;   in Loop: Header=BB2_145 Depth=1
	s_or_b64 exec, exec, s[18:19]
.LBB2_206:                              ;   in Loop: Header=BB2_145 Depth=1
	s_or_b64 exec, exec, s[16:17]
.LBB2_207:                              ;   in Loop: Header=BB2_145 Depth=1
	s_or_b64 exec, exec, s[14:15]
	global_load_dwordx2 v[14:15], v39, s[10:11] offset:40
	global_load_dwordx4 v[30:33], v39, s[10:11]
	v_readfirstlane_b32 s14, v10
	v_readfirstlane_b32 s15, v11
	s_mov_b64 s[16:17], exec
	s_waitcnt vmcnt(1)
	v_readfirstlane_b32 s18, v14
	v_readfirstlane_b32 s19, v15
	s_and_b64 s[18:19], s[14:15], s[18:19]
	s_mul_i32 s20, s19, 24
	s_mul_hi_u32 s21, s18, 24
	s_mul_i32 s24, s18, 24
	s_add_i32 s20, s21, s20
	v_mov_b32_e32 v5, s20
	s_waitcnt vmcnt(0)
	v_add_co_u32_e32 v50, vcc, s24, v30
	v_addc_co_u32_e32 v51, vcc, v31, v5, vcc
	s_and_saveexec_b64 s[20:21], s[4:5]
	s_cbranch_execz .LBB2_209
; %bb.208:                              ;   in Loop: Header=BB2_145 Depth=1
	v_pk_mov_b32 v[10:11], s[16:17], s[16:17] op_sel:[0,1]
	global_store_dwordx4 v[50:51], v[10:13], off offset:8
.LBB2_209:                              ;   in Loop: Header=BB2_145 Depth=1
	s_or_b64 exec, exec, s[20:21]
	s_lshl_b64 s[16:17], s[18:19], 12
	v_mov_b32_e32 v5, s17
	v_add_co_u32_e32 v32, vcc, s16, v32
	v_addc_co_u32_e32 v5, vcc, v33, v5, vcc
	v_or_b32_e32 v10, 0, v9
	v_cmp_lt_u64_e32 vcc, 56, v[0:1]
	v_or_b32_e32 v11, v8, v36
	v_cndmask_b32_e32 v15, v10, v9, vcc
	v_lshl_add_u32 v9, v48, 2, 28
	v_cndmask_b32_e32 v8, v11, v8, vcc
	v_and_b32_e32 v9, 0x1e0, v9
	v_and_or_b32 v14, v8, s23, v9
	v_readfirstlane_b32 s16, v32
	v_readfirstlane_b32 s17, v5
	s_nop 4
	global_store_dwordx4 v52, v[14:17], s[16:17]
	global_store_dwordx4 v52, v[18:21], s[16:17] offset:16
	global_store_dwordx4 v52, v[22:25], s[16:17] offset:32
	;; [unrolled: 1-line block ×3, first 2 shown]
	s_and_saveexec_b64 s[16:17], s[4:5]
	s_cbranch_execz .LBB2_217
; %bb.210:                              ;   in Loop: Header=BB2_145 Depth=1
	global_load_dwordx2 v[18:19], v39, s[10:11] offset:32 glc
	global_load_dwordx2 v[8:9], v39, s[10:11] offset:40
	v_mov_b32_e32 v16, s14
	v_mov_b32_e32 v17, s15
	s_waitcnt vmcnt(0)
	v_readfirstlane_b32 s18, v8
	v_readfirstlane_b32 s19, v9
	s_and_b64 s[18:19], s[18:19], s[14:15]
	s_mul_i32 s19, s19, 24
	s_mul_hi_u32 s20, s18, 24
	s_mul_i32 s18, s18, 24
	s_add_i32 s19, s20, s19
	v_mov_b32_e32 v8, s19
	v_add_co_u32_e32 v14, vcc, s18, v30
	v_addc_co_u32_e32 v15, vcc, v31, v8, vcc
	global_store_dwordx2 v[14:15], v[18:19], off
	buffer_wbl2
	s_waitcnt vmcnt(0)
	global_atomic_cmpswap_x2 v[10:11], v39, v[16:19], s[10:11] offset:32 glc
	s_waitcnt vmcnt(0)
	v_cmp_ne_u64_e32 vcc, v[10:11], v[18:19]
	s_and_saveexec_b64 s[18:19], vcc
	s_cbranch_execz .LBB2_213
; %bb.211:                              ;   in Loop: Header=BB2_145 Depth=1
	s_mov_b64 s[20:21], 0
.LBB2_212:                              ;   Parent Loop BB2_145 Depth=1
                                        ; =>  This Inner Loop Header: Depth=2
	s_sleep 1
	global_store_dwordx2 v[14:15], v[10:11], off
	v_mov_b32_e32 v8, s14
	v_mov_b32_e32 v9, s15
	buffer_wbl2
	s_waitcnt vmcnt(0)
	global_atomic_cmpswap_x2 v[8:9], v39, v[8:11], s[10:11] offset:32 glc
	s_waitcnt vmcnt(0)
	v_cmp_eq_u64_e32 vcc, v[8:9], v[10:11]
	s_or_b64 s[20:21], vcc, s[20:21]
	v_pk_mov_b32 v[10:11], v[8:9], v[8:9] op_sel:[0,1]
	s_andn2_b64 exec, exec, s[20:21]
	s_cbranch_execnz .LBB2_212
.LBB2_213:                              ;   in Loop: Header=BB2_145 Depth=1
	s_or_b64 exec, exec, s[18:19]
	global_load_dwordx2 v[8:9], v39, s[10:11] offset:16
	s_mov_b64 s[20:21], exec
	v_mbcnt_lo_u32_b32 v10, s20, 0
	v_mbcnt_hi_u32_b32 v10, s21, v10
	v_cmp_eq_u32_e32 vcc, 0, v10
	s_and_saveexec_b64 s[18:19], vcc
	s_cbranch_execz .LBB2_215
; %bb.214:                              ;   in Loop: Header=BB2_145 Depth=1
	s_bcnt1_i32_b64 s20, s[20:21]
	v_mov_b32_e32 v38, s20
	buffer_wbl2
	s_waitcnt vmcnt(0)
	global_atomic_add_x2 v[8:9], v[38:39], off offset:8
.LBB2_215:                              ;   in Loop: Header=BB2_145 Depth=1
	s_or_b64 exec, exec, s[18:19]
	s_waitcnt vmcnt(0)
	global_load_dwordx2 v[10:11], v[8:9], off offset:16
	s_waitcnt vmcnt(0)
	v_cmp_eq_u64_e32 vcc, 0, v[10:11]
	s_cbranch_vccnz .LBB2_217
; %bb.216:                              ;   in Loop: Header=BB2_145 Depth=1
	global_load_dword v38, v[8:9], off offset:24
	s_waitcnt vmcnt(0)
	v_and_b32_e32 v8, 0xffffff, v38
	v_readfirstlane_b32 m0, v8
	buffer_wbl2
	global_store_dwordx2 v[10:11], v[38:39], off
	s_sendmsg sendmsg(MSG_INTERRUPT)
.LBB2_217:                              ;   in Loop: Header=BB2_145 Depth=1
	s_or_b64 exec, exec, s[16:17]
	v_add_co_u32_e32 v8, vcc, v32, v52
	v_addc_co_u32_e32 v9, vcc, 0, v5, vcc
	s_branch .LBB2_221
.LBB2_218:                              ;   in Loop: Header=BB2_221 Depth=2
	s_or_b64 exec, exec, s[16:17]
	v_readfirstlane_b32 s16, v5
	s_cmp_eq_u32 s16, 0
	s_cbranch_scc1 .LBB2_220
; %bb.219:                              ;   in Loop: Header=BB2_221 Depth=2
	s_sleep 1
	s_cbranch_execnz .LBB2_221
	s_branch .LBB2_223
.LBB2_220:                              ;   in Loop: Header=BB2_145 Depth=1
	s_branch .LBB2_223
.LBB2_221:                              ;   Parent Loop BB2_145 Depth=1
                                        ; =>  This Inner Loop Header: Depth=2
	v_mov_b32_e32 v5, 1
	s_and_saveexec_b64 s[16:17], s[4:5]
	s_cbranch_execz .LBB2_218
; %bb.222:                              ;   in Loop: Header=BB2_221 Depth=2
	global_load_dword v5, v[50:51], off offset:20 glc
	s_waitcnt vmcnt(0)
	buffer_invl2
	buffer_wbinvl1_vol
	v_and_b32_e32 v5, 1, v5
	s_branch .LBB2_218
.LBB2_223:                              ;   in Loop: Header=BB2_145 Depth=1
	global_load_dwordx4 v[8:11], v[8:9], off
	s_and_saveexec_b64 s[16:17], s[4:5]
	s_cbranch_execz .LBB2_144
; %bb.224:                              ;   in Loop: Header=BB2_145 Depth=1
	global_load_dwordx2 v[10:11], v39, s[10:11] offset:40
	global_load_dwordx2 v[18:19], v39, s[10:11] offset:24 glc
	global_load_dwordx2 v[20:21], v39, s[10:11]
	v_mov_b32_e32 v5, s15
	s_waitcnt vmcnt(2)
	v_add_co_u32_e32 v17, vcc, 1, v10
	v_addc_co_u32_e32 v22, vcc, 0, v11, vcc
	v_add_co_u32_e32 v14, vcc, s14, v17
	v_addc_co_u32_e32 v15, vcc, v22, v5, vcc
	v_cmp_eq_u64_e32 vcc, 0, v[14:15]
	v_cndmask_b32_e32 v15, v15, v22, vcc
	v_cndmask_b32_e32 v14, v14, v17, vcc
	v_and_b32_e32 v5, v15, v11
	v_and_b32_e32 v10, v14, v10
	v_mul_lo_u32 v5, v5, 24
	v_mul_hi_u32 v11, v10, 24
	v_mul_lo_u32 v10, v10, 24
	v_add_u32_e32 v5, v11, v5
	s_waitcnt vmcnt(0)
	v_add_co_u32_e32 v10, vcc, v20, v10
	v_addc_co_u32_e32 v11, vcc, v21, v5, vcc
	v_mov_b32_e32 v16, v18
	global_store_dwordx2 v[10:11], v[18:19], off
	v_mov_b32_e32 v17, v19
	buffer_wbl2
	s_waitcnt vmcnt(0)
	global_atomic_cmpswap_x2 v[16:17], v39, v[14:17], s[10:11] offset:24 glc
	s_waitcnt vmcnt(0)
	v_cmp_ne_u64_e32 vcc, v[16:17], v[18:19]
	s_and_b64 exec, exec, vcc
	s_cbranch_execz .LBB2_144
; %bb.225:                              ;   in Loop: Header=BB2_145 Depth=1
	s_mov_b64 s[4:5], 0
.LBB2_226:                              ;   Parent Loop BB2_145 Depth=1
                                        ; =>  This Inner Loop Header: Depth=2
	s_sleep 1
	global_store_dwordx2 v[10:11], v[16:17], off
	buffer_wbl2
	s_waitcnt vmcnt(0)
	global_atomic_cmpswap_x2 v[18:19], v39, v[14:17], s[10:11] offset:24 glc
	s_waitcnt vmcnt(0)
	v_cmp_eq_u64_e32 vcc, v[18:19], v[16:17]
	s_or_b64 s[4:5], vcc, s[4:5]
	v_pk_mov_b32 v[16:17], v[18:19], v[18:19] op_sel:[0,1]
	s_andn2_b64 exec, exec, s[4:5]
	s_cbranch_execnz .LBB2_226
	s_branch .LBB2_144
.LBB2_227:
	s_or_b64 exec, exec, s[6:7]
.LBB2_228:
	s_andn2_saveexec_b64 s[6:7], s[12:13]
	s_cbranch_execz .LBB2_255
; %bb.229:
	v_readfirstlane_b32 s4, v53
	v_cmp_eq_u32_e64 s[4:5], s4, v53
	v_pk_mov_b32 v[12:13], 0, 0
	s_and_saveexec_b64 s[12:13], s[4:5]
	s_cbranch_execz .LBB2_235
; %bb.230:
	v_mov_b32_e32 v0, 0
	global_load_dwordx2 v[14:15], v0, s[10:11] offset:24 glc
	s_waitcnt vmcnt(0)
	buffer_invl2
	buffer_wbinvl1_vol
	global_load_dwordx2 v[2:3], v0, s[10:11] offset:40
	global_load_dwordx2 v[10:11], v0, s[10:11]
	s_waitcnt vmcnt(1)
	v_and_b32_e32 v1, v2, v14
	v_and_b32_e32 v2, v3, v15
	v_mul_lo_u32 v2, v2, 24
	v_mul_hi_u32 v3, v1, 24
	v_mul_lo_u32 v1, v1, 24
	v_add_u32_e32 v3, v3, v2
	s_waitcnt vmcnt(0)
	v_add_co_u32_e32 v2, vcc, v10, v1
	v_addc_co_u32_e32 v3, vcc, v11, v3, vcc
	global_load_dwordx2 v[12:13], v[2:3], off glc
	s_waitcnt vmcnt(0)
	global_atomic_cmpswap_x2 v[12:13], v0, v[12:15], s[10:11] offset:24 glc
	s_waitcnt vmcnt(0)
	buffer_invl2
	buffer_wbinvl1_vol
	v_cmp_ne_u64_e32 vcc, v[12:13], v[14:15]
	s_and_saveexec_b64 s[14:15], vcc
	s_cbranch_execz .LBB2_234
; %bb.231:
	s_mov_b64 s[16:17], 0
.LBB2_232:                              ; =>This Inner Loop Header: Depth=1
	s_sleep 1
	global_load_dwordx2 v[2:3], v0, s[10:11] offset:40
	global_load_dwordx2 v[10:11], v0, s[10:11]
	v_pk_mov_b32 v[14:15], v[12:13], v[12:13] op_sel:[0,1]
	s_waitcnt vmcnt(1)
	v_and_b32_e32 v2, v2, v14
	v_and_b32_e32 v1, v3, v15
	s_waitcnt vmcnt(0)
	v_mad_u64_u32 v[2:3], s[18:19], v2, 24, v[10:11]
	v_mov_b32_e32 v10, v3
	v_mad_u64_u32 v[10:11], s[18:19], v1, 24, v[10:11]
	v_mov_b32_e32 v3, v10
	global_load_dwordx2 v[12:13], v[2:3], off glc
	s_waitcnt vmcnt(0)
	global_atomic_cmpswap_x2 v[12:13], v0, v[12:15], s[10:11] offset:24 glc
	s_waitcnt vmcnt(0)
	buffer_invl2
	buffer_wbinvl1_vol
	v_cmp_eq_u64_e32 vcc, v[12:13], v[14:15]
	s_or_b64 s[16:17], vcc, s[16:17]
	s_andn2_b64 exec, exec, s[16:17]
	s_cbranch_execnz .LBB2_232
; %bb.233:
	s_or_b64 exec, exec, s[16:17]
.LBB2_234:
	s_or_b64 exec, exec, s[14:15]
.LBB2_235:
	s_or_b64 exec, exec, s[12:13]
	s_waitcnt vmcnt(0)
	v_mov_b32_e32 v10, 0
	global_load_dwordx2 v[14:15], v10, s[10:11] offset:40
	global_load_dwordx4 v[0:3], v10, s[10:11]
	v_readfirstlane_b32 s12, v12
	v_readfirstlane_b32 s13, v13
	s_mov_b64 s[14:15], exec
	s_waitcnt vmcnt(1)
	v_readfirstlane_b32 s16, v14
	v_readfirstlane_b32 s17, v15
	s_and_b64 s[16:17], s[12:13], s[16:17]
	s_mul_i32 s18, s17, 24
	s_mul_hi_u32 s19, s16, 24
	s_mul_i32 s20, s16, 24
	s_add_i32 s18, s19, s18
	v_mov_b32_e32 v5, s18
	s_waitcnt vmcnt(0)
	v_add_co_u32_e32 v12, vcc, s20, v0
	v_addc_co_u32_e32 v13, vcc, v1, v5, vcc
	s_and_saveexec_b64 s[18:19], s[4:5]
	s_cbranch_execz .LBB2_237
; %bb.236:
	v_pk_mov_b32 v[14:15], s[14:15], s[14:15] op_sel:[0,1]
	v_mov_b32_e32 v16, 2
	v_mov_b32_e32 v17, 1
	global_store_dwordx4 v[12:13], v[14:17], off offset:8
.LBB2_237:
	s_or_b64 exec, exec, s[18:19]
	s_lshl_b64 s[14:15], s[16:17], 12
	v_mov_b32_e32 v5, s15
	v_add_co_u32_e32 v2, vcc, s14, v2
	v_addc_co_u32_e32 v3, vcc, v3, v5, vcc
	s_movk_i32 s14, 0xff1f
	s_mov_b32 s16, 0
	v_and_or_b32 v8, v8, s14, 32
	v_mov_b32_e32 v11, v10
	v_readfirstlane_b32 s14, v2
	v_readfirstlane_b32 s15, v3
	s_mov_b32 s17, s16
	v_add_co_u32_e32 v14, vcc, v2, v52
	s_mov_b32 s18, s16
	s_mov_b32 s19, s16
	s_nop 0
	global_store_dwordx4 v52, v[8:11], s[14:15]
	v_addc_co_u32_e32 v15, vcc, 0, v3, vcc
	v_pk_mov_b32 v[8:9], s[16:17], s[16:17] op_sel:[0,1]
	v_pk_mov_b32 v[10:11], s[18:19], s[18:19] op_sel:[0,1]
	global_store_dwordx4 v52, v[8:11], s[14:15] offset:16
	global_store_dwordx4 v52, v[8:11], s[14:15] offset:32
	;; [unrolled: 1-line block ×3, first 2 shown]
	s_and_saveexec_b64 s[14:15], s[4:5]
	s_cbranch_execz .LBB2_245
; %bb.238:
	v_mov_b32_e32 v5, 0
	global_load_dwordx2 v[18:19], v5, s[10:11] offset:32 glc
	global_load_dwordx2 v[2:3], v5, s[10:11] offset:40
	v_mov_b32_e32 v16, s12
	v_mov_b32_e32 v17, s13
	s_waitcnt vmcnt(0)
	v_readfirstlane_b32 s16, v2
	v_readfirstlane_b32 s17, v3
	s_and_b64 s[16:17], s[16:17], s[12:13]
	s_mul_i32 s17, s17, 24
	s_mul_hi_u32 s18, s16, 24
	s_mul_i32 s16, s16, 24
	s_add_i32 s17, s18, s17
	v_mov_b32_e32 v2, s17
	v_add_co_u32_e32 v8, vcc, s16, v0
	v_addc_co_u32_e32 v9, vcc, v1, v2, vcc
	global_store_dwordx2 v[8:9], v[18:19], off
	buffer_wbl2
	s_waitcnt vmcnt(0)
	global_atomic_cmpswap_x2 v[2:3], v5, v[16:19], s[10:11] offset:32 glc
	s_waitcnt vmcnt(0)
	v_cmp_ne_u64_e32 vcc, v[2:3], v[18:19]
	s_and_saveexec_b64 s[16:17], vcc
	s_cbranch_execz .LBB2_241
; %bb.239:
	s_mov_b64 s[18:19], 0
.LBB2_240:                              ; =>This Inner Loop Header: Depth=1
	s_sleep 1
	global_store_dwordx2 v[8:9], v[2:3], off
	v_mov_b32_e32 v0, s12
	v_mov_b32_e32 v1, s13
	buffer_wbl2
	s_waitcnt vmcnt(0)
	global_atomic_cmpswap_x2 v[0:1], v5, v[0:3], s[10:11] offset:32 glc
	s_waitcnt vmcnt(0)
	v_cmp_eq_u64_e32 vcc, v[0:1], v[2:3]
	s_or_b64 s[18:19], vcc, s[18:19]
	v_pk_mov_b32 v[2:3], v[0:1], v[0:1] op_sel:[0,1]
	s_andn2_b64 exec, exec, s[18:19]
	s_cbranch_execnz .LBB2_240
.LBB2_241:
	s_or_b64 exec, exec, s[16:17]
	v_mov_b32_e32 v3, 0
	global_load_dwordx2 v[0:1], v3, s[10:11] offset:16
	s_mov_b64 s[16:17], exec
	v_mbcnt_lo_u32_b32 v2, s16, 0
	v_mbcnt_hi_u32_b32 v2, s17, v2
	v_cmp_eq_u32_e32 vcc, 0, v2
	s_and_saveexec_b64 s[18:19], vcc
	s_cbranch_execz .LBB2_243
; %bb.242:
	s_bcnt1_i32_b64 s16, s[16:17]
	v_mov_b32_e32 v2, s16
	buffer_wbl2
	s_waitcnt vmcnt(0)
	global_atomic_add_x2 v[0:1], v[2:3], off offset:8
.LBB2_243:
	s_or_b64 exec, exec, s[18:19]
	s_waitcnt vmcnt(0)
	global_load_dwordx2 v[2:3], v[0:1], off offset:16
	s_waitcnt vmcnt(0)
	v_cmp_eq_u64_e32 vcc, 0, v[2:3]
	s_cbranch_vccnz .LBB2_245
; %bb.244:
	global_load_dword v0, v[0:1], off offset:24
	v_mov_b32_e32 v1, 0
	buffer_wbl2
	s_waitcnt vmcnt(0)
	global_store_dwordx2 v[2:3], v[0:1], off
	v_and_b32_e32 v0, 0xffffff, v0
	v_readfirstlane_b32 m0, v0
	s_sendmsg sendmsg(MSG_INTERRUPT)
.LBB2_245:
	s_or_b64 exec, exec, s[14:15]
	s_branch .LBB2_249
.LBB2_246:                              ;   in Loop: Header=BB2_249 Depth=1
	s_or_b64 exec, exec, s[14:15]
	v_readfirstlane_b32 s14, v0
	s_cmp_eq_u32 s14, 0
	s_cbranch_scc1 .LBB2_248
; %bb.247:                              ;   in Loop: Header=BB2_249 Depth=1
	s_sleep 1
	s_cbranch_execnz .LBB2_249
	s_branch .LBB2_251
.LBB2_248:
	s_branch .LBB2_251
.LBB2_249:                              ; =>This Inner Loop Header: Depth=1
	v_mov_b32_e32 v0, 1
	s_and_saveexec_b64 s[14:15], s[4:5]
	s_cbranch_execz .LBB2_246
; %bb.250:                              ;   in Loop: Header=BB2_249 Depth=1
	global_load_dword v0, v[12:13], off offset:20 glc
	s_waitcnt vmcnt(0)
	buffer_invl2
	buffer_wbinvl1_vol
	v_and_b32_e32 v0, 1, v0
	s_branch .LBB2_246
.LBB2_251:
	global_load_dwordx2 v[8:9], v[14:15], off
	s_and_saveexec_b64 s[14:15], s[4:5]
	s_cbranch_execz .LBB2_254
; %bb.252:
	v_mov_b32_e32 v5, 0
	global_load_dwordx2 v[10:11], v5, s[10:11] offset:40
	global_load_dwordx2 v[12:13], v5, s[10:11] offset:24 glc
	global_load_dwordx2 v[14:15], v5, s[10:11]
	v_mov_b32_e32 v1, s13
	s_mov_b64 s[4:5], 0
	s_waitcnt vmcnt(2)
	v_add_co_u32_e32 v3, vcc, 1, v10
	v_addc_co_u32_e32 v16, vcc, 0, v11, vcc
	v_add_co_u32_e32 v0, vcc, s12, v3
	v_addc_co_u32_e32 v1, vcc, v16, v1, vcc
	v_cmp_eq_u64_e32 vcc, 0, v[0:1]
	v_cndmask_b32_e32 v1, v1, v16, vcc
	v_cndmask_b32_e32 v0, v0, v3, vcc
	v_and_b32_e32 v3, v1, v11
	v_and_b32_e32 v10, v0, v10
	v_mul_lo_u32 v3, v3, 24
	v_mul_hi_u32 v11, v10, 24
	v_mul_lo_u32 v10, v10, 24
	v_add_u32_e32 v3, v11, v3
	s_waitcnt vmcnt(0)
	v_add_co_u32_e32 v10, vcc, v14, v10
	v_addc_co_u32_e32 v11, vcc, v15, v3, vcc
	v_mov_b32_e32 v2, v12
	global_store_dwordx2 v[10:11], v[12:13], off
	v_mov_b32_e32 v3, v13
	buffer_wbl2
	s_waitcnt vmcnt(0)
	global_atomic_cmpswap_x2 v[2:3], v5, v[0:3], s[10:11] offset:24 glc
	s_waitcnt vmcnt(0)
	v_cmp_ne_u64_e32 vcc, v[2:3], v[12:13]
	s_and_b64 exec, exec, vcc
	s_cbranch_execz .LBB2_254
.LBB2_253:                              ; =>This Inner Loop Header: Depth=1
	s_sleep 1
	global_store_dwordx2 v[10:11], v[2:3], off
	buffer_wbl2
	s_waitcnt vmcnt(0)
	global_atomic_cmpswap_x2 v[12:13], v5, v[0:3], s[10:11] offset:24 glc
	s_waitcnt vmcnt(0)
	v_cmp_eq_u64_e32 vcc, v[12:13], v[2:3]
	s_or_b64 s[4:5], vcc, s[4:5]
	v_pk_mov_b32 v[2:3], v[12:13], v[12:13] op_sel:[0,1]
	s_andn2_b64 exec, exec, s[4:5]
	s_cbranch_execnz .LBB2_253
.LBB2_254:
	s_or_b64 exec, exec, s[14:15]
.LBB2_255:
	s_or_b64 exec, exec, s[6:7]
	v_readfirstlane_b32 s4, v53
	v_cmp_eq_u32_e64 s[4:5], s4, v53
	v_pk_mov_b32 v[12:13], 0, 0
	s_and_saveexec_b64 s[6:7], s[4:5]
	s_cbranch_execz .LBB2_261
; %bb.256:
	v_mov_b32_e32 v0, 0
	global_load_dwordx2 v[14:15], v0, s[10:11] offset:24 glc
	s_waitcnt vmcnt(0)
	buffer_invl2
	buffer_wbinvl1_vol
	global_load_dwordx2 v[2:3], v0, s[10:11] offset:40
	global_load_dwordx2 v[10:11], v0, s[10:11]
	s_waitcnt vmcnt(1)
	v_and_b32_e32 v1, v2, v14
	v_and_b32_e32 v2, v3, v15
	v_mul_lo_u32 v2, v2, 24
	v_mul_hi_u32 v3, v1, 24
	v_mul_lo_u32 v1, v1, 24
	v_add_u32_e32 v3, v3, v2
	s_waitcnt vmcnt(0)
	v_add_co_u32_e32 v2, vcc, v10, v1
	v_addc_co_u32_e32 v3, vcc, v11, v3, vcc
	global_load_dwordx2 v[12:13], v[2:3], off glc
	s_waitcnt vmcnt(0)
	global_atomic_cmpswap_x2 v[12:13], v0, v[12:15], s[10:11] offset:24 glc
	s_waitcnt vmcnt(0)
	buffer_invl2
	buffer_wbinvl1_vol
	v_cmp_ne_u64_e32 vcc, v[12:13], v[14:15]
	s_and_saveexec_b64 s[12:13], vcc
	s_cbranch_execz .LBB2_260
; %bb.257:
	s_mov_b64 s[14:15], 0
.LBB2_258:                              ; =>This Inner Loop Header: Depth=1
	s_sleep 1
	global_load_dwordx2 v[2:3], v0, s[10:11] offset:40
	global_load_dwordx2 v[10:11], v0, s[10:11]
	v_pk_mov_b32 v[14:15], v[12:13], v[12:13] op_sel:[0,1]
	s_waitcnt vmcnt(1)
	v_and_b32_e32 v2, v2, v14
	v_and_b32_e32 v1, v3, v15
	s_waitcnt vmcnt(0)
	v_mad_u64_u32 v[2:3], s[16:17], v2, 24, v[10:11]
	v_mov_b32_e32 v10, v3
	v_mad_u64_u32 v[10:11], s[16:17], v1, 24, v[10:11]
	v_mov_b32_e32 v3, v10
	global_load_dwordx2 v[12:13], v[2:3], off glc
	s_waitcnt vmcnt(0)
	global_atomic_cmpswap_x2 v[12:13], v0, v[12:15], s[10:11] offset:24 glc
	s_waitcnt vmcnt(0)
	buffer_invl2
	buffer_wbinvl1_vol
	v_cmp_eq_u64_e32 vcc, v[12:13], v[14:15]
	s_or_b64 s[14:15], vcc, s[14:15]
	s_andn2_b64 exec, exec, s[14:15]
	s_cbranch_execnz .LBB2_258
; %bb.259:
	s_or_b64 exec, exec, s[14:15]
.LBB2_260:
	s_or_b64 exec, exec, s[12:13]
.LBB2_261:
	s_or_b64 exec, exec, s[6:7]
	s_waitcnt vmcnt(0)
	v_mov_b32_e32 v11, 0
	global_load_dwordx2 v[14:15], v11, s[10:11] offset:40
	global_load_dwordx4 v[0:3], v11, s[10:11]
	v_readfirstlane_b32 s6, v12
	v_readfirstlane_b32 s7, v13
	s_mov_b64 s[12:13], exec
	s_waitcnt vmcnt(1)
	v_readfirstlane_b32 s14, v14
	v_readfirstlane_b32 s15, v15
	s_and_b64 s[14:15], s[6:7], s[14:15]
	s_mul_i32 s16, s15, 24
	s_mul_hi_u32 s17, s14, 24
	s_mul_i32 s18, s14, 24
	s_add_i32 s16, s17, s16
	v_mov_b32_e32 v5, s16
	s_waitcnt vmcnt(0)
	v_add_co_u32_e32 v12, vcc, s18, v0
	v_addc_co_u32_e32 v13, vcc, v1, v5, vcc
	s_and_saveexec_b64 s[16:17], s[4:5]
	s_cbranch_execz .LBB2_263
; %bb.262:
	v_pk_mov_b32 v[14:15], s[12:13], s[12:13] op_sel:[0,1]
	v_mov_b32_e32 v16, 2
	v_mov_b32_e32 v17, 1
	global_store_dwordx4 v[12:13], v[14:17], off offset:8
.LBB2_263:
	s_or_b64 exec, exec, s[16:17]
	s_lshl_b64 s[12:13], s[14:15], 12
	v_mov_b32_e32 v5, s13
	v_add_co_u32_e32 v2, vcc, s12, v2
	v_addc_co_u32_e32 v3, vcc, v3, v5, vcc
	s_mov_b32 s12, 0
	s_movk_i32 s13, 0xff1f
	v_and_or_b32 v8, v8, s13, 32
	v_add_co_u32_e32 v14, vcc, v2, v52
	s_mov_b32 s13, s12
	v_addc_co_u32_e32 v15, vcc, 0, v3, vcc
	v_mov_b32_e32 v10, v4
	v_readfirstlane_b32 s16, v2
	v_readfirstlane_b32 s17, v3
	s_mov_b32 s14, s12
	s_mov_b32 s15, s12
	v_pk_mov_b32 v[2:3], s[12:13], s[12:13] op_sel:[0,1]
	v_pk_mov_b32 v[4:5], s[14:15], s[14:15] op_sel:[0,1]
	s_nop 0
	global_store_dwordx4 v52, v[8:11], s[16:17]
	global_store_dwordx4 v52, v[2:5], s[16:17] offset:16
	global_store_dwordx4 v52, v[2:5], s[16:17] offset:32
	;; [unrolled: 1-line block ×3, first 2 shown]
	s_and_saveexec_b64 s[12:13], s[4:5]
	s_cbranch_execz .LBB2_271
; %bb.264:
	v_mov_b32_e32 v8, 0
	global_load_dwordx2 v[18:19], v8, s[10:11] offset:32 glc
	global_load_dwordx2 v[2:3], v8, s[10:11] offset:40
	v_mov_b32_e32 v16, s6
	v_mov_b32_e32 v17, s7
	s_waitcnt vmcnt(0)
	v_readfirstlane_b32 s14, v2
	v_readfirstlane_b32 s15, v3
	s_and_b64 s[14:15], s[14:15], s[6:7]
	s_mul_i32 s15, s15, 24
	s_mul_hi_u32 s16, s14, 24
	s_mul_i32 s14, s14, 24
	s_add_i32 s15, s16, s15
	v_mov_b32_e32 v2, s15
	v_add_co_u32_e32 v4, vcc, s14, v0
	v_addc_co_u32_e32 v5, vcc, v1, v2, vcc
	global_store_dwordx2 v[4:5], v[18:19], off
	buffer_wbl2
	s_waitcnt vmcnt(0)
	global_atomic_cmpswap_x2 v[2:3], v8, v[16:19], s[10:11] offset:32 glc
	s_waitcnt vmcnt(0)
	v_cmp_ne_u64_e32 vcc, v[2:3], v[18:19]
	s_and_saveexec_b64 s[14:15], vcc
	s_cbranch_execz .LBB2_267
; %bb.265:
	s_mov_b64 s[16:17], 0
.LBB2_266:                              ; =>This Inner Loop Header: Depth=1
	s_sleep 1
	global_store_dwordx2 v[4:5], v[2:3], off
	v_mov_b32_e32 v0, s6
	v_mov_b32_e32 v1, s7
	buffer_wbl2
	s_waitcnt vmcnt(0)
	global_atomic_cmpswap_x2 v[0:1], v8, v[0:3], s[10:11] offset:32 glc
	s_waitcnt vmcnt(0)
	v_cmp_eq_u64_e32 vcc, v[0:1], v[2:3]
	s_or_b64 s[16:17], vcc, s[16:17]
	v_pk_mov_b32 v[2:3], v[0:1], v[0:1] op_sel:[0,1]
	s_andn2_b64 exec, exec, s[16:17]
	s_cbranch_execnz .LBB2_266
.LBB2_267:
	s_or_b64 exec, exec, s[14:15]
	v_mov_b32_e32 v3, 0
	global_load_dwordx2 v[0:1], v3, s[10:11] offset:16
	s_mov_b64 s[14:15], exec
	v_mbcnt_lo_u32_b32 v2, s14, 0
	v_mbcnt_hi_u32_b32 v2, s15, v2
	v_cmp_eq_u32_e32 vcc, 0, v2
	s_and_saveexec_b64 s[16:17], vcc
	s_cbranch_execz .LBB2_269
; %bb.268:
	s_bcnt1_i32_b64 s14, s[14:15]
	v_mov_b32_e32 v2, s14
	buffer_wbl2
	s_waitcnt vmcnt(0)
	global_atomic_add_x2 v[0:1], v[2:3], off offset:8
.LBB2_269:
	s_or_b64 exec, exec, s[16:17]
	s_waitcnt vmcnt(0)
	global_load_dwordx2 v[2:3], v[0:1], off offset:16
	s_waitcnt vmcnt(0)
	v_cmp_eq_u64_e32 vcc, 0, v[2:3]
	s_cbranch_vccnz .LBB2_271
; %bb.270:
	global_load_dword v0, v[0:1], off offset:24
	v_mov_b32_e32 v1, 0
	buffer_wbl2
	s_waitcnt vmcnt(0)
	global_store_dwordx2 v[2:3], v[0:1], off
	v_and_b32_e32 v0, 0xffffff, v0
	v_readfirstlane_b32 m0, v0
	s_sendmsg sendmsg(MSG_INTERRUPT)
.LBB2_271:
	s_or_b64 exec, exec, s[12:13]
	s_branch .LBB2_275
.LBB2_272:                              ;   in Loop: Header=BB2_275 Depth=1
	s_or_b64 exec, exec, s[12:13]
	v_readfirstlane_b32 s12, v0
	s_cmp_eq_u32 s12, 0
	s_cbranch_scc1 .LBB2_274
; %bb.273:                              ;   in Loop: Header=BB2_275 Depth=1
	s_sleep 1
	s_cbranch_execnz .LBB2_275
	s_branch .LBB2_277
.LBB2_274:
	s_branch .LBB2_277
.LBB2_275:                              ; =>This Inner Loop Header: Depth=1
	v_mov_b32_e32 v0, 1
	s_and_saveexec_b64 s[12:13], s[4:5]
	s_cbranch_execz .LBB2_272
; %bb.276:                              ;   in Loop: Header=BB2_275 Depth=1
	global_load_dword v0, v[12:13], off offset:20 glc
	s_waitcnt vmcnt(0)
	buffer_invl2
	buffer_wbinvl1_vol
	v_and_b32_e32 v0, 1, v0
	s_branch .LBB2_272
.LBB2_277:
	global_load_dwordx2 v[0:1], v[14:15], off
	s_and_saveexec_b64 s[12:13], s[4:5]
	s_cbranch_execz .LBB2_280
; %bb.278:
	v_mov_b32_e32 v10, 0
	global_load_dwordx2 v[8:9], v10, s[10:11] offset:40
	global_load_dwordx2 v[12:13], v10, s[10:11] offset:24 glc
	global_load_dwordx2 v[14:15], v10, s[10:11]
	v_mov_b32_e32 v3, s7
	s_mov_b64 s[4:5], 0
	s_waitcnt vmcnt(2)
	v_add_co_u32_e32 v5, vcc, 1, v8
	v_addc_co_u32_e32 v11, vcc, 0, v9, vcc
	v_add_co_u32_e32 v2, vcc, s6, v5
	v_addc_co_u32_e32 v3, vcc, v11, v3, vcc
	v_cmp_eq_u64_e32 vcc, 0, v[2:3]
	v_cndmask_b32_e32 v3, v3, v11, vcc
	v_cndmask_b32_e32 v2, v2, v5, vcc
	v_and_b32_e32 v5, v3, v9
	v_and_b32_e32 v8, v2, v8
	v_mul_lo_u32 v5, v5, 24
	v_mul_hi_u32 v9, v8, 24
	v_mul_lo_u32 v8, v8, 24
	v_add_u32_e32 v5, v9, v5
	s_waitcnt vmcnt(0)
	v_add_co_u32_e32 v8, vcc, v14, v8
	v_addc_co_u32_e32 v9, vcc, v15, v5, vcc
	v_mov_b32_e32 v4, v12
	global_store_dwordx2 v[8:9], v[12:13], off
	v_mov_b32_e32 v5, v13
	buffer_wbl2
	s_waitcnt vmcnt(0)
	global_atomic_cmpswap_x2 v[4:5], v10, v[2:5], s[10:11] offset:24 glc
	s_waitcnt vmcnt(0)
	v_cmp_ne_u64_e32 vcc, v[4:5], v[12:13]
	s_and_b64 exec, exec, vcc
	s_cbranch_execz .LBB2_280
.LBB2_279:                              ; =>This Inner Loop Header: Depth=1
	s_sleep 1
	global_store_dwordx2 v[8:9], v[4:5], off
	buffer_wbl2
	s_waitcnt vmcnt(0)
	global_atomic_cmpswap_x2 v[12:13], v10, v[2:5], s[10:11] offset:24 glc
	s_waitcnt vmcnt(0)
	v_cmp_eq_u64_e32 vcc, v[12:13], v[4:5]
	s_or_b64 s[4:5], vcc, s[4:5]
	v_pk_mov_b32 v[4:5], v[12:13], v[12:13] op_sel:[0,1]
	s_andn2_b64 exec, exec, s[4:5]
	s_cbranch_execnz .LBB2_279
.LBB2_280:
	s_or_b64 exec, exec, s[12:13]
	s_mov_b64 s[4:5], 0
	v_pk_mov_b32 v[4:5], v[34:35], v[34:35] op_sel:[0,1]
.LBB2_281:                              ; =>This Inner Loop Header: Depth=1
	flat_load_ubyte v8, v[4:5]
	v_add_co_u32_e32 v2, vcc, 1, v4
	v_addc_co_u32_e32 v3, vcc, 0, v5, vcc
	v_pk_mov_b32 v[4:5], v[2:3], v[2:3] op_sel:[0,1]
	s_waitcnt vmcnt(0) lgkmcnt(0)
	v_cmp_eq_u16_e32 vcc, 0, v8
	s_or_b64 s[4:5], vcc, s[4:5]
	s_andn2_b64 exec, exec, s[4:5]
	s_cbranch_execnz .LBB2_281
; %bb.282:
	s_or_b64 exec, exec, s[4:5]
	s_mov_b64 s[6:7], 0
	v_cmp_ne_u64_e32 vcc, 0, v[34:35]
	s_and_saveexec_b64 s[4:5], vcc
	s_xor_b64 s[12:13], exec, s[4:5]
	s_cbranch_execz .LBB2_368
; %bb.283:
	v_sub_u32_e32 v28, v2, v34
	v_ashrrev_i32_e32 v29, 31, v28
	v_and_b32_e32 v30, 2, v0
	v_mov_b32_e32 v33, 0
	v_and_b32_e32 v0, -3, v0
	s_mov_b32 s22, 0
	s_movk_i32 s23, 0xff1f
	v_mov_b32_e32 v4, 2
	v_mov_b32_e32 v5, 1
	s_branch .LBB2_285
.LBB2_284:                              ;   in Loop: Header=BB2_285 Depth=1
	s_or_b64 exec, exec, s[16:17]
	v_sub_co_u32_e32 v28, vcc, v28, v36
	v_subb_co_u32_e32 v29, vcc, v29, v37, vcc
	v_cmp_eq_u64_e32 vcc, 0, v[28:29]
	s_or_b64 s[6:7], vcc, s[6:7]
	v_add_co_u32_e32 v34, vcc, v34, v36
	v_addc_co_u32_e32 v35, vcc, v35, v37, vcc
	s_andn2_b64 exec, exec, s[6:7]
	s_cbranch_execz .LBB2_367
.LBB2_285:                              ; =>This Loop Header: Depth=1
                                        ;     Child Loop BB2_288 Depth 2
                                        ;     Child Loop BB2_296 Depth 2
	;; [unrolled: 1-line block ×11, first 2 shown]
	v_cmp_gt_u64_e32 vcc, 56, v[28:29]
	v_cndmask_b32_e32 v37, 0, v29, vcc
	v_cndmask_b32_e32 v36, 56, v28, vcc
	v_cmp_gt_u64_e32 vcc, 8, v[28:29]
                                        ; implicit-def: $vgpr10_vgpr11
                                        ; implicit-def: $sgpr14
	s_and_saveexec_b64 s[4:5], vcc
	s_xor_b64 s[4:5], exec, s[4:5]
	s_cbranch_execz .LBB2_291
; %bb.286:                              ;   in Loop: Header=BB2_285 Depth=1
	s_mov_b64 s[16:17], 0
	v_cmp_ne_u64_e32 vcc, 0, v[28:29]
	v_pk_mov_b32 v[10:11], 0, 0
	s_and_saveexec_b64 s[14:15], vcc
	s_cbranch_execz .LBB2_290
; %bb.287:                              ;   in Loop: Header=BB2_285 Depth=1
	s_waitcnt vmcnt(0)
	v_lshlrev_b64 v[2:3], 3, v[36:37]
	v_pk_mov_b32 v[10:11], 0, 0
	v_pk_mov_b32 v[8:9], v[34:35], v[34:35] op_sel:[0,1]
	s_mov_b64 s[18:19], 0
.LBB2_288:                              ;   Parent Loop BB2_285 Depth=1
                                        ; =>  This Inner Loop Header: Depth=2
	flat_load_ubyte v3, v[8:9]
	v_mov_b32_e32 v13, s22
	v_add_co_u32_e32 v8, vcc, 1, v8
	v_addc_co_u32_e32 v9, vcc, 0, v9, vcc
	s_waitcnt vmcnt(0) lgkmcnt(0)
	v_and_b32_e32 v12, 0xffff, v3
	v_lshlrev_b64 v[12:13], s18, v[12:13]
	s_add_u32 s18, s18, 8
	s_addc_u32 s19, s19, 0
	v_cmp_eq_u32_e32 vcc, s18, v2
	v_or_b32_e32 v11, v13, v11
	s_or_b64 s[16:17], vcc, s[16:17]
	v_or_b32_e32 v10, v12, v10
	s_andn2_b64 exec, exec, s[16:17]
	s_cbranch_execnz .LBB2_288
; %bb.289:                              ;   in Loop: Header=BB2_285 Depth=1
	s_or_b64 exec, exec, s[16:17]
.LBB2_290:                              ;   in Loop: Header=BB2_285 Depth=1
	s_or_b64 exec, exec, s[14:15]
	s_mov_b32 s14, 0
.LBB2_291:                              ;   in Loop: Header=BB2_285 Depth=1
	s_or_saveexec_b64 s[4:5], s[4:5]
	v_mov_b32_e32 v8, s14
	s_waitcnt vmcnt(0)
	v_pk_mov_b32 v[2:3], v[34:35], v[34:35] op_sel:[0,1]
	s_xor_b64 exec, exec, s[4:5]
	s_cbranch_execz .LBB2_293
; %bb.292:                              ;   in Loop: Header=BB2_285 Depth=1
	flat_load_dwordx2 v[2:3], v[34:35]
	v_add_u32_e32 v8, -8, v36
	s_waitcnt vmcnt(0) lgkmcnt(0)
	v_and_b32_e32 v9, 0xff, v3
	v_and_b32_e32 v11, 0xff00, v3
	;; [unrolled: 1-line block ×4, first 2 shown]
	v_or3_b32 v10, v2, 0, 0
	v_or_b32_e32 v2, v9, v11
	v_or3_b32 v11, v2, v12, v3
	v_add_co_u32_e32 v2, vcc, 8, v34
	v_addc_co_u32_e32 v3, vcc, 0, v35, vcc
.LBB2_293:                              ;   in Loop: Header=BB2_285 Depth=1
	s_or_b64 exec, exec, s[4:5]
	v_cmp_gt_u32_e32 vcc, 8, v8
                                        ; implicit-def: $vgpr12_vgpr13
                                        ; implicit-def: $sgpr14
	s_and_saveexec_b64 s[4:5], vcc
	s_xor_b64 s[4:5], exec, s[4:5]
	s_cbranch_execz .LBB2_299
; %bb.294:                              ;   in Loop: Header=BB2_285 Depth=1
	v_cmp_ne_u32_e32 vcc, 0, v8
	v_pk_mov_b32 v[12:13], 0, 0
	s_and_saveexec_b64 s[14:15], vcc
	s_cbranch_execz .LBB2_298
; %bb.295:                              ;   in Loop: Header=BB2_285 Depth=1
	s_mov_b64 s[16:17], 0
	v_pk_mov_b32 v[12:13], 0, 0
	s_mov_b64 s[18:19], 0
	s_mov_b64 s[20:21], 0
.LBB2_296:                              ;   Parent Loop BB2_285 Depth=1
                                        ; =>  This Inner Loop Header: Depth=2
	v_mov_b32_e32 v9, s21
	v_add_co_u32_e32 v14, vcc, s20, v2
	v_addc_co_u32_e32 v15, vcc, v3, v9, vcc
	flat_load_ubyte v9, v[14:15]
	s_add_u32 s20, s20, 1
	v_mov_b32_e32 v15, s22
	s_addc_u32 s21, s21, 0
	v_cmp_eq_u32_e32 vcc, s20, v8
	s_waitcnt vmcnt(0) lgkmcnt(0)
	v_and_b32_e32 v14, 0xffff, v9
	v_lshlrev_b64 v[14:15], s18, v[14:15]
	s_add_u32 s18, s18, 8
	s_addc_u32 s19, s19, 0
	v_or_b32_e32 v13, v15, v13
	s_or_b64 s[16:17], vcc, s[16:17]
	v_or_b32_e32 v12, v14, v12
	s_andn2_b64 exec, exec, s[16:17]
	s_cbranch_execnz .LBB2_296
; %bb.297:                              ;   in Loop: Header=BB2_285 Depth=1
	s_or_b64 exec, exec, s[16:17]
.LBB2_298:                              ;   in Loop: Header=BB2_285 Depth=1
	s_or_b64 exec, exec, s[14:15]
	s_mov_b32 s14, 0
                                        ; implicit-def: $vgpr8
.LBB2_299:                              ;   in Loop: Header=BB2_285 Depth=1
	s_or_saveexec_b64 s[4:5], s[4:5]
	v_mov_b32_e32 v9, s14
	s_xor_b64 exec, exec, s[4:5]
	s_cbranch_execz .LBB2_301
; %bb.300:                              ;   in Loop: Header=BB2_285 Depth=1
	flat_load_dwordx2 v[12:13], v[2:3]
	v_add_u32_e32 v9, -8, v8
	v_add_co_u32_e32 v2, vcc, 8, v2
	v_addc_co_u32_e32 v3, vcc, 0, v3, vcc
	s_waitcnt vmcnt(0) lgkmcnt(0)
	v_and_b32_e32 v8, 0xff, v13
	v_and_b32_e32 v14, 0xff00, v13
	;; [unrolled: 1-line block ×4, first 2 shown]
	v_or_b32_e32 v8, v8, v14
	v_or3_b32 v12, v12, 0, 0
	v_or3_b32 v13, v8, v15, v13
.LBB2_301:                              ;   in Loop: Header=BB2_285 Depth=1
	s_or_b64 exec, exec, s[4:5]
	v_cmp_gt_u32_e32 vcc, 8, v9
                                        ; implicit-def: $sgpr14
	s_and_saveexec_b64 s[4:5], vcc
	s_xor_b64 s[4:5], exec, s[4:5]
	s_cbranch_execz .LBB2_307
; %bb.302:                              ;   in Loop: Header=BB2_285 Depth=1
	v_cmp_ne_u32_e32 vcc, 0, v9
	v_pk_mov_b32 v[14:15], 0, 0
	s_and_saveexec_b64 s[14:15], vcc
	s_cbranch_execz .LBB2_306
; %bb.303:                              ;   in Loop: Header=BB2_285 Depth=1
	s_mov_b64 s[16:17], 0
	v_pk_mov_b32 v[14:15], 0, 0
	s_mov_b64 s[18:19], 0
	s_mov_b64 s[20:21], 0
.LBB2_304:                              ;   Parent Loop BB2_285 Depth=1
                                        ; =>  This Inner Loop Header: Depth=2
	v_mov_b32_e32 v8, s21
	v_add_co_u32_e32 v16, vcc, s20, v2
	v_addc_co_u32_e32 v17, vcc, v3, v8, vcc
	flat_load_ubyte v8, v[16:17]
	s_add_u32 s20, s20, 1
	v_mov_b32_e32 v17, s22
	s_addc_u32 s21, s21, 0
	v_cmp_eq_u32_e32 vcc, s20, v9
	s_waitcnt vmcnt(0) lgkmcnt(0)
	v_and_b32_e32 v16, 0xffff, v8
	v_lshlrev_b64 v[16:17], s18, v[16:17]
	s_add_u32 s18, s18, 8
	s_addc_u32 s19, s19, 0
	v_or_b32_e32 v15, v17, v15
	s_or_b64 s[16:17], vcc, s[16:17]
	v_or_b32_e32 v14, v16, v14
	s_andn2_b64 exec, exec, s[16:17]
	s_cbranch_execnz .LBB2_304
; %bb.305:                              ;   in Loop: Header=BB2_285 Depth=1
	s_or_b64 exec, exec, s[16:17]
.LBB2_306:                              ;   in Loop: Header=BB2_285 Depth=1
	s_or_b64 exec, exec, s[14:15]
	s_mov_b32 s14, 0
                                        ; implicit-def: $vgpr9
.LBB2_307:                              ;   in Loop: Header=BB2_285 Depth=1
	s_or_saveexec_b64 s[4:5], s[4:5]
	v_mov_b32_e32 v8, s14
	s_xor_b64 exec, exec, s[4:5]
	s_cbranch_execz .LBB2_309
; %bb.308:                              ;   in Loop: Header=BB2_285 Depth=1
	flat_load_dwordx2 v[14:15], v[2:3]
	v_add_u32_e32 v8, -8, v9
	v_add_co_u32_e32 v2, vcc, 8, v2
	v_addc_co_u32_e32 v3, vcc, 0, v3, vcc
	s_waitcnt vmcnt(0) lgkmcnt(0)
	v_and_b32_e32 v9, 0xff, v15
	v_and_b32_e32 v16, 0xff00, v15
	;; [unrolled: 1-line block ×4, first 2 shown]
	v_or_b32_e32 v9, v9, v16
	v_or3_b32 v14, v14, 0, 0
	v_or3_b32 v15, v9, v17, v15
.LBB2_309:                              ;   in Loop: Header=BB2_285 Depth=1
	s_or_b64 exec, exec, s[4:5]
	v_cmp_gt_u32_e32 vcc, 8, v8
                                        ; implicit-def: $vgpr16_vgpr17
                                        ; implicit-def: $sgpr14
	s_and_saveexec_b64 s[4:5], vcc
	s_xor_b64 s[4:5], exec, s[4:5]
	s_cbranch_execz .LBB2_315
; %bb.310:                              ;   in Loop: Header=BB2_285 Depth=1
	v_cmp_ne_u32_e32 vcc, 0, v8
	v_pk_mov_b32 v[16:17], 0, 0
	s_and_saveexec_b64 s[14:15], vcc
	s_cbranch_execz .LBB2_314
; %bb.311:                              ;   in Loop: Header=BB2_285 Depth=1
	s_mov_b64 s[16:17], 0
	v_pk_mov_b32 v[16:17], 0, 0
	s_mov_b64 s[18:19], 0
	s_mov_b64 s[20:21], 0
.LBB2_312:                              ;   Parent Loop BB2_285 Depth=1
                                        ; =>  This Inner Loop Header: Depth=2
	v_mov_b32_e32 v9, s21
	v_add_co_u32_e32 v18, vcc, s20, v2
	v_addc_co_u32_e32 v19, vcc, v3, v9, vcc
	flat_load_ubyte v9, v[18:19]
	s_add_u32 s20, s20, 1
	v_mov_b32_e32 v19, s22
	s_addc_u32 s21, s21, 0
	v_cmp_eq_u32_e32 vcc, s20, v8
	s_waitcnt vmcnt(0) lgkmcnt(0)
	v_and_b32_e32 v18, 0xffff, v9
	v_lshlrev_b64 v[18:19], s18, v[18:19]
	s_add_u32 s18, s18, 8
	s_addc_u32 s19, s19, 0
	v_or_b32_e32 v17, v19, v17
	s_or_b64 s[16:17], vcc, s[16:17]
	v_or_b32_e32 v16, v18, v16
	s_andn2_b64 exec, exec, s[16:17]
	s_cbranch_execnz .LBB2_312
; %bb.313:                              ;   in Loop: Header=BB2_285 Depth=1
	s_or_b64 exec, exec, s[16:17]
.LBB2_314:                              ;   in Loop: Header=BB2_285 Depth=1
	s_or_b64 exec, exec, s[14:15]
	s_mov_b32 s14, 0
                                        ; implicit-def: $vgpr8
.LBB2_315:                              ;   in Loop: Header=BB2_285 Depth=1
	s_or_saveexec_b64 s[4:5], s[4:5]
	v_mov_b32_e32 v9, s14
	s_xor_b64 exec, exec, s[4:5]
	s_cbranch_execz .LBB2_317
; %bb.316:                              ;   in Loop: Header=BB2_285 Depth=1
	flat_load_dwordx2 v[16:17], v[2:3]
	v_add_u32_e32 v9, -8, v8
	v_add_co_u32_e32 v2, vcc, 8, v2
	v_addc_co_u32_e32 v3, vcc, 0, v3, vcc
	s_waitcnt vmcnt(0) lgkmcnt(0)
	v_and_b32_e32 v8, 0xff, v17
	v_and_b32_e32 v18, 0xff00, v17
	v_and_b32_e32 v19, 0xff0000, v17
	v_and_b32_e32 v17, 0xff000000, v17
	v_or_b32_e32 v8, v8, v18
	v_or3_b32 v16, v16, 0, 0
	v_or3_b32 v17, v8, v19, v17
.LBB2_317:                              ;   in Loop: Header=BB2_285 Depth=1
	s_or_b64 exec, exec, s[4:5]
	v_cmp_gt_u32_e32 vcc, 8, v9
                                        ; implicit-def: $sgpr14
	s_and_saveexec_b64 s[4:5], vcc
	s_xor_b64 s[4:5], exec, s[4:5]
	s_cbranch_execz .LBB2_323
; %bb.318:                              ;   in Loop: Header=BB2_285 Depth=1
	v_cmp_ne_u32_e32 vcc, 0, v9
	v_pk_mov_b32 v[18:19], 0, 0
	s_and_saveexec_b64 s[14:15], vcc
	s_cbranch_execz .LBB2_322
; %bb.319:                              ;   in Loop: Header=BB2_285 Depth=1
	s_mov_b64 s[16:17], 0
	v_pk_mov_b32 v[18:19], 0, 0
	s_mov_b64 s[18:19], 0
	s_mov_b64 s[20:21], 0
.LBB2_320:                              ;   Parent Loop BB2_285 Depth=1
                                        ; =>  This Inner Loop Header: Depth=2
	v_mov_b32_e32 v8, s21
	v_add_co_u32_e32 v20, vcc, s20, v2
	v_addc_co_u32_e32 v21, vcc, v3, v8, vcc
	flat_load_ubyte v8, v[20:21]
	s_add_u32 s20, s20, 1
	v_mov_b32_e32 v21, s22
	s_addc_u32 s21, s21, 0
	v_cmp_eq_u32_e32 vcc, s20, v9
	s_waitcnt vmcnt(0) lgkmcnt(0)
	v_and_b32_e32 v20, 0xffff, v8
	v_lshlrev_b64 v[20:21], s18, v[20:21]
	s_add_u32 s18, s18, 8
	s_addc_u32 s19, s19, 0
	v_or_b32_e32 v19, v21, v19
	s_or_b64 s[16:17], vcc, s[16:17]
	v_or_b32_e32 v18, v20, v18
	s_andn2_b64 exec, exec, s[16:17]
	s_cbranch_execnz .LBB2_320
; %bb.321:                              ;   in Loop: Header=BB2_285 Depth=1
	s_or_b64 exec, exec, s[16:17]
.LBB2_322:                              ;   in Loop: Header=BB2_285 Depth=1
	s_or_b64 exec, exec, s[14:15]
	s_mov_b32 s14, 0
                                        ; implicit-def: $vgpr9
.LBB2_323:                              ;   in Loop: Header=BB2_285 Depth=1
	s_or_saveexec_b64 s[4:5], s[4:5]
	v_mov_b32_e32 v8, s14
	s_xor_b64 exec, exec, s[4:5]
	s_cbranch_execz .LBB2_325
; %bb.324:                              ;   in Loop: Header=BB2_285 Depth=1
	flat_load_dwordx2 v[18:19], v[2:3]
	v_add_u32_e32 v8, -8, v9
	v_add_co_u32_e32 v2, vcc, 8, v2
	v_addc_co_u32_e32 v3, vcc, 0, v3, vcc
	s_waitcnt vmcnt(0) lgkmcnt(0)
	v_and_b32_e32 v9, 0xff, v19
	v_and_b32_e32 v20, 0xff00, v19
	;; [unrolled: 1-line block ×4, first 2 shown]
	v_or_b32_e32 v9, v9, v20
	v_or3_b32 v18, v18, 0, 0
	v_or3_b32 v19, v9, v21, v19
.LBB2_325:                              ;   in Loop: Header=BB2_285 Depth=1
	s_or_b64 exec, exec, s[4:5]
	v_cmp_gt_u32_e32 vcc, 8, v8
                                        ; implicit-def: $vgpr20_vgpr21
                                        ; implicit-def: $sgpr14
	s_and_saveexec_b64 s[4:5], vcc
	s_xor_b64 s[4:5], exec, s[4:5]
	s_cbranch_execz .LBB2_331
; %bb.326:                              ;   in Loop: Header=BB2_285 Depth=1
	v_cmp_ne_u32_e32 vcc, 0, v8
	v_pk_mov_b32 v[20:21], 0, 0
	s_and_saveexec_b64 s[14:15], vcc
	s_cbranch_execz .LBB2_330
; %bb.327:                              ;   in Loop: Header=BB2_285 Depth=1
	s_mov_b64 s[16:17], 0
	v_pk_mov_b32 v[20:21], 0, 0
	s_mov_b64 s[18:19], 0
	s_mov_b64 s[20:21], 0
.LBB2_328:                              ;   Parent Loop BB2_285 Depth=1
                                        ; =>  This Inner Loop Header: Depth=2
	v_mov_b32_e32 v9, s21
	v_add_co_u32_e32 v22, vcc, s20, v2
	v_addc_co_u32_e32 v23, vcc, v3, v9, vcc
	flat_load_ubyte v9, v[22:23]
	s_add_u32 s20, s20, 1
	v_mov_b32_e32 v23, s22
	s_addc_u32 s21, s21, 0
	v_cmp_eq_u32_e32 vcc, s20, v8
	s_waitcnt vmcnt(0) lgkmcnt(0)
	v_and_b32_e32 v22, 0xffff, v9
	v_lshlrev_b64 v[22:23], s18, v[22:23]
	s_add_u32 s18, s18, 8
	s_addc_u32 s19, s19, 0
	v_or_b32_e32 v21, v23, v21
	s_or_b64 s[16:17], vcc, s[16:17]
	v_or_b32_e32 v20, v22, v20
	s_andn2_b64 exec, exec, s[16:17]
	s_cbranch_execnz .LBB2_328
; %bb.329:                              ;   in Loop: Header=BB2_285 Depth=1
	s_or_b64 exec, exec, s[16:17]
.LBB2_330:                              ;   in Loop: Header=BB2_285 Depth=1
	s_or_b64 exec, exec, s[14:15]
	s_mov_b32 s14, 0
                                        ; implicit-def: $vgpr8
.LBB2_331:                              ;   in Loop: Header=BB2_285 Depth=1
	s_or_saveexec_b64 s[4:5], s[4:5]
	v_mov_b32_e32 v9, s14
	s_xor_b64 exec, exec, s[4:5]
	s_cbranch_execz .LBB2_333
; %bb.332:                              ;   in Loop: Header=BB2_285 Depth=1
	flat_load_dwordx2 v[20:21], v[2:3]
	v_add_u32_e32 v9, -8, v8
	v_add_co_u32_e32 v2, vcc, 8, v2
	v_addc_co_u32_e32 v3, vcc, 0, v3, vcc
	s_waitcnt vmcnt(0) lgkmcnt(0)
	v_and_b32_e32 v8, 0xff, v21
	v_and_b32_e32 v22, 0xff00, v21
	;; [unrolled: 1-line block ×4, first 2 shown]
	v_or_b32_e32 v8, v8, v22
	v_or3_b32 v20, v20, 0, 0
	v_or3_b32 v21, v8, v23, v21
.LBB2_333:                              ;   in Loop: Header=BB2_285 Depth=1
	s_or_b64 exec, exec, s[4:5]
	v_cmp_gt_u32_e32 vcc, 8, v9
	s_and_saveexec_b64 s[4:5], vcc
	s_xor_b64 s[4:5], exec, s[4:5]
	s_cbranch_execz .LBB2_339
; %bb.334:                              ;   in Loop: Header=BB2_285 Depth=1
	v_cmp_ne_u32_e32 vcc, 0, v9
	v_pk_mov_b32 v[22:23], 0, 0
	s_and_saveexec_b64 s[14:15], vcc
	s_cbranch_execz .LBB2_338
; %bb.335:                              ;   in Loop: Header=BB2_285 Depth=1
	s_mov_b64 s[16:17], 0
	v_pk_mov_b32 v[22:23], 0, 0
	s_mov_b64 s[18:19], 0
.LBB2_336:                              ;   Parent Loop BB2_285 Depth=1
                                        ; =>  This Inner Loop Header: Depth=2
	flat_load_ubyte v8, v[2:3]
	v_mov_b32_e32 v25, s22
	v_add_co_u32_e32 v2, vcc, 1, v2
	v_add_u32_e32 v9, -1, v9
	v_addc_co_u32_e32 v3, vcc, 0, v3, vcc
	v_cmp_eq_u32_e32 vcc, 0, v9
	s_waitcnt vmcnt(0) lgkmcnt(0)
	v_and_b32_e32 v24, 0xffff, v8
	v_lshlrev_b64 v[24:25], s18, v[24:25]
	s_add_u32 s18, s18, 8
	s_addc_u32 s19, s19, 0
	v_or_b32_e32 v23, v25, v23
	s_or_b64 s[16:17], vcc, s[16:17]
	v_or_b32_e32 v22, v24, v22
	s_andn2_b64 exec, exec, s[16:17]
	s_cbranch_execnz .LBB2_336
; %bb.337:                              ;   in Loop: Header=BB2_285 Depth=1
	s_or_b64 exec, exec, s[16:17]
.LBB2_338:                              ;   in Loop: Header=BB2_285 Depth=1
	s_or_b64 exec, exec, s[14:15]
                                        ; implicit-def: $vgpr2_vgpr3
.LBB2_339:                              ;   in Loop: Header=BB2_285 Depth=1
	s_andn2_saveexec_b64 s[4:5], s[4:5]
	s_cbranch_execz .LBB2_341
; %bb.340:                              ;   in Loop: Header=BB2_285 Depth=1
	flat_load_dwordx2 v[2:3], v[2:3]
	s_waitcnt vmcnt(0) lgkmcnt(0)
	v_and_b32_e32 v8, 0xff, v3
	v_and_b32_e32 v9, 0xff00, v3
	;; [unrolled: 1-line block ×4, first 2 shown]
	v_or_b32_e32 v8, v8, v9
	v_or3_b32 v23, v8, v22, v3
	v_or3_b32 v22, v2, 0, 0
.LBB2_341:                              ;   in Loop: Header=BB2_285 Depth=1
	s_or_b64 exec, exec, s[4:5]
	v_readfirstlane_b32 s4, v53
	v_cmp_eq_u32_e64 s[4:5], s4, v53
	v_pk_mov_b32 v[2:3], 0, 0
	s_and_saveexec_b64 s[14:15], s[4:5]
	s_cbranch_execz .LBB2_347
; %bb.342:                              ;   in Loop: Header=BB2_285 Depth=1
	global_load_dwordx2 v[26:27], v33, s[10:11] offset:24 glc
	s_waitcnt vmcnt(0)
	buffer_invl2
	buffer_wbinvl1_vol
	global_load_dwordx2 v[2:3], v33, s[10:11] offset:40
	global_load_dwordx2 v[8:9], v33, s[10:11]
	s_waitcnt vmcnt(1)
	v_and_b32_e32 v2, v2, v26
	v_and_b32_e32 v3, v3, v27
	v_mul_lo_u32 v3, v3, 24
	v_mul_hi_u32 v24, v2, 24
	v_mul_lo_u32 v2, v2, 24
	v_add_u32_e32 v3, v24, v3
	s_waitcnt vmcnt(0)
	v_add_co_u32_e32 v2, vcc, v8, v2
	v_addc_co_u32_e32 v3, vcc, v9, v3, vcc
	global_load_dwordx2 v[24:25], v[2:3], off glc
	s_waitcnt vmcnt(0)
	global_atomic_cmpswap_x2 v[2:3], v33, v[24:27], s[10:11] offset:24 glc
	s_waitcnt vmcnt(0)
	buffer_invl2
	buffer_wbinvl1_vol
	v_cmp_ne_u64_e32 vcc, v[2:3], v[26:27]
	s_and_saveexec_b64 s[16:17], vcc
	s_cbranch_execz .LBB2_346
; %bb.343:                              ;   in Loop: Header=BB2_285 Depth=1
	s_mov_b64 s[18:19], 0
.LBB2_344:                              ;   Parent Loop BB2_285 Depth=1
                                        ; =>  This Inner Loop Header: Depth=2
	s_sleep 1
	global_load_dwordx2 v[8:9], v33, s[10:11] offset:40
	global_load_dwordx2 v[24:25], v33, s[10:11]
	v_pk_mov_b32 v[26:27], v[2:3], v[2:3] op_sel:[0,1]
	s_waitcnt vmcnt(1)
	v_and_b32_e32 v2, v8, v26
	s_waitcnt vmcnt(0)
	v_mad_u64_u32 v[2:3], s[20:21], v2, 24, v[24:25]
	v_and_b32_e32 v9, v9, v27
	v_mov_b32_e32 v8, v3
	v_mad_u64_u32 v[8:9], s[20:21], v9, 24, v[8:9]
	v_mov_b32_e32 v3, v8
	global_load_dwordx2 v[24:25], v[2:3], off glc
	s_waitcnt vmcnt(0)
	global_atomic_cmpswap_x2 v[2:3], v33, v[24:27], s[10:11] offset:24 glc
	s_waitcnt vmcnt(0)
	buffer_invl2
	buffer_wbinvl1_vol
	v_cmp_eq_u64_e32 vcc, v[2:3], v[26:27]
	s_or_b64 s[18:19], vcc, s[18:19]
	s_andn2_b64 exec, exec, s[18:19]
	s_cbranch_execnz .LBB2_344
; %bb.345:                              ;   in Loop: Header=BB2_285 Depth=1
	s_or_b64 exec, exec, s[18:19]
.LBB2_346:                              ;   in Loop: Header=BB2_285 Depth=1
	s_or_b64 exec, exec, s[16:17]
.LBB2_347:                              ;   in Loop: Header=BB2_285 Depth=1
	s_or_b64 exec, exec, s[14:15]
	global_load_dwordx2 v[8:9], v33, s[10:11] offset:40
	global_load_dwordx4 v[24:27], v33, s[10:11]
	v_readfirstlane_b32 s14, v2
	v_readfirstlane_b32 s15, v3
	s_mov_b64 s[16:17], exec
	s_waitcnt vmcnt(1)
	v_readfirstlane_b32 s18, v8
	v_readfirstlane_b32 s19, v9
	s_and_b64 s[18:19], s[14:15], s[18:19]
	s_mul_i32 s20, s19, 24
	s_mul_hi_u32 s21, s18, 24
	s_mul_i32 s24, s18, 24
	s_add_i32 s20, s21, s20
	v_mov_b32_e32 v2, s20
	s_waitcnt vmcnt(0)
	v_add_co_u32_e32 v38, vcc, s24, v24
	v_addc_co_u32_e32 v39, vcc, v25, v2, vcc
	s_and_saveexec_b64 s[20:21], s[4:5]
	s_cbranch_execz .LBB2_349
; %bb.348:                              ;   in Loop: Header=BB2_285 Depth=1
	v_pk_mov_b32 v[2:3], s[16:17], s[16:17] op_sel:[0,1]
	global_store_dwordx4 v[38:39], v[2:5], off offset:8
.LBB2_349:                              ;   in Loop: Header=BB2_285 Depth=1
	s_or_b64 exec, exec, s[20:21]
	s_lshl_b64 s[16:17], s[18:19], 12
	v_mov_b32_e32 v2, s17
	v_add_co_u32_e32 v26, vcc, s16, v26
	v_addc_co_u32_e32 v27, vcc, v27, v2, vcc
	v_or_b32_e32 v2, 0, v1
	v_cmp_lt_u64_e32 vcc, 56, v[28:29]
	v_or_b32_e32 v3, v0, v30
	v_cndmask_b32_e32 v9, v2, v1, vcc
	v_lshl_add_u32 v1, v36, 2, 28
	v_cndmask_b32_e32 v0, v3, v0, vcc
	v_and_b32_e32 v1, 0x1e0, v1
	v_and_or_b32 v8, v0, s23, v1
	v_readfirstlane_b32 s16, v26
	v_readfirstlane_b32 s17, v27
	s_nop 4
	global_store_dwordx4 v52, v[8:11], s[16:17]
	global_store_dwordx4 v52, v[12:15], s[16:17] offset:16
	global_store_dwordx4 v52, v[16:19], s[16:17] offset:32
	;; [unrolled: 1-line block ×3, first 2 shown]
	s_and_saveexec_b64 s[16:17], s[4:5]
	s_cbranch_execz .LBB2_357
; %bb.350:                              ;   in Loop: Header=BB2_285 Depth=1
	global_load_dwordx2 v[12:13], v33, s[10:11] offset:32 glc
	global_load_dwordx2 v[0:1], v33, s[10:11] offset:40
	v_mov_b32_e32 v10, s14
	v_mov_b32_e32 v11, s15
	s_waitcnt vmcnt(0)
	v_readfirstlane_b32 s18, v0
	v_readfirstlane_b32 s19, v1
	s_and_b64 s[18:19], s[18:19], s[14:15]
	s_mul_i32 s19, s19, 24
	s_mul_hi_u32 s20, s18, 24
	s_mul_i32 s18, s18, 24
	s_add_i32 s19, s20, s19
	v_mov_b32_e32 v0, s19
	v_add_co_u32_e32 v8, vcc, s18, v24
	v_addc_co_u32_e32 v9, vcc, v25, v0, vcc
	global_store_dwordx2 v[8:9], v[12:13], off
	buffer_wbl2
	s_waitcnt vmcnt(0)
	global_atomic_cmpswap_x2 v[2:3], v33, v[10:13], s[10:11] offset:32 glc
	s_waitcnt vmcnt(0)
	v_cmp_ne_u64_e32 vcc, v[2:3], v[12:13]
	s_and_saveexec_b64 s[18:19], vcc
	s_cbranch_execz .LBB2_353
; %bb.351:                              ;   in Loop: Header=BB2_285 Depth=1
	s_mov_b64 s[20:21], 0
.LBB2_352:                              ;   Parent Loop BB2_285 Depth=1
                                        ; =>  This Inner Loop Header: Depth=2
	s_sleep 1
	global_store_dwordx2 v[8:9], v[2:3], off
	v_mov_b32_e32 v0, s14
	v_mov_b32_e32 v1, s15
	buffer_wbl2
	s_waitcnt vmcnt(0)
	global_atomic_cmpswap_x2 v[0:1], v33, v[0:3], s[10:11] offset:32 glc
	s_waitcnt vmcnt(0)
	v_cmp_eq_u64_e32 vcc, v[0:1], v[2:3]
	s_or_b64 s[20:21], vcc, s[20:21]
	v_pk_mov_b32 v[2:3], v[0:1], v[0:1] op_sel:[0,1]
	s_andn2_b64 exec, exec, s[20:21]
	s_cbranch_execnz .LBB2_352
.LBB2_353:                              ;   in Loop: Header=BB2_285 Depth=1
	s_or_b64 exec, exec, s[18:19]
	global_load_dwordx2 v[0:1], v33, s[10:11] offset:16
	s_mov_b64 s[20:21], exec
	v_mbcnt_lo_u32_b32 v2, s20, 0
	v_mbcnt_hi_u32_b32 v2, s21, v2
	v_cmp_eq_u32_e32 vcc, 0, v2
	s_and_saveexec_b64 s[18:19], vcc
	s_cbranch_execz .LBB2_355
; %bb.354:                              ;   in Loop: Header=BB2_285 Depth=1
	s_bcnt1_i32_b64 s20, s[20:21]
	v_mov_b32_e32 v32, s20
	buffer_wbl2
	s_waitcnt vmcnt(0)
	global_atomic_add_x2 v[0:1], v[32:33], off offset:8
.LBB2_355:                              ;   in Loop: Header=BB2_285 Depth=1
	s_or_b64 exec, exec, s[18:19]
	s_waitcnt vmcnt(0)
	global_load_dwordx2 v[2:3], v[0:1], off offset:16
	s_waitcnt vmcnt(0)
	v_cmp_eq_u64_e32 vcc, 0, v[2:3]
	s_cbranch_vccnz .LBB2_357
; %bb.356:                              ;   in Loop: Header=BB2_285 Depth=1
	global_load_dword v32, v[0:1], off offset:24
	s_waitcnt vmcnt(0)
	v_and_b32_e32 v0, 0xffffff, v32
	v_readfirstlane_b32 m0, v0
	buffer_wbl2
	global_store_dwordx2 v[2:3], v[32:33], off
	s_sendmsg sendmsg(MSG_INTERRUPT)
.LBB2_357:                              ;   in Loop: Header=BB2_285 Depth=1
	s_or_b64 exec, exec, s[16:17]
	v_add_co_u32_e32 v0, vcc, v26, v52
	v_addc_co_u32_e32 v1, vcc, 0, v27, vcc
	s_branch .LBB2_361
.LBB2_358:                              ;   in Loop: Header=BB2_361 Depth=2
	s_or_b64 exec, exec, s[16:17]
	v_readfirstlane_b32 s16, v2
	s_cmp_eq_u32 s16, 0
	s_cbranch_scc1 .LBB2_360
; %bb.359:                              ;   in Loop: Header=BB2_361 Depth=2
	s_sleep 1
	s_cbranch_execnz .LBB2_361
	s_branch .LBB2_363
.LBB2_360:                              ;   in Loop: Header=BB2_285 Depth=1
	s_branch .LBB2_363
.LBB2_361:                              ;   Parent Loop BB2_285 Depth=1
                                        ; =>  This Inner Loop Header: Depth=2
	v_mov_b32_e32 v2, 1
	s_and_saveexec_b64 s[16:17], s[4:5]
	s_cbranch_execz .LBB2_358
; %bb.362:                              ;   in Loop: Header=BB2_361 Depth=2
	global_load_dword v2, v[38:39], off offset:20 glc
	s_waitcnt vmcnt(0)
	buffer_invl2
	buffer_wbinvl1_vol
	v_and_b32_e32 v2, 1, v2
	s_branch .LBB2_358
.LBB2_363:                              ;   in Loop: Header=BB2_285 Depth=1
	global_load_dwordx4 v[0:3], v[0:1], off
	s_and_saveexec_b64 s[16:17], s[4:5]
	s_cbranch_execz .LBB2_284
; %bb.364:                              ;   in Loop: Header=BB2_285 Depth=1
	global_load_dwordx2 v[2:3], v33, s[10:11] offset:40
	global_load_dwordx2 v[12:13], v33, s[10:11] offset:24 glc
	global_load_dwordx2 v[14:15], v33, s[10:11]
	v_mov_b32_e32 v9, s15
	s_waitcnt vmcnt(2)
	v_add_co_u32_e32 v11, vcc, 1, v2
	v_addc_co_u32_e32 v16, vcc, 0, v3, vcc
	v_add_co_u32_e32 v8, vcc, s14, v11
	v_addc_co_u32_e32 v9, vcc, v16, v9, vcc
	v_cmp_eq_u64_e32 vcc, 0, v[8:9]
	v_cndmask_b32_e32 v9, v9, v16, vcc
	v_cndmask_b32_e32 v8, v8, v11, vcc
	v_and_b32_e32 v3, v9, v3
	v_and_b32_e32 v2, v8, v2
	v_mul_lo_u32 v3, v3, 24
	v_mul_hi_u32 v11, v2, 24
	v_mul_lo_u32 v2, v2, 24
	v_add_u32_e32 v3, v11, v3
	s_waitcnt vmcnt(0)
	v_add_co_u32_e32 v2, vcc, v14, v2
	v_addc_co_u32_e32 v3, vcc, v15, v3, vcc
	v_mov_b32_e32 v10, v12
	global_store_dwordx2 v[2:3], v[12:13], off
	v_mov_b32_e32 v11, v13
	buffer_wbl2
	s_waitcnt vmcnt(0)
	global_atomic_cmpswap_x2 v[10:11], v33, v[8:11], s[10:11] offset:24 glc
	s_waitcnt vmcnt(0)
	v_cmp_ne_u64_e32 vcc, v[10:11], v[12:13]
	s_and_b64 exec, exec, vcc
	s_cbranch_execz .LBB2_284
; %bb.365:                              ;   in Loop: Header=BB2_285 Depth=1
	s_mov_b64 s[4:5], 0
.LBB2_366:                              ;   Parent Loop BB2_285 Depth=1
                                        ; =>  This Inner Loop Header: Depth=2
	s_sleep 1
	global_store_dwordx2 v[2:3], v[10:11], off
	buffer_wbl2
	s_waitcnt vmcnt(0)
	global_atomic_cmpswap_x2 v[12:13], v33, v[8:11], s[10:11] offset:24 glc
	s_waitcnt vmcnt(0)
	v_cmp_eq_u64_e32 vcc, v[12:13], v[10:11]
	s_or_b64 s[4:5], vcc, s[4:5]
	v_pk_mov_b32 v[10:11], v[12:13], v[12:13] op_sel:[0,1]
	s_andn2_b64 exec, exec, s[4:5]
	s_cbranch_execnz .LBB2_366
	s_branch .LBB2_284
.LBB2_367:
	s_or_b64 exec, exec, s[6:7]
                                        ; implicit-def: $vgpr52
                                        ; implicit-def: $vgpr53
.LBB2_368:
	s_andn2_saveexec_b64 s[6:7], s[12:13]
	s_cbranch_execz .LBB2_395
; %bb.369:
	v_readfirstlane_b32 s4, v53
	v_cmp_eq_u32_e64 s[4:5], s4, v53
	v_pk_mov_b32 v[4:5], 0, 0
	s_and_saveexec_b64 s[12:13], s[4:5]
	s_cbranch_execz .LBB2_375
; %bb.370:
	s_waitcnt vmcnt(0)
	v_mov_b32_e32 v2, 0
	global_load_dwordx2 v[10:11], v2, s[10:11] offset:24 glc
	s_waitcnt vmcnt(0)
	buffer_invl2
	buffer_wbinvl1_vol
	global_load_dwordx2 v[4:5], v2, s[10:11] offset:40
	global_load_dwordx2 v[8:9], v2, s[10:11]
	s_waitcnt vmcnt(1)
	v_and_b32_e32 v3, v4, v10
	v_and_b32_e32 v4, v5, v11
	v_mul_lo_u32 v4, v4, 24
	v_mul_hi_u32 v5, v3, 24
	v_mul_lo_u32 v3, v3, 24
	v_add_u32_e32 v5, v5, v4
	s_waitcnt vmcnt(0)
	v_add_co_u32_e32 v4, vcc, v8, v3
	v_addc_co_u32_e32 v5, vcc, v9, v5, vcc
	global_load_dwordx2 v[8:9], v[4:5], off glc
	s_waitcnt vmcnt(0)
	global_atomic_cmpswap_x2 v[4:5], v2, v[8:11], s[10:11] offset:24 glc
	s_waitcnt vmcnt(0)
	buffer_invl2
	buffer_wbinvl1_vol
	v_cmp_ne_u64_e32 vcc, v[4:5], v[10:11]
	s_and_saveexec_b64 s[14:15], vcc
	s_cbranch_execz .LBB2_374
; %bb.371:
	s_mov_b64 s[16:17], 0
.LBB2_372:                              ; =>This Inner Loop Header: Depth=1
	s_sleep 1
	global_load_dwordx2 v[8:9], v2, s[10:11] offset:40
	global_load_dwordx2 v[12:13], v2, s[10:11]
	v_pk_mov_b32 v[10:11], v[4:5], v[4:5] op_sel:[0,1]
	s_waitcnt vmcnt(1)
	v_and_b32_e32 v4, v8, v10
	s_waitcnt vmcnt(0)
	v_mad_u64_u32 v[4:5], s[18:19], v4, 24, v[12:13]
	v_and_b32_e32 v3, v9, v11
	v_mov_b32_e32 v8, v5
	v_mad_u64_u32 v[8:9], s[18:19], v3, 24, v[8:9]
	v_mov_b32_e32 v5, v8
	global_load_dwordx2 v[8:9], v[4:5], off glc
	s_waitcnt vmcnt(0)
	global_atomic_cmpswap_x2 v[4:5], v2, v[8:11], s[10:11] offset:24 glc
	s_waitcnt vmcnt(0)
	buffer_invl2
	buffer_wbinvl1_vol
	v_cmp_eq_u64_e32 vcc, v[4:5], v[10:11]
	s_or_b64 s[16:17], vcc, s[16:17]
	s_andn2_b64 exec, exec, s[16:17]
	s_cbranch_execnz .LBB2_372
; %bb.373:
	s_or_b64 exec, exec, s[16:17]
.LBB2_374:
	s_or_b64 exec, exec, s[14:15]
.LBB2_375:
	s_or_b64 exec, exec, s[12:13]
	s_waitcnt vmcnt(0)
	v_mov_b32_e32 v2, 0
	global_load_dwordx2 v[12:13], v2, s[10:11] offset:40
	global_load_dwordx4 v[8:11], v2, s[10:11]
	v_readfirstlane_b32 s12, v4
	v_readfirstlane_b32 s13, v5
	s_mov_b64 s[14:15], exec
	s_waitcnt vmcnt(1)
	v_readfirstlane_b32 s16, v12
	v_readfirstlane_b32 s17, v13
	s_and_b64 s[16:17], s[12:13], s[16:17]
	s_mul_i32 s18, s17, 24
	s_mul_hi_u32 s19, s16, 24
	s_mul_i32 s20, s16, 24
	s_add_i32 s18, s19, s18
	v_mov_b32_e32 v3, s18
	s_waitcnt vmcnt(0)
	v_add_co_u32_e32 v4, vcc, s20, v8
	v_addc_co_u32_e32 v5, vcc, v9, v3, vcc
	s_and_saveexec_b64 s[18:19], s[4:5]
	s_cbranch_execz .LBB2_377
; %bb.376:
	v_pk_mov_b32 v[12:13], s[14:15], s[14:15] op_sel:[0,1]
	v_mov_b32_e32 v14, 2
	v_mov_b32_e32 v15, 1
	global_store_dwordx4 v[4:5], v[12:15], off offset:8
.LBB2_377:
	s_or_b64 exec, exec, s[18:19]
	s_lshl_b64 s[14:15], s[16:17], 12
	v_mov_b32_e32 v3, s15
	v_add_co_u32_e32 v12, vcc, s14, v10
	v_addc_co_u32_e32 v13, vcc, v11, v3, vcc
	s_movk_i32 s14, 0xff1f
	s_mov_b32 s16, 0
	v_and_or_b32 v0, v0, s14, 32
	v_mov_b32_e32 v3, v2
	v_readfirstlane_b32 s14, v12
	v_readfirstlane_b32 s15, v13
	s_mov_b32 s17, s16
	v_add_co_u32_e32 v10, vcc, v12, v52
	s_mov_b32 s18, s16
	s_mov_b32 s19, s16
	s_nop 0
	global_store_dwordx4 v52, v[0:3], s[14:15]
	v_addc_co_u32_e32 v11, vcc, 0, v13, vcc
	v_pk_mov_b32 v[0:1], s[16:17], s[16:17] op_sel:[0,1]
	v_pk_mov_b32 v[2:3], s[18:19], s[18:19] op_sel:[0,1]
	global_store_dwordx4 v52, v[0:3], s[14:15] offset:16
	global_store_dwordx4 v52, v[0:3], s[14:15] offset:32
	;; [unrolled: 1-line block ×3, first 2 shown]
	s_and_saveexec_b64 s[14:15], s[4:5]
	s_cbranch_execz .LBB2_385
; %bb.378:
	v_mov_b32_e32 v12, 0
	global_load_dwordx2 v[16:17], v12, s[10:11] offset:32 glc
	global_load_dwordx2 v[0:1], v12, s[10:11] offset:40
	v_mov_b32_e32 v14, s12
	v_mov_b32_e32 v15, s13
	s_waitcnt vmcnt(0)
	v_readfirstlane_b32 s16, v0
	v_readfirstlane_b32 s17, v1
	s_and_b64 s[16:17], s[16:17], s[12:13]
	s_mul_i32 s17, s17, 24
	s_mul_hi_u32 s18, s16, 24
	s_mul_i32 s16, s16, 24
	s_add_i32 s17, s18, s17
	v_mov_b32_e32 v0, s17
	v_add_co_u32_e32 v8, vcc, s16, v8
	v_addc_co_u32_e32 v9, vcc, v9, v0, vcc
	global_store_dwordx2 v[8:9], v[16:17], off
	buffer_wbl2
	s_waitcnt vmcnt(0)
	global_atomic_cmpswap_x2 v[2:3], v12, v[14:17], s[10:11] offset:32 glc
	s_waitcnt vmcnt(0)
	v_cmp_ne_u64_e32 vcc, v[2:3], v[16:17]
	s_and_saveexec_b64 s[16:17], vcc
	s_cbranch_execz .LBB2_381
; %bb.379:
	s_mov_b64 s[18:19], 0
.LBB2_380:                              ; =>This Inner Loop Header: Depth=1
	s_sleep 1
	global_store_dwordx2 v[8:9], v[2:3], off
	v_mov_b32_e32 v0, s12
	v_mov_b32_e32 v1, s13
	buffer_wbl2
	s_waitcnt vmcnt(0)
	global_atomic_cmpswap_x2 v[0:1], v12, v[0:3], s[10:11] offset:32 glc
	s_waitcnt vmcnt(0)
	v_cmp_eq_u64_e32 vcc, v[0:1], v[2:3]
	s_or_b64 s[18:19], vcc, s[18:19]
	v_pk_mov_b32 v[2:3], v[0:1], v[0:1] op_sel:[0,1]
	s_andn2_b64 exec, exec, s[18:19]
	s_cbranch_execnz .LBB2_380
.LBB2_381:
	s_or_b64 exec, exec, s[16:17]
	v_mov_b32_e32 v3, 0
	global_load_dwordx2 v[0:1], v3, s[10:11] offset:16
	s_mov_b64 s[16:17], exec
	v_mbcnt_lo_u32_b32 v2, s16, 0
	v_mbcnt_hi_u32_b32 v2, s17, v2
	v_cmp_eq_u32_e32 vcc, 0, v2
	s_and_saveexec_b64 s[18:19], vcc
	s_cbranch_execz .LBB2_383
; %bb.382:
	s_bcnt1_i32_b64 s16, s[16:17]
	v_mov_b32_e32 v2, s16
	buffer_wbl2
	s_waitcnt vmcnt(0)
	global_atomic_add_x2 v[0:1], v[2:3], off offset:8
.LBB2_383:
	s_or_b64 exec, exec, s[18:19]
	s_waitcnt vmcnt(0)
	global_load_dwordx2 v[2:3], v[0:1], off offset:16
	s_waitcnt vmcnt(0)
	v_cmp_eq_u64_e32 vcc, 0, v[2:3]
	s_cbranch_vccnz .LBB2_385
; %bb.384:
	global_load_dword v0, v[0:1], off offset:24
	v_mov_b32_e32 v1, 0
	buffer_wbl2
	s_waitcnt vmcnt(0)
	global_store_dwordx2 v[2:3], v[0:1], off
	v_and_b32_e32 v0, 0xffffff, v0
	v_readfirstlane_b32 m0, v0
	s_sendmsg sendmsg(MSG_INTERRUPT)
.LBB2_385:
	s_or_b64 exec, exec, s[14:15]
	s_branch .LBB2_389
.LBB2_386:                              ;   in Loop: Header=BB2_389 Depth=1
	s_or_b64 exec, exec, s[14:15]
	v_readfirstlane_b32 s14, v0
	s_cmp_eq_u32 s14, 0
	s_cbranch_scc1 .LBB2_388
; %bb.387:                              ;   in Loop: Header=BB2_389 Depth=1
	s_sleep 1
	s_cbranch_execnz .LBB2_389
	s_branch .LBB2_391
.LBB2_388:
	s_branch .LBB2_391
.LBB2_389:                              ; =>This Inner Loop Header: Depth=1
	v_mov_b32_e32 v0, 1
	s_and_saveexec_b64 s[14:15], s[4:5]
	s_cbranch_execz .LBB2_386
; %bb.390:                              ;   in Loop: Header=BB2_389 Depth=1
	global_load_dword v0, v[4:5], off offset:20 glc
	s_waitcnt vmcnt(0)
	buffer_invl2
	buffer_wbinvl1_vol
	v_and_b32_e32 v0, 1, v0
	s_branch .LBB2_386
.LBB2_391:
	global_load_dwordx2 v[0:1], v[10:11], off
	s_and_saveexec_b64 s[14:15], s[4:5]
	s_cbranch_execz .LBB2_394
; %bb.392:
	v_mov_b32_e32 v10, 0
	global_load_dwordx2 v[8:9], v10, s[10:11] offset:40
	global_load_dwordx2 v[12:13], v10, s[10:11] offset:24 glc
	global_load_dwordx2 v[14:15], v10, s[10:11]
	v_mov_b32_e32 v3, s13
	s_mov_b64 s[4:5], 0
	s_waitcnt vmcnt(2)
	v_add_co_u32_e32 v5, vcc, 1, v8
	v_addc_co_u32_e32 v11, vcc, 0, v9, vcc
	v_add_co_u32_e32 v2, vcc, s12, v5
	v_addc_co_u32_e32 v3, vcc, v11, v3, vcc
	v_cmp_eq_u64_e32 vcc, 0, v[2:3]
	v_cndmask_b32_e32 v3, v3, v11, vcc
	v_cndmask_b32_e32 v2, v2, v5, vcc
	v_and_b32_e32 v5, v3, v9
	v_and_b32_e32 v8, v2, v8
	v_mul_lo_u32 v5, v5, 24
	v_mul_hi_u32 v9, v8, 24
	v_mul_lo_u32 v8, v8, 24
	v_add_u32_e32 v5, v9, v5
	s_waitcnt vmcnt(0)
	v_add_co_u32_e32 v8, vcc, v14, v8
	v_addc_co_u32_e32 v9, vcc, v15, v5, vcc
	v_mov_b32_e32 v4, v12
	global_store_dwordx2 v[8:9], v[12:13], off
	v_mov_b32_e32 v5, v13
	buffer_wbl2
	s_waitcnt vmcnt(0)
	global_atomic_cmpswap_x2 v[4:5], v10, v[2:5], s[10:11] offset:24 glc
	s_waitcnt vmcnt(0)
	v_cmp_ne_u64_e32 vcc, v[4:5], v[12:13]
	s_and_b64 exec, exec, vcc
	s_cbranch_execz .LBB2_394
.LBB2_393:                              ; =>This Inner Loop Header: Depth=1
	s_sleep 1
	global_store_dwordx2 v[8:9], v[4:5], off
	buffer_wbl2
	s_waitcnt vmcnt(0)
	global_atomic_cmpswap_x2 v[12:13], v10, v[2:5], s[10:11] offset:24 glc
	s_waitcnt vmcnt(0)
	v_cmp_eq_u64_e32 vcc, v[12:13], v[4:5]
	s_or_b64 s[4:5], vcc, s[4:5]
	v_pk_mov_b32 v[4:5], v[12:13], v[12:13] op_sel:[0,1]
	s_andn2_b64 exec, exec, s[4:5]
	s_cbranch_execnz .LBB2_393
.LBB2_394:
	s_or_b64 exec, exec, s[14:15]
.LBB2_395:
	s_or_b64 exec, exec, s[6:7]
	s_mov_b64 s[4:5], 0
	s_waitcnt vmcnt(0)
	v_pk_mov_b32 v[2:3], v[6:7], v[6:7] op_sel:[0,1]
.LBB2_396:                              ; =>This Inner Loop Header: Depth=1
	flat_load_ubyte v8, v[2:3]
	v_add_co_u32_e32 v4, vcc, 1, v2
	v_addc_co_u32_e32 v5, vcc, 0, v3, vcc
	v_pk_mov_b32 v[2:3], v[4:5], v[4:5] op_sel:[0,1]
	s_waitcnt vmcnt(0) lgkmcnt(0)
	v_cmp_eq_u16_e32 vcc, 0, v8
	s_or_b64 s[4:5], vcc, s[4:5]
	s_andn2_b64 exec, exec, s[4:5]
	s_cbranch_execnz .LBB2_396
; %bb.397:
	s_or_b64 exec, exec, s[4:5]
	v_sub_u32_e32 v4, v4, v6
	v_ashrrev_i32_e32 v5, 31, v4
	v_mov_b32_e32 v2, v6
	v_mov_b32_e32 v3, v7
	v_mov_b32_e32 v6, 1
	s_getpc_b64 s[4:5]
	s_add_u32 s4, s4, __ockl_fprintf_append_string_n@rel32@lo+4
	s_addc_u32 s5, s5, __ockl_fprintf_append_string_n@rel32@hi+12
	s_swappc_b64 s[30:31], s[4:5]
	s_trap 2
.Lfunc_end2:
	.size	__assert_fail, .Lfunc_end2-__assert_fail
                                        ; -- End function
	.section	.AMDGPU.csdata,"",@progbits
; Function info:
; codeLenInByte = 16108
; NumSgprs: 38
; NumVgprs: 54
; NumAgprs: 0
; TotalNumVgprs: 54
; ScratchSize: 64
; MemoryBound: 0
	.text
	.protected	_Z19prepareDataToInsertPiS_S_PyPjS_S1_PKyPKjiS5_S5_iiiiii ; -- Begin function _Z19prepareDataToInsertPiS_S_PyPjS_S1_PKyPKjiS5_S5_iiiiii
	.globl	_Z19prepareDataToInsertPiS_S_PyPjS_S1_PKyPKjiS5_S5_iiiiii
	.p2align	8
	.type	_Z19prepareDataToInsertPiS_S_PyPjS_S1_PKyPKjiS5_S5_iiiiii,@function
_Z19prepareDataToInsertPiS_S_PyPjS_S1_PKyPKjiS5_S5_iiiiii: ; @_Z19prepareDataToInsertPiS_S_PyPjS_S1_PKyPKjiS5_S5_iiiiii
; %bb.0:
	s_add_u32 flat_scratch_lo, s6, s9
	s_load_dword s6, s[4:5], 0x84
	s_load_dwordx4 s[52:55], s[4:5], 0x60
	s_addc_u32 flat_scratch_hi, s7, 0
	s_add_u32 s0, s0, s9
	s_addc_u32 s1, s1, 0
	s_waitcnt lgkmcnt(0)
	s_and_b32 s6, s6, 0xffff
	s_mul_i32 s8, s8, s6
	v_add_u32_e32 v44, s8, v0
	v_cmp_gt_i32_e32 vcc, s54, v44
	s_mov_b32 s32, 0
	s_and_saveexec_b64 s[6:7], vcc
	s_cbranch_execz .LBB3_23
; %bb.1:
	s_load_dwordx16 s[36:51], s[4:5], 0x0
	v_ashrrev_i32_e32 v45, 31, v44
	v_lshlrev_b64 v[42:43], 2, v[44:45]
	s_mov_b64 s[34:35], 0
	s_mov_b64 s[26:27], 0
	s_waitcnt lgkmcnt(0)
	v_mov_b32_e32 v0, s41
	v_add_co_u32_e32 v2, vcc, s40, v42
	v_addc_co_u32_e32 v3, vcc, v0, v43, vcc
	global_load_dword v4, v[2:3], off
	s_waitcnt vmcnt(0)
	v_cmp_gt_i32_e32 vcc, 0, v4
	s_and_saveexec_b64 s[6:7], vcc
	s_xor_b64 s[28:29], exec, s[6:7]
                                        ; implicit-def: $vgpr54
	s_cbranch_execz .LBB3_3
; %bb.2:
	s_add_u32 s8, s4, 0x78
	s_addc_u32 s9, s5, 0
	s_getpc_b64 s[6:7]
	s_add_u32 s6, s6, .str@rel32@lo+4
	s_addc_u32 s7, s7, .str@rel32@hi+12
	s_getpc_b64 s[10:11]
	s_add_u32 s10, s10, .str.1@rel32@lo+4
	s_addc_u32 s11, s11, .str.1@rel32@hi+12
	s_getpc_b64 s[12:13]
	s_add_u32 s12, s12, __PRETTY_FUNCTION__._Z19prepareDataToInsertPiS_S_PyPjS_S1_PKyPKjiS5_S5_iiiiii@rel32@lo+4
	s_addc_u32 s13, s13, __PRETTY_FUNCTION__._Z19prepareDataToInsertPiS_S_PyPjS_S1_PKyPKjiS5_S5_iiiiii@rel32@hi+12
	v_mov_b32_e32 v0, s6
	v_mov_b32_e32 v1, s7
	;; [unrolled: 1-line block ×7, first 2 shown]
	s_getpc_b64 s[14:15]
	s_add_u32 s14, s14, __assert_fail@rel32@lo+4
	s_addc_u32 s15, s15, __assert_fail@rel32@hi+12
	s_mov_b64 s[26:27], s[4:5]
	s_swappc_b64 s[30:31], s[14:15]
	s_mov_b64 s[4:5], s[26:27]
	s_mov_b64 s[26:27], exec
                                        ; implicit-def: $vgpr4
                                        ; implicit-def: $vgpr2_vgpr3
.LBB3_3:
	s_or_saveexec_b64 s[28:29], s[28:29]
	s_mov_b64 s[6:7], 0
                                        ; implicit-def: $vgpr46_vgpr47
                                        ; implicit-def: $vgpr55
                                        ; implicit-def: $vgpr41
                                        ; implicit-def: $vgpr0_vgpr1
	s_xor_b64 exec, exec, s[28:29]
	s_cbranch_execz .LBB3_19
; %bb.4:
	v_cmp_lt_u32_e32 vcc, 1, v4
	s_mov_b64 s[8:9], 0
	s_mov_b64 s[6:7], -1
	v_mov_b32_e32 v41, 0
	v_pk_mov_b32 v[0:1], s[46:47], s[46:47] op_sel:[0,1]
	s_mov_b64 s[10:11], s[26:27]
                                        ; implicit-def: $vgpr46_vgpr47
                                        ; implicit-def: $vgpr55
	s_and_saveexec_b64 s[34:35], vcc
	s_cbranch_execz .LBB3_43
; %bb.5:
	s_load_dword s6, s[4:5], 0x74
	v_mov_b32_e32 v5, s37
	s_waitcnt lgkmcnt(0)
	v_mad_u64_u32 v[0:1], s[6:7], v44, s6, v[4:5]
	v_ashrrev_i32_e32 v1, 31, v0
	v_lshlrev_b64 v[0:1], 2, v[0:1]
	v_add_co_u32_e32 v6, vcc, s36, v0
	v_addc_co_u32_e32 v7, vcc, v5, v1, vcc
	v_mov_b32_e32 v5, s39
	v_add_co_u32_e32 v0, vcc, s38, v0
	global_load_dwordx2 v[54:55], v[6:7], off offset:-8
	v_addc_co_u32_e32 v1, vcc, v5, v1, vcc
	global_load_dwordx2 v[46:47], v[0:1], off offset:-8
	v_add_u32_e32 v0, -2, v4
	global_store_dword v[2:3], v0, off
	s_waitcnt vmcnt(2)
	v_cmp_ne_u32_e32 vcc, v55, v54
	v_mov_b32_e32 v0, v55
	s_and_saveexec_b64 s[8:9], vcc
	s_cbranch_execz .LBB3_9
; %bb.6:
	v_xor_b32_e32 v0, v54, v55
	v_cmp_ne_u32_e32 vcc, 1, v0
	v_mov_b32_e32 v0, 1
	s_and_saveexec_b64 s[10:11], vcc
; %bb.7:
	v_cmp_eq_u32_e32 vcc, 1, v55
	v_cmp_eq_u32_e64 s[6:7], 1, v54
	s_or_b64 s[6:7], vcc, s[6:7]
	v_cndmask_b32_e64 v0, -1, 1, s[6:7]
	v_cmp_eq_u32_e32 vcc, 0, v54
	v_cndmask_b32_e32 v0, v0, v55, vcc
	v_cmp_eq_u32_e32 vcc, 0, v55
	v_cndmask_b32_e32 v0, v0, v54, vcc
; %bb.8:
	s_or_b64 exec, exec, s[10:11]
.LBB3_9:
	s_or_b64 exec, exec, s[8:9]
	v_cmp_eq_u32_e32 vcc, -1, v0
	s_and_saveexec_b64 s[10:11], vcc
	s_cbranch_execz .LBB3_28
; %bb.10:
	v_min_i32_e32 v1, v55, v54
	v_max_i32_e32 v0, v55, v54
	v_lshrrev_b32_e32 v2, 1, v1
	v_xor_b32_e32 v2, v0, v2
	s_mov_b32 s6, 0xff51afd7
	s_mov_b32 s8, 0xed558ccd
	s_load_dword s12, s[4:5], 0x48
	v_mul_lo_u32 v4, v2, s6
	v_mad_u64_u32 v[2:3], s[6:7], v2, s8, 0
	v_mul_lo_u32 v5, v1, s8
	v_add3_u32 v3, v3, v4, v5
	v_lshrrev_b32_e32 v4, 1, v3
	v_xor_b32_e32 v2, v4, v2
	s_mov_b32 s6, 0x1a85ec53
	s_mov_b32 s7, 0xc4ceb9fe
	v_mul_lo_u32 v4, v3, s6
	v_mul_lo_u32 v5, v2, s7
	v_mad_u64_u32 v[2:3], s[6:7], v2, s6, 0
	s_waitcnt lgkmcnt(0)
	s_ashr_i32 s13, s12, 31
	v_add3_u32 v5, v3, v5, v4
	v_lshrrev_b32_e32 v3, 1, v5
	v_mov_b32_e32 v6, 0
	v_or_b32_e32 v7, s13, v5
	v_xor_b32_e32 v4, v3, v2
	v_cmp_ne_u64_e32 vcc, 0, v[6:7]
                                        ; implicit-def: $vgpr2_vgpr3
	s_and_saveexec_b64 s[6:7], vcc
	s_xor_b64 s[14:15], exec, s[6:7]
	s_cbranch_execz .LBB3_12
; %bb.11:
	v_cvt_f32_u32_e32 v2, s12
	v_cvt_f32_u32_e32 v3, s13
	s_sub_u32 s6, 0, s12
	s_subb_u32 s7, 0, s13
	v_madmk_f32 v2, v3, 0x4f800000, v2
	v_rcp_f32_e32 v2, v2
	v_mul_f32_e32 v2, 0x5f7ffffc, v2
	v_mul_f32_e32 v3, 0x2f800000, v2
	v_trunc_f32_e32 v3, v3
	v_madmk_f32 v2, v3, 0xcf800000, v2
	v_cvt_u32_f32_e32 v3, v3
	v_cvt_u32_f32_e32 v2, v2
	v_mul_lo_u32 v6, s6, v3
	v_mul_hi_u32 v8, s6, v2
	v_mul_lo_u32 v7, s7, v2
	v_add_u32_e32 v6, v8, v6
	v_mul_lo_u32 v9, s6, v2
	v_add_u32_e32 v6, v6, v7
	v_mul_hi_u32 v8, v2, v9
	v_mul_lo_u32 v10, v2, v6
	v_mul_hi_u32 v7, v2, v6
	v_add_co_u32_e32 v8, vcc, v8, v10
	v_addc_co_u32_e32 v7, vcc, 0, v7, vcc
	v_mul_hi_u32 v11, v3, v9
	v_mul_lo_u32 v9, v3, v9
	v_add_co_u32_e32 v8, vcc, v8, v9
	v_mul_hi_u32 v10, v3, v6
	v_addc_co_u32_e32 v7, vcc, v7, v11, vcc
	v_addc_co_u32_e32 v8, vcc, 0, v10, vcc
	v_mul_lo_u32 v6, v3, v6
	v_add_co_u32_e32 v6, vcc, v7, v6
	v_addc_co_u32_e32 v7, vcc, 0, v8, vcc
	v_add_co_u32_e32 v2, vcc, v2, v6
	v_addc_co_u32_e32 v3, vcc, v3, v7, vcc
	v_mul_lo_u32 v6, s6, v3
	v_mul_hi_u32 v7, s6, v2
	v_add_u32_e32 v6, v7, v6
	v_mul_lo_u32 v7, s7, v2
	v_add_u32_e32 v6, v6, v7
	v_mul_lo_u32 v8, s6, v2
	v_mul_hi_u32 v9, v3, v8
	v_mul_lo_u32 v10, v3, v8
	v_mul_lo_u32 v12, v2, v6
	v_mul_hi_u32 v8, v2, v8
	v_mul_hi_u32 v11, v2, v6
	v_add_co_u32_e32 v8, vcc, v8, v12
	v_addc_co_u32_e32 v11, vcc, 0, v11, vcc
	v_add_co_u32_e32 v8, vcc, v8, v10
	v_mul_hi_u32 v7, v3, v6
	v_addc_co_u32_e32 v8, vcc, v11, v9, vcc
	v_addc_co_u32_e32 v7, vcc, 0, v7, vcc
	v_mul_lo_u32 v6, v3, v6
	v_add_co_u32_e32 v6, vcc, v8, v6
	v_addc_co_u32_e32 v7, vcc, 0, v7, vcc
	v_add_co_u32_e32 v6, vcc, v2, v6
	v_addc_co_u32_e32 v7, vcc, v3, v7, vcc
	v_mad_u64_u32 v[2:3], s[6:7], v4, v7, 0
	v_mul_hi_u32 v8, v4, v6
	v_add_co_u32_e32 v8, vcc, v8, v2
	v_addc_co_u32_e32 v9, vcc, 0, v3, vcc
	v_mad_u64_u32 v[2:3], s[6:7], v5, v7, 0
	v_mad_u64_u32 v[6:7], s[6:7], v5, v6, 0
	v_add_co_u32_e32 v6, vcc, v8, v6
	v_addc_co_u32_e32 v6, vcc, v9, v7, vcc
	v_addc_co_u32_e32 v3, vcc, 0, v3, vcc
	v_add_co_u32_e32 v2, vcc, v6, v2
	v_addc_co_u32_e32 v3, vcc, 0, v3, vcc
	v_mul_lo_u32 v6, s13, v2
	v_mul_lo_u32 v7, s12, v3
	v_mad_u64_u32 v[2:3], s[6:7], s12, v2, 0
	v_add3_u32 v3, v3, v7, v6
	v_sub_u32_e32 v6, v5, v3
	v_mov_b32_e32 v7, s13
	v_sub_co_u32_e32 v2, vcc, v4, v2
	v_subb_co_u32_e64 v4, s[6:7], v6, v7, vcc
	v_subrev_co_u32_e64 v6, s[6:7], s12, v2
	v_subbrev_co_u32_e64 v8, s[8:9], 0, v4, s[6:7]
	v_cmp_le_u32_e64 s[8:9], s13, v8
	v_cndmask_b32_e64 v9, 0, -1, s[8:9]
	v_cmp_le_u32_e64 s[8:9], s12, v6
	v_subb_co_u32_e64 v4, s[6:7], v4, v7, s[6:7]
	v_cndmask_b32_e64 v10, 0, -1, s[8:9]
	v_cmp_eq_u32_e64 s[8:9], s13, v8
	v_subrev_co_u32_e64 v7, s[6:7], s12, v6
	v_subb_co_u32_e32 v3, vcc, v5, v3, vcc
	v_cndmask_b32_e64 v9, v9, v10, s[8:9]
	v_subbrev_co_u32_e64 v4, s[6:7], 0, v4, s[6:7]
	v_cmp_le_u32_e32 vcc, s13, v3
	v_cmp_ne_u32_e64 s[6:7], 0, v9
	v_cndmask_b32_e64 v5, 0, -1, vcc
	v_cmp_le_u32_e32 vcc, s12, v2
	v_cndmask_b32_e64 v4, v8, v4, s[6:7]
	v_cndmask_b32_e64 v8, 0, -1, vcc
	v_cmp_eq_u32_e32 vcc, s13, v3
	v_cndmask_b32_e32 v5, v5, v8, vcc
	v_cmp_ne_u32_e32 vcc, 0, v5
	v_cndmask_b32_e32 v3, v3, v4, vcc
	v_cndmask_b32_e64 v4, v6, v7, s[6:7]
	v_cndmask_b32_e32 v2, v2, v4, vcc
                                        ; implicit-def: $vgpr4
.LBB3_12:
	s_andn2_saveexec_b64 s[6:7], s[14:15]
	s_cbranch_execz .LBB3_14
; %bb.13:
	v_cvt_f32_u32_e32 v2, s12
	s_sub_i32 s8, 0, s12
	v_rcp_iflag_f32_e32 v2, v2
	v_mul_f32_e32 v2, 0x4f7ffffe, v2
	v_cvt_u32_f32_e32 v2, v2
	v_mul_lo_u32 v3, s8, v2
	v_mul_hi_u32 v3, v2, v3
	v_add_u32_e32 v2, v2, v3
	v_mul_hi_u32 v2, v4, v2
	v_mul_lo_u32 v2, v2, s12
	v_sub_u32_e32 v2, v4, v2
	v_subrev_u32_e32 v3, s12, v2
	v_cmp_le_u32_e32 vcc, s12, v2
	v_cndmask_b32_e32 v2, v2, v3, vcc
	v_subrev_u32_e32 v3, s12, v2
	v_cmp_le_u32_e32 vcc, s12, v2
	v_cndmask_b32_e32 v2, v2, v3, vcc
	v_mov_b32_e32 v3, 0
.LBB3_14:
	s_or_b64 exec, exec, s[6:7]
	v_lshlrev_b64 v[4:5], 3, v[2:3]
	v_mov_b32_e32 v6, s51
	v_add_co_u32_e32 v4, vcc, s50, v4
	v_addc_co_u32_e32 v5, vcc, v6, v5, vcc
	global_load_dwordx2 v[4:5], v[4:5], off
	s_mov_b64 s[8:9], -1
                                        ; implicit-def: $sgpr16
	s_waitcnt vmcnt(0)
	v_cmp_ne_u64_e32 vcc, v[4:5], v[0:1]
	s_and_saveexec_b64 s[6:7], vcc
	s_cbranch_execz .LBB3_25
; %bb.15:
	s_mov_b64 s[8:9], 0
                                        ; implicit-def: $sgpr14_sgpr15
                                        ; implicit-def: $sgpr18_sgpr19
                                        ; implicit-def: $sgpr16_sgpr17
	s_branch .LBB3_17
.LBB3_16:                               ;   in Loop: Header=BB3_17 Depth=1
	s_or_b64 exec, exec, s[20:21]
	s_xor_b64 s[20:21], s[16:17], -1
	s_and_b64 s[22:23], exec, s[18:19]
	s_or_b64 s[8:9], s[22:23], s[8:9]
	s_andn2_b64 s[14:15], s[14:15], exec
	s_and_b64 s[20:21], s[20:21], exec
	s_or_b64 s[14:15], s[14:15], s[20:21]
	s_andn2_b64 exec, exec, s[8:9]
	s_cbranch_execz .LBB3_24
.LBB3_17:                               ; =>This Inner Loop Header: Depth=1
	v_cmp_ne_u64_e32 vcc, -1, v[4:5]
	s_or_b64 s[16:17], s[16:17], exec
	s_or_b64 s[18:19], s[18:19], exec
                                        ; implicit-def: $vgpr4_vgpr5
	s_and_saveexec_b64 s[20:21], vcc
	s_cbranch_execz .LBB3_16
; %bb.18:                               ;   in Loop: Header=BB3_17 Depth=1
	v_add_co_u32_e32 v2, vcc, 1, v2
	v_addc_co_u32_e32 v3, vcc, 0, v3, vcc
	v_cmp_ne_u64_e32 vcc, s[12:13], v[2:3]
	v_cndmask_b32_e32 v3, 0, v3, vcc
	v_cndmask_b32_e32 v2, 0, v2, vcc
	v_lshlrev_b64 v[4:5], 3, v[2:3]
	v_mov_b32_e32 v6, s51
	v_add_co_u32_e32 v4, vcc, s50, v4
	v_addc_co_u32_e32 v5, vcc, v6, v5, vcc
	global_load_dwordx2 v[4:5], v[4:5], off
	s_andn2_b64 s[18:19], s[18:19], exec
	s_andn2_b64 s[16:17], s[16:17], exec
	s_waitcnt vmcnt(0)
	v_cmp_eq_u64_e32 vcc, v[4:5], v[0:1]
	s_and_b64 s[22:23], vcc, exec
	s_or_b64 s[18:19], s[18:19], s[22:23]
	s_branch .LBB3_16
.LBB3_19:
	s_or_b64 exec, exec, s[28:29]
	s_and_saveexec_b64 s[4:5], s[26:27]
	s_cbranch_execz .LBB3_44
.LBB3_20:
	; divergent unreachable
                                        ; implicit-def: $vgpr41
                                        ; implicit-def: $vgpr0_vgpr1
	s_or_b64 exec, exec, s[4:5]
	s_and_saveexec_b64 s[4:5], s[34:35]
	s_cbranch_execnz .LBB3_45
.LBB3_21:
	s_or_b64 exec, exec, s[4:5]
	s_and_b64 exec, exec, s[6:7]
	s_cbranch_execz .LBB3_23
.LBB3_22:
	v_add_co_u32_e32 v0, vcc, v0, v42
	v_addc_co_u32_e32 v1, vcc, v1, v43, vcc
	global_store_dword v[0:1], v41, off
.LBB3_23:
	s_endpgm
.LBB3_24:
	s_or_b64 exec, exec, s[8:9]
	s_mov_b32 s16, -1
	s_orn2_b64 s[8:9], s[14:15], exec
.LBB3_25:
	s_or_b64 exec, exec, s[6:7]
	v_mov_b32_e32 v0, s16
	s_and_saveexec_b64 s[6:7], s[8:9]
	s_cbranch_execz .LBB3_27
; %bb.26:
	s_load_dwordx2 s[8:9], s[4:5], 0x40
	v_lshlrev_b64 v[0:1], 2, v[2:3]
	s_waitcnt lgkmcnt(0)
	v_mov_b32_e32 v2, s9
	v_add_co_u32_e32 v0, vcc, s8, v0
	v_addc_co_u32_e32 v1, vcc, v2, v1, vcc
	global_load_dword v0, v[0:1], off
.LBB3_27:
	s_or_b64 exec, exec, s[6:7]
	s_waitcnt vmcnt(0)
	v_lshlrev_b32_e32 v1, 1, v0
	v_cmp_ne_u32_e32 vcc, -1, v0
	v_cndmask_b32_e32 v0, -1, v1, vcc
.LBB3_28:
	s_or_b64 exec, exec, s[10:11]
	v_cmp_ne_u32_e32 vcc, -1, v0
	s_mov_b64 s[8:9], -1
	s_mov_b64 s[6:7], 0
	v_mov_b32_e32 v41, 0
	s_mov_b64 s[10:11], s[26:27]
	s_and_saveexec_b64 s[36:37], vcc
	s_cbranch_execz .LBB3_42
; %bb.29:
	v_mov_b32_e32 v3, s47
	v_add_co_u32_e32 v2, vcc, s46, v42
	v_mov_b32_e32 v1, 2
	v_addc_co_u32_e32 v3, vcc, v3, v43, vcc
	global_store_dword v[2:3], v1, off
	v_mov_b32_e32 v1, s45
	v_add_co_u32_e32 v2, vcc, s44, v42
	v_addc_co_u32_e32 v3, vcc, v1, v43, vcc
	global_store_dword v[2:3], v0, off
	v_ashrrev_i32_e32 v2, 1, v0
	v_cmp_lt_i32_e32 vcc, s55, v2
	v_mov_b32_e32 v41, 0
	s_and_saveexec_b64 s[6:7], vcc
	s_cbranch_execz .LBB3_39
; %bb.30:
	v_cvt_f32_u32_e32 v0, s52
	v_xor_b32_sdwa v1, v2, v2 dst_sel:DWORD dst_unused:UNUSED_PAD src0_sel:WORD_1 src1_sel:DWORD
	s_mov_b32 s12, 0x85ebca6b
	v_mul_lo_u32 v1, v1, s12
	v_rcp_iflag_f32_e32 v0, v0
	v_lshrrev_b32_e32 v3, 13, v1
	v_xor_b32_e32 v1, v3, v1
	s_mov_b32 s12, 0xc2b2ae35
	v_mul_f32_e32 v0, 0x4f7ffffe, v0
	v_cvt_u32_f32_e32 v0, v0
	v_mul_lo_u32 v1, v1, s12
	s_sub_i32 s12, 0, s52
	v_xor_b32_sdwa v1, v1, v1 dst_sel:DWORD dst_unused:UNUSED_PAD src0_sel:WORD_1 src1_sel:DWORD
	v_mul_lo_u32 v3, s12, v0
	v_mul_hi_u32 v3, v0, v3
	v_add_u32_e32 v0, v0, v3
	v_mul_hi_u32 v0, v1, v0
	v_mul_lo_u32 v0, v0, s52
	v_sub_u32_e32 v0, v1, v0
	s_load_dwordx4 s[8:11], s[4:5], 0x50
	v_subrev_u32_e32 v1, s52, v0
	v_cmp_le_u32_e32 vcc, s52, v0
	v_cndmask_b32_e32 v0, v0, v1, vcc
	v_subrev_u32_e32 v1, s52, v0
	v_cmp_le_u32_e32 vcc, s52, v0
	v_cndmask_b32_e32 v0, v0, v1, vcc
	v_mov_b32_e32 v1, 0
	v_lshlrev_b64 v[4:5], 2, v[0:1]
	s_waitcnt lgkmcnt(0)
	v_mov_b32_e32 v3, s9
	v_add_co_u32_e32 v4, vcc, s8, v4
	v_addc_co_u32_e32 v5, vcc, v3, v5, vcc
	global_load_dword v3, v[4:5], off
	s_mov_b64 s[14:15], -1
                                        ; implicit-def: $sgpr18
	s_waitcnt vmcnt(0)
	v_cmp_ne_u32_e32 vcc, v3, v2
	s_and_saveexec_b64 s[12:13], vcc
	s_cbranch_execz .LBB3_36
; %bb.31:
	s_mov_b64 s[14:15], 0
                                        ; implicit-def: $sgpr16_sgpr17
                                        ; implicit-def: $sgpr20_sgpr21
                                        ; implicit-def: $sgpr18_sgpr19
	s_branch .LBB3_33
.LBB3_32:                               ;   in Loop: Header=BB3_33 Depth=1
	s_or_b64 exec, exec, s[22:23]
	s_xor_b64 s[22:23], s[18:19], -1
	s_and_b64 s[24:25], exec, s[20:21]
	s_or_b64 s[14:15], s[24:25], s[14:15]
	s_andn2_b64 s[16:17], s[16:17], exec
	s_and_b64 s[22:23], s[22:23], exec
	s_or_b64 s[16:17], s[16:17], s[22:23]
	s_andn2_b64 exec, exec, s[14:15]
	s_cbranch_execz .LBB3_35
.LBB3_33:                               ; =>This Inner Loop Header: Depth=1
	v_cmp_ne_u32_e32 vcc, -1, v3
	s_or_b64 s[18:19], s[18:19], exec
	s_or_b64 s[20:21], s[20:21], exec
                                        ; implicit-def: $vgpr3
	s_and_saveexec_b64 s[22:23], vcc
	s_cbranch_execz .LBB3_32
; %bb.34:                               ;   in Loop: Header=BB3_33 Depth=1
	v_add_u32_e32 v0, 1, v0
	v_cmp_ne_u32_e32 vcc, s52, v0
	v_cndmask_b32_e32 v0, 0, v0, vcc
	v_lshlrev_b64 v[4:5], 2, v[0:1]
	v_mov_b32_e32 v3, s9
	v_add_co_u32_e32 v4, vcc, s8, v4
	v_addc_co_u32_e32 v5, vcc, v3, v5, vcc
	global_load_dword v3, v[4:5], off
	s_andn2_b64 s[20:21], s[20:21], exec
	s_andn2_b64 s[18:19], s[18:19], exec
	s_waitcnt vmcnt(0)
	v_cmp_eq_u32_e32 vcc, v3, v2
	s_and_b64 s[24:25], vcc, exec
	s_or_b64 s[20:21], s[20:21], s[24:25]
	s_branch .LBB3_32
.LBB3_35:
	s_or_b64 exec, exec, s[14:15]
	s_mov_b32 s18, -1
	s_orn2_b64 s[14:15], s[16:17], exec
.LBB3_36:
	s_or_b64 exec, exec, s[12:13]
	v_mov_b32_e32 v41, s18
	s_and_saveexec_b64 s[8:9], s[14:15]
	s_cbranch_execz .LBB3_38
; %bb.37:
	v_lshlrev_b64 v[0:1], 2, v[0:1]
	v_mov_b32_e32 v2, s11
	v_add_co_u32_e32 v0, vcc, s10, v0
	v_addc_co_u32_e32 v1, vcc, v2, v1, vcc
	global_load_dword v41, v[0:1], off
.LBB3_38:
	s_or_b64 exec, exec, s[8:9]
.LBB3_39:
	s_or_b64 exec, exec, s[6:7]
	s_waitcnt vmcnt(0)
	v_cmp_eq_u32_e32 vcc, -1, v41
	s_mov_b64 s[6:7], -1
	s_mov_b64 s[10:11], s[26:27]
	s_and_saveexec_b64 s[38:39], vcc
	s_cbranch_execz .LBB3_41
; %bb.40:
	s_add_u32 s8, s4, 0x78
	s_addc_u32 s9, s5, 0
	s_getpc_b64 s[4:5]
	s_add_u32 s4, s4, .str.2@rel32@lo+4
	s_addc_u32 s5, s5, .str.2@rel32@hi+12
	s_getpc_b64 s[6:7]
	s_add_u32 s6, s6, .str.1@rel32@lo+4
	s_addc_u32 s7, s7, .str.1@rel32@hi+12
	s_getpc_b64 s[10:11]
	s_add_u32 s10, s10, __PRETTY_FUNCTION__._Z19prepareDataToInsertPiS_S_PyPjS_S1_PKyPKjiS5_S5_iiiiii@rel32@lo+4
	s_addc_u32 s11, s11, __PRETTY_FUNCTION__._Z19prepareDataToInsertPiS_S_PyPjS_S1_PKyPKjiS5_S5_iiiiii@rel32@hi+12
	v_mov_b32_e32 v0, s4
	v_mov_b32_e32 v1, s5
	;; [unrolled: 1-line block ×7, first 2 shown]
	s_getpc_b64 s[12:13]
	s_add_u32 s12, s12, __assert_fail@rel32@lo+4
	s_addc_u32 s13, s13, __assert_fail@rel32@hi+12
	s_swappc_b64 s[30:31], s[12:13]
	s_xor_b64 s[6:7], exec, -1
	s_or_b64 s[10:11], s[26:27], exec
.LBB3_41:
	s_or_b64 exec, exec, s[38:39]
	s_andn2_b64 s[4:5], s[26:27], exec
	s_and_b64 s[10:11], s[10:11], exec
	s_and_b64 s[6:7], s[6:7], exec
	s_xor_b64 s[8:9], exec, -1
	s_or_b64 s[10:11], s[4:5], s[10:11]
.LBB3_42:
	s_or_b64 exec, exec, s[36:37]
	s_andn2_b64 s[4:5], s[26:27], exec
	s_and_b64 s[10:11], s[10:11], exec
	v_pk_mov_b32 v[0:1], s[48:49], s[48:49] op_sel:[0,1]
	s_orn2_b64 s[6:7], s[6:7], exec
	s_and_b64 s[8:9], s[8:9], exec
	s_or_b64 s[10:11], s[4:5], s[10:11]
.LBB3_43:
	s_or_b64 exec, exec, s[34:35]
	s_and_b64 s[34:35], s[8:9], exec
	s_andn2_b64 s[4:5], s[26:27], exec
	s_and_b64 s[8:9], s[10:11], exec
	s_and_b64 s[6:7], s[6:7], exec
	s_or_b64 s[26:27], s[4:5], s[8:9]
	s_or_b64 exec, exec, s[28:29]
	s_and_saveexec_b64 s[4:5], s[26:27]
	s_cbranch_execnz .LBB3_20
.LBB3_44:
	s_or_b64 exec, exec, s[4:5]
	s_and_saveexec_b64 s[4:5], s[34:35]
	s_cbranch_execz .LBB3_21
.LBB3_45:
	v_mov_b32_e32 v3, s47
	v_add_co_u32_e32 v2, vcc, s46, v42
	v_addc_co_u32_e32 v3, vcc, v3, v43, vcc
	v_mov_b32_e32 v4, 1
	global_store_dword v[2:3], v4, off
	v_lshlrev_b64 v[2:3], 3, v[44:45]
	v_mov_b32_e32 v4, s43
	v_add_co_u32_e32 v2, vcc, s42, v2
	v_max_i32_e32 v0, v55, v54
	v_min_i32_e32 v1, v55, v54
	v_addc_co_u32_e32 v3, vcc, v4, v3, vcc
	global_store_dwordx2 v[2:3], v[0:1], off
	v_mov_b32_e32 v1, s45
	v_add_co_u32_e32 v0, vcc, s44, v42
	v_add_u32_e32 v2, s53, v44
	v_addc_co_u32_e32 v1, vcc, v1, v43, vcc
	global_store_dword v[0:1], v2, off
	s_waitcnt vmcnt(4)
	v_max_i32_e32 v0, v47, v46
	v_add_u32_e32 v41, 1, v0
	v_pk_mov_b32 v[0:1], s[48:49], s[48:49] op_sel:[0,1]
	s_or_b64 s[6:7], s[6:7], exec
	s_or_b64 exec, exec, s[4:5]
	s_and_b64 exec, exec, s[6:7]
	s_cbranch_execnz .LBB3_22
	s_branch .LBB3_23
	.section	.rodata,"a",@progbits
	.p2align	6, 0x0
	.amdhsa_kernel _Z19prepareDataToInsertPiS_S_PyPjS_S1_PKyPKjiS5_S5_iiiiii
		.amdhsa_group_segment_fixed_size 0
		.amdhsa_private_segment_fixed_size 64
		.amdhsa_kernarg_size 376
		.amdhsa_user_sgpr_count 8
		.amdhsa_user_sgpr_private_segment_buffer 1
		.amdhsa_user_sgpr_dispatch_ptr 0
		.amdhsa_user_sgpr_queue_ptr 0
		.amdhsa_user_sgpr_kernarg_segment_ptr 1
		.amdhsa_user_sgpr_dispatch_id 0
		.amdhsa_user_sgpr_flat_scratch_init 1
		.amdhsa_user_sgpr_kernarg_preload_length 0
		.amdhsa_user_sgpr_kernarg_preload_offset 0
		.amdhsa_user_sgpr_private_segment_size 0
		.amdhsa_uses_dynamic_stack 0
		.amdhsa_system_sgpr_private_segment_wavefront_offset 1
		.amdhsa_system_sgpr_workgroup_id_x 1
		.amdhsa_system_sgpr_workgroup_id_y 0
		.amdhsa_system_sgpr_workgroup_id_z 0
		.amdhsa_system_sgpr_workgroup_info 0
		.amdhsa_system_vgpr_workitem_id 0
		.amdhsa_next_free_vgpr 56
		.amdhsa_next_free_sgpr 56
		.amdhsa_accum_offset 56
		.amdhsa_reserve_vcc 1
		.amdhsa_reserve_flat_scratch 1
		.amdhsa_float_round_mode_32 0
		.amdhsa_float_round_mode_16_64 0
		.amdhsa_float_denorm_mode_32 3
		.amdhsa_float_denorm_mode_16_64 3
		.amdhsa_dx10_clamp 1
		.amdhsa_ieee_mode 1
		.amdhsa_fp16_overflow 0
		.amdhsa_tg_split 0
		.amdhsa_exception_fp_ieee_invalid_op 0
		.amdhsa_exception_fp_denorm_src 0
		.amdhsa_exception_fp_ieee_div_zero 0
		.amdhsa_exception_fp_ieee_overflow 0
		.amdhsa_exception_fp_ieee_underflow 0
		.amdhsa_exception_fp_ieee_inexact 0
		.amdhsa_exception_int_div_zero 0
	.end_amdhsa_kernel
	.text
.Lfunc_end3:
	.size	_Z19prepareDataToInsertPiS_S_PyPjS_S1_PKyPKjiS5_S5_iiiiii, .Lfunc_end3-_Z19prepareDataToInsertPiS_S_PyPjS_S1_PKyPKjiS5_S5_iiiiii
                                        ; -- End function
	.section	.AMDGPU.csdata,"",@progbits
; Kernel info:
; codeLenInByte = 2612
; NumSgprs: 62
; NumVgprs: 56
; NumAgprs: 0
; TotalNumVgprs: 56
; ScratchSize: 64
; MemoryBound: 0
; FloatMode: 240
; IeeeMode: 1
; LDSByteSize: 0 bytes/workgroup (compile time only)
; SGPRBlocks: 7
; VGPRBlocks: 6
; NumSGPRsForWavesPerEU: 62
; NumVGPRsForWavesPerEU: 56
; AccumOffset: 56
; Occupancy: 8
; WaveLimiterHint : 1
; COMPUTE_PGM_RSRC2:SCRATCH_EN: 1
; COMPUTE_PGM_RSRC2:USER_SGPR: 8
; COMPUTE_PGM_RSRC2:TRAP_HANDLER: 0
; COMPUTE_PGM_RSRC2:TGID_X_EN: 1
; COMPUTE_PGM_RSRC2:TGID_Y_EN: 0
; COMPUTE_PGM_RSRC2:TGID_Z_EN: 0
; COMPUTE_PGM_RSRC2:TIDIG_COMP_CNT: 0
; COMPUTE_PGM_RSRC3_GFX90A:ACCUM_OFFSET: 13
; COMPUTE_PGM_RSRC3_GFX90A:TG_SPLIT: 0
	.text
	.protected	_Z23sharedNodeDrivenPermutePiS_S_PKyPKjiii ; -- Begin function _Z23sharedNodeDrivenPermutePiS_S_PKyPKjiii
	.globl	_Z23sharedNodeDrivenPermutePiS_S_PKyPKjiii
	.p2align	8
	.type	_Z23sharedNodeDrivenPermutePiS_S_PKyPKjiii,@function
_Z23sharedNodeDrivenPermutePiS_S_PKyPKjiii: ; @_Z23sharedNodeDrivenPermutePiS_S_PKyPKjiii
; %bb.0:
	s_add_u32 flat_scratch_lo, s6, s9
	s_load_dword s6, s[4:5], 0x44
	s_load_dwordx4 s[44:47], s[4:5], 0x28
	s_addc_u32 flat_scratch_hi, s7, 0
	s_add_u32 s0, s0, s9
	s_addc_u32 s1, s1, 0
	s_waitcnt lgkmcnt(0)
	s_and_b32 s6, s6, 0xffff
	s_mul_i32 s8, s8, s6
	v_add_u32_e32 v0, s8, v0
	v_cmp_gt_i32_e32 vcc, s45, v0
	s_mov_b32 s32, 0
	s_and_saveexec_b64 s[6:7], vcc
	s_cbranch_execz .LBB4_6
; %bb.1:
	s_load_dwordx8 s[36:43], s[4:5], 0x0
	v_ashrrev_i32_e32 v1, 31, v0
	v_lshlrev_b64 v[2:3], 2, v[0:1]
	s_waitcnt lgkmcnt(0)
	v_mov_b32_e32 v1, s41
	v_add_co_u32_e32 v2, vcc, s40, v2
	v_addc_co_u32_e32 v3, vcc, v1, v3, vcc
	global_load_dword v41, v[2:3], off
	s_waitcnt vmcnt(0)
	v_cmp_lt_i32_e32 vcc, 1, v41
	s_and_b64 exec, exec, vcc
	s_cbranch_execz .LBB4_6
; %bb.2:
	s_load_dwordx2 s[26:27], s[4:5], 0x20
	v_mul_lo_u32 v42, v0, s46
	v_cmp_ne_u32_e32 vcc, 2, v41
	s_mov_b64 s[6:7], -1
	s_mov_b64 s[28:29], 0
	v_mov_b32_e32 v18, 0
	v_mov_b32_e32 v19, 0
	s_and_saveexec_b64 s[34:35], vcc
	s_cbranch_execnz .LBB4_7
; %bb.3:
	s_or_b64 exec, exec, s[34:35]
	s_and_saveexec_b64 s[34:35], s[6:7]
	s_cbranch_execnz .LBB4_14
.LBB4_4:
	s_or_b64 exec, exec, s[34:35]
	s_and_b64 exec, exec, s[28:29]
.LBB4_5:
	; divergent unreachable
.LBB4_6:
	s_endpgm
.LBB4_7:
	v_ashrrev_i32_e32 v1, 31, v42
	v_ashrrev_i32_e32 v0, 31, v41
	v_add_co_u32_e32 v2, vcc, v41, v42
	v_addc_co_u32_e32 v3, vcc, v0, v1, vcc
	v_lshlrev_b64 v[2:3], 2, v[2:3]
	v_mov_b32_e32 v0, s39
	v_add_co_u32_e32 v2, vcc, s38, v2
	v_addc_co_u32_e32 v3, vcc, v0, v3, vcc
	global_load_dword v0, v[2:3], off offset:-8
	v_add_u32_e32 v4, -3, v41
	v_add_u32_e32 v2, v4, v42
	v_ashrrev_i32_e32 v3, 31, v2
	v_lshlrev_b64 v[2:3], 2, v[2:3]
	v_mov_b32_e32 v5, s39
	v_add_co_u32_e32 v2, vcc, s38, v2
	v_addc_co_u32_e32 v3, vcc, v5, v3, vcc
	s_mov_b64 s[6:7], 0
                                        ; implicit-def: $sgpr8_sgpr9
	s_branch .LBB4_9
.LBB4_8:                                ;   in Loop: Header=BB4_9 Depth=1
	s_or_b64 exec, exec, s[10:11]
	s_and_b64 s[10:11], exec, s[8:9]
	v_mov_b32_e32 v43, v4
	s_or_b64 s[6:7], s[10:11], s[6:7]
	v_mov_b32_e32 v4, v5
	s_andn2_b64 exec, exec, s[6:7]
	s_cbranch_execz .LBB4_11
.LBB4_9:                                ; =>This Inner Loop Header: Depth=1
	global_load_dword v5, v[2:3], off
	s_or_b64 s[8:9], s[8:9], exec
	s_waitcnt vmcnt(0)
	v_cmp_eq_u32_e32 vcc, v5, v0
                                        ; implicit-def: $vgpr5
	s_and_saveexec_b64 s[10:11], vcc
	s_cbranch_execz .LBB4_8
; %bb.10:                               ;   in Loop: Header=BB4_9 Depth=1
	v_add_co_u32_e32 v2, vcc, -4, v2
	v_addc_co_u32_e32 v3, vcc, -1, v3, vcc
	v_cmp_gt_i32_e32 vcc, 1, v4
	s_andn2_b64 s[8:9], s[8:9], exec
	s_and_b64 s[12:13], vcc, exec
	v_add_u32_e32 v5, -1, v4
	v_mov_b32_e32 v4, -1
	s_or_b64 s[8:9], s[8:9], s[12:13]
	s_branch .LBB4_8
.LBB4_11:
	s_or_b64 exec, exec, s[6:7]
	v_ashrrev_i32_e32 v3, 31, v43
	v_add_co_u32_e32 v2, vcc, v43, v42
	v_addc_co_u32_e32 v3, vcc, v3, v1, vcc
	v_lshlrev_b64 v[2:3], 2, v[2:3]
	v_mov_b32_e32 v1, s39
	v_add_co_u32_e32 v2, vcc, s38, v2
	v_addc_co_u32_e32 v3, vcc, v1, v3, vcc
	global_load_dword v1, v[2:3], off offset:4
	s_mov_b64 s[6:7], -1
	s_mov_b64 s[8:9], 0
	s_waitcnt vmcnt(0)
	v_cmp_ne_u32_e32 vcc, v1, v0
	s_and_saveexec_b64 s[28:29], vcc
	s_cbranch_execz .LBB4_13
; %bb.12:
	s_add_u32 s8, s4, 56
	s_addc_u32 s9, s5, 0
	s_getpc_b64 s[6:7]
	s_add_u32 s6, s6, .str.3@rel32@lo+4
	s_addc_u32 s7, s7, .str.3@rel32@hi+12
	s_getpc_b64 s[10:11]
	s_add_u32 s10, s10, .str.1@rel32@lo+4
	s_addc_u32 s11, s11, .str.1@rel32@hi+12
	s_getpc_b64 s[12:13]
	s_add_u32 s12, s12, __PRETTY_FUNCTION__._Z23sharedNodeDrivenPermutePiS_S_PKyPKjiii@rel32@lo+4
	s_addc_u32 s13, s13, __PRETTY_FUNCTION__._Z23sharedNodeDrivenPermutePiS_S_PKyPKjiii@rel32@hi+12
	v_mov_b32_e32 v0, s6
	v_mov_b32_e32 v1, s7
	;; [unrolled: 1-line block ×7, first 2 shown]
	s_getpc_b64 s[14:15]
	s_add_u32 s14, s14, __assert_fail@rel32@lo+4
	s_addc_u32 s15, s15, __assert_fail@rel32@hi+12
	s_mov_b64 s[40:41], s[4:5]
	s_swappc_b64 s[30:31], s[14:15]
	s_mov_b64 s[4:5], s[40:41]
	s_mov_b64 s[8:9], exec
	s_xor_b64 s[6:7], exec, -1
.LBB4_13:
	s_or_b64 exec, exec, s[28:29]
	v_add_u32_e32 v19, -2, v41
	v_add_u32_e32 v18, 1, v43
	s_and_b64 s[28:29], s[8:9], exec
	s_orn2_b64 s[6:7], s[6:7], exec
	s_or_b64 exec, exec, s[34:35]
	s_and_saveexec_b64 s[34:35], s[6:7]
	s_cbranch_execz .LBB4_4
.LBB4_14:
	v_cmp_le_i32_e32 vcc, v18, v19
	s_and_saveexec_b64 s[6:7], vcc
	s_xor_b64 s[14:15], exec, s[6:7]
	s_cbranch_execz .LBB4_42
; %bb.15:
	v_cmp_lt_u32_e32 vcc, v18, v19
	s_and_saveexec_b64 s[16:17], vcc
	s_cbranch_execz .LBB4_41
; %bb.16:
	v_add_u32_e32 v0, v19, v42
	v_ashrrev_i32_e32 v1, 31, v0
	v_lshlrev_b64 v[0:1], 2, v[0:1]
	v_mov_b32_e32 v3, s37
	v_add_co_u32_e32 v2, vcc, s36, v0
	v_addc_co_u32_e32 v3, vcc, v3, v1, vcc
	global_load_dwordx2 v[4:5], v[2:3], off
	s_ashr_i32 s45, s44, 31
	v_cvt_f32_u32_e32 v6, s44
	v_cvt_f32_u32_e32 v7, s45
	s_mov_b64 s[18:19], 0
	v_mov_b32_e32 v20, s37
	s_mov_b32 s33, 0xff51afd7
	v_mac_f32_e32 v6, 0x4f800000, v7
	v_rcp_f32_e32 v6, v6
	s_mov_b32 s37, 0xed558ccd
	s_mov_b32 s50, 0x1a85ec53
	;; [unrolled: 1-line block ×3, first 2 shown]
	v_mul_f32_e32 v6, 0x5f7ffffc, v6
	v_mul_f32_e32 v7, 0x2f800000, v6
	v_trunc_f32_e32 v7, v7
	v_mac_f32_e32 v6, 0xcf800000, v7
	v_cvt_u32_f32_e32 v21, v7
	v_cvt_u32_f32_e32 v22, v6
	v_mov_b32_e32 v10, 0
                                        ; implicit-def: $sgpr20_sgpr21
                                        ; implicit-def: $sgpr22_sgpr23
	s_waitcnt vmcnt(0)
	v_cmp_eq_u32_e64 s[6:7], 0, v5
	v_cmp_eq_u32_e64 s[8:9], 1, v5
	s_branch .LBB4_19
.LBB4_17:                               ;   in Loop: Header=BB4_19 Depth=1
	s_or_b64 exec, exec, s[30:31]
	s_andn2_b64 s[22:23], s[22:23], exec
	s_and_b64 s[12:13], s[12:13], exec
	s_or_b64 s[22:23], s[22:23], s[12:13]
	s_orn2_b64 s[10:11], s[10:11], exec
.LBB4_18:                               ;   in Loop: Header=BB4_19 Depth=1
	s_or_b64 exec, exec, s[24:25]
	s_and_b64 s[10:11], exec, s[10:11]
	s_or_b64 s[18:19], s[10:11], s[18:19]
	s_andn2_b64 s[10:11], s[20:21], exec
	s_and_b64 s[12:13], s[22:23], exec
	s_or_b64 s[20:21], s[10:11], s[12:13]
	s_andn2_b64 exec, exec, s[18:19]
	s_cbranch_execz .LBB4_38
.LBB4_19:                               ; =>This Loop Header: Depth=1
                                        ;     Child Loop BB4_31 Depth 2
	v_add_u32_e32 v6, v19, v42
	v_ashrrev_i32_e32 v7, 31, v6
	v_lshlrev_b64 v[6:7], 2, v[6:7]
	v_add_co_u32_e32 v8, vcc, s36, v6
	v_addc_co_u32_e32 v9, vcc, v20, v7, vcc
	global_load_dword v23, v[8:9], off
	v_mov_b32_e32 v11, v5
	s_waitcnt vmcnt(0)
	v_cmp_ne_u32_e32 vcc, v5, v23
	s_and_saveexec_b64 s[10:11], vcc
	s_cbranch_execz .LBB4_23
; %bb.20:                               ;   in Loop: Header=BB4_19 Depth=1
	v_xor_b32_e32 v11, v23, v5
	v_cmp_ne_u32_e32 vcc, 1, v11
	v_mov_b32_e32 v11, 1
	s_and_saveexec_b64 s[12:13], vcc
; %bb.21:                               ;   in Loop: Header=BB4_19 Depth=1
	v_cmp_eq_u32_e32 vcc, 1, v23
	s_or_b64 s[24:25], s[8:9], vcc
	v_cndmask_b32_e64 v11, -1, 1, s[24:25]
	v_cmp_eq_u32_e32 vcc, 0, v23
	v_cndmask_b32_e32 v11, v11, v5, vcc
	v_cndmask_b32_e64 v11, v11, v23, s[6:7]
; %bb.22:                               ;   in Loop: Header=BB4_19 Depth=1
	s_or_b64 exec, exec, s[12:13]
.LBB4_23:                               ;   in Loop: Header=BB4_19 Depth=1
	s_or_b64 exec, exec, s[10:11]
	v_cmp_eq_u32_e32 vcc, -1, v11
	s_mov_b64 s[10:11], -1
	s_or_b64 s[22:23], s[22:23], exec
	s_and_saveexec_b64 s[24:25], vcc
	s_cbranch_execz .LBB4_18
; %bb.24:                               ;   in Loop: Header=BB4_19 Depth=1
	v_min_i32_e32 v13, v5, v23
	v_max_i32_e32 v12, v5, v23
	v_lshrrev_b32_e32 v11, 1, v13
	v_xor_b32_e32 v11, v12, v11
	v_mul_lo_u32 v16, v11, s33
	v_mad_u64_u32 v[14:15], s[10:11], v11, s37, 0
	v_mul_lo_u32 v11, v13, s37
	v_add3_u32 v11, v15, v16, v11
	v_lshrrev_b32_e32 v15, 1, v11
	v_xor_b32_e32 v14, v15, v14
	v_mul_lo_u32 v11, v11, s50
	v_mul_lo_u32 v16, v14, s51
	v_mad_u64_u32 v[14:15], s[10:11], v14, s50, 0
	v_add3_u32 v17, v15, v16, v11
	v_lshrrev_b32_e32 v11, 1, v17
	v_xor_b32_e32 v16, v11, v14
	v_or_b32_e32 v11, s45, v17
	v_cmp_ne_u64_e32 vcc, 0, v[10:11]
                                        ; implicit-def: $vgpr14_vgpr15
	s_and_saveexec_b64 s[10:11], vcc
	s_xor_b64 s[30:31], exec, s[10:11]
	s_cbranch_execz .LBB4_26
; %bb.25:                               ;   in Loop: Header=BB4_19 Depth=1
	s_sub_u32 s10, 0, s44
	s_subb_u32 s11, 0, s45
	v_mul_hi_u32 v14, s10, v22
	v_mul_lo_u32 v15, s10, v21
	v_mul_lo_u32 v11, s11, v22
	v_add_u32_e32 v14, v14, v15
	v_add_u32_e32 v11, v14, v11
	v_mul_lo_u32 v24, s10, v22
	v_mul_lo_u32 v15, v22, v11
	v_mul_hi_u32 v25, v22, v24
	v_mul_hi_u32 v14, v22, v11
	v_add_co_u32_e32 v15, vcc, v25, v15
	v_addc_co_u32_e32 v14, vcc, 0, v14, vcc
	v_mul_hi_u32 v26, v21, v24
	v_mul_lo_u32 v24, v21, v24
	v_add_co_u32_e32 v15, vcc, v15, v24
	v_mul_hi_u32 v25, v21, v11
	v_addc_co_u32_e32 v14, vcc, v14, v26, vcc
	v_addc_co_u32_e32 v15, vcc, 0, v25, vcc
	v_mul_lo_u32 v11, v21, v11
	v_add_co_u32_e32 v11, vcc, v14, v11
	v_addc_co_u32_e32 v14, vcc, 0, v15, vcc
	v_add_co_u32_e32 v11, vcc, v22, v11
	v_addc_co_u32_e32 v14, vcc, v21, v14, vcc
	v_mul_lo_u32 v15, s10, v14
	v_mul_hi_u32 v24, s10, v11
	v_add_u32_e32 v15, v24, v15
	v_mul_lo_u32 v24, s11, v11
	v_add_u32_e32 v15, v15, v24
	v_mul_lo_u32 v25, s10, v11
	v_mul_hi_u32 v26, v14, v25
	v_mul_lo_u32 v27, v14, v25
	v_mul_lo_u32 v29, v11, v15
	v_mul_hi_u32 v25, v11, v25
	v_mul_hi_u32 v28, v11, v15
	v_add_co_u32_e32 v25, vcc, v25, v29
	v_addc_co_u32_e32 v28, vcc, 0, v28, vcc
	v_add_co_u32_e32 v25, vcc, v25, v27
	v_mul_hi_u32 v24, v14, v15
	v_addc_co_u32_e32 v25, vcc, v28, v26, vcc
	v_addc_co_u32_e32 v24, vcc, 0, v24, vcc
	v_mul_lo_u32 v15, v14, v15
	v_add_co_u32_e32 v15, vcc, v25, v15
	v_addc_co_u32_e32 v24, vcc, 0, v24, vcc
	v_add_co_u32_e32 v11, vcc, v11, v15
	v_addc_co_u32_e32 v24, vcc, v14, v24, vcc
	v_mad_u64_u32 v[14:15], s[10:11], v16, v24, 0
	v_mul_hi_u32 v25, v16, v11
	v_add_co_u32_e32 v26, vcc, v25, v14
	v_addc_co_u32_e32 v27, vcc, 0, v15, vcc
	v_mad_u64_u32 v[14:15], s[10:11], v17, v24, 0
	v_mad_u64_u32 v[24:25], s[10:11], v17, v11, 0
	v_add_co_u32_e32 v11, vcc, v26, v24
	v_addc_co_u32_e32 v11, vcc, v27, v25, vcc
	v_addc_co_u32_e32 v15, vcc, 0, v15, vcc
	v_add_co_u32_e32 v11, vcc, v11, v14
	v_addc_co_u32_e32 v14, vcc, 0, v15, vcc
	v_mul_lo_u32 v24, s45, v11
	v_mul_lo_u32 v25, s44, v14
	v_mad_u64_u32 v[14:15], s[10:11], s44, v11, 0
	v_add3_u32 v11, v15, v25, v24
	v_sub_u32_e32 v15, v17, v11
	v_mov_b32_e32 v24, s45
	v_sub_co_u32_e32 v14, vcc, v16, v14
	v_subb_co_u32_e64 v15, s[10:11], v15, v24, vcc
	v_subrev_co_u32_e64 v16, s[10:11], s44, v14
	v_subbrev_co_u32_e64 v25, s[12:13], 0, v15, s[10:11]
	v_cmp_le_u32_e64 s[12:13], s45, v25
	v_cndmask_b32_e64 v26, 0, -1, s[12:13]
	v_cmp_le_u32_e64 s[12:13], s44, v16
	v_subb_co_u32_e64 v15, s[10:11], v15, v24, s[10:11]
	v_cndmask_b32_e64 v27, 0, -1, s[12:13]
	v_cmp_eq_u32_e64 s[12:13], s45, v25
	v_subrev_co_u32_e64 v24, s[10:11], s44, v16
	v_subb_co_u32_e32 v11, vcc, v17, v11, vcc
	v_cndmask_b32_e64 v26, v26, v27, s[12:13]
	v_subbrev_co_u32_e64 v15, s[10:11], 0, v15, s[10:11]
	v_cmp_le_u32_e32 vcc, s45, v11
	v_cmp_ne_u32_e64 s[10:11], 0, v26
	v_cndmask_b32_e64 v17, 0, -1, vcc
	v_cmp_le_u32_e32 vcc, s44, v14
	v_cndmask_b32_e64 v15, v25, v15, s[10:11]
	v_cndmask_b32_e64 v25, 0, -1, vcc
	v_cmp_eq_u32_e32 vcc, s45, v11
	v_cndmask_b32_e32 v17, v17, v25, vcc
	v_cmp_ne_u32_e32 vcc, 0, v17
	v_cndmask_b32_e32 v15, v11, v15, vcc
	v_cndmask_b32_e64 v11, v16, v24, s[10:11]
	v_cndmask_b32_e32 v14, v14, v11, vcc
                                        ; implicit-def: $vgpr16
.LBB4_26:                               ;   in Loop: Header=BB4_19 Depth=1
	s_andn2_saveexec_b64 s[10:11], s[30:31]
	s_cbranch_execz .LBB4_28
; %bb.27:                               ;   in Loop: Header=BB4_19 Depth=1
	v_cvt_f32_u32_e32 v11, s44
	s_sub_i32 s12, 0, s44
	v_mov_b32_e32 v15, v10
	v_rcp_iflag_f32_e32 v11, v11
	v_mul_f32_e32 v11, 0x4f7ffffe, v11
	v_cvt_u32_f32_e32 v11, v11
	v_mul_lo_u32 v14, s12, v11
	v_mul_hi_u32 v14, v11, v14
	v_add_u32_e32 v11, v11, v14
	v_mul_hi_u32 v11, v16, v11
	v_mul_lo_u32 v11, v11, s44
	v_sub_u32_e32 v11, v16, v11
	v_subrev_u32_e32 v14, s44, v11
	v_cmp_le_u32_e32 vcc, s44, v11
	v_cndmask_b32_e32 v11, v11, v14, vcc
	v_subrev_u32_e32 v14, s44, v11
	v_cmp_le_u32_e32 vcc, s44, v11
	v_cndmask_b32_e32 v14, v11, v14, vcc
.LBB4_28:                               ;   in Loop: Header=BB4_19 Depth=1
	s_or_b64 exec, exec, s[10:11]
	v_lshlrev_b64 v[16:17], 3, v[14:15]
	v_mov_b32_e32 v11, s43
	v_add_co_u32_e32 v16, vcc, s42, v16
	v_addc_co_u32_e32 v17, vcc, v11, v17, vcc
	global_load_dwordx2 v[16:17], v[16:17], off
	s_mov_b64 s[12:13], -1
                                        ; implicit-def: $sgpr40
	s_waitcnt vmcnt(0)
	v_cmp_ne_u64_e32 vcc, v[16:17], v[12:13]
	s_and_saveexec_b64 s[10:11], vcc
	s_cbranch_execz .LBB4_34
; %bb.29:                               ;   in Loop: Header=BB4_19 Depth=1
	s_mov_b64 s[12:13], 0
                                        ; implicit-def: $sgpr30_sgpr31
                                        ; implicit-def: $sgpr46_sgpr47
                                        ; implicit-def: $sgpr40_sgpr41
	s_branch .LBB4_31
.LBB4_30:                               ;   in Loop: Header=BB4_31 Depth=2
	s_or_b64 exec, exec, s[48:49]
	s_xor_b64 s[48:49], s[40:41], -1
	s_and_b64 s[52:53], exec, s[46:47]
	s_or_b64 s[12:13], s[52:53], s[12:13]
	s_andn2_b64 s[30:31], s[30:31], exec
	s_and_b64 s[48:49], s[48:49], exec
	s_or_b64 s[30:31], s[30:31], s[48:49]
	s_andn2_b64 exec, exec, s[12:13]
	s_cbranch_execz .LBB4_33
.LBB4_31:                               ;   Parent Loop BB4_19 Depth=1
                                        ; =>  This Inner Loop Header: Depth=2
	v_cmp_ne_u64_e32 vcc, -1, v[16:17]
	s_or_b64 s[40:41], s[40:41], exec
	s_or_b64 s[46:47], s[46:47], exec
                                        ; implicit-def: $vgpr16_vgpr17
	s_and_saveexec_b64 s[48:49], vcc
	s_cbranch_execz .LBB4_30
; %bb.32:                               ;   in Loop: Header=BB4_31 Depth=2
	v_add_co_u32_e32 v14, vcc, 1, v14
	v_addc_co_u32_e32 v15, vcc, 0, v15, vcc
	v_cmp_ne_u64_e32 vcc, s[44:45], v[14:15]
	v_cndmask_b32_e32 v15, 0, v15, vcc
	v_cndmask_b32_e32 v14, 0, v14, vcc
	v_lshlrev_b64 v[16:17], 3, v[14:15]
	v_mov_b32_e32 v11, s43
	v_add_co_u32_e32 v16, vcc, s42, v16
	v_addc_co_u32_e32 v17, vcc, v11, v17, vcc
	global_load_dwordx2 v[16:17], v[16:17], off
	s_andn2_b64 s[46:47], s[46:47], exec
	s_andn2_b64 s[40:41], s[40:41], exec
	s_waitcnt vmcnt(0)
	v_cmp_eq_u64_e32 vcc, v[16:17], v[12:13]
	s_and_b64 s[52:53], vcc, exec
	s_or_b64 s[46:47], s[46:47], s[52:53]
	s_branch .LBB4_30
.LBB4_33:                               ;   in Loop: Header=BB4_19 Depth=1
	s_or_b64 exec, exec, s[12:13]
	s_mov_b32 s40, -1
	s_orn2_b64 s[12:13], s[30:31], exec
.LBB4_34:                               ;   in Loop: Header=BB4_19 Depth=1
	s_or_b64 exec, exec, s[10:11]
	v_mov_b32_e32 v11, s40
	s_and_saveexec_b64 s[10:11], s[12:13]
	s_cbranch_execz .LBB4_36
; %bb.35:                               ;   in Loop: Header=BB4_19 Depth=1
	v_lshlrev_b64 v[12:13], 2, v[14:15]
	s_waitcnt lgkmcnt(0)
	v_mov_b32_e32 v11, s27
	v_add_co_u32_e32 v12, vcc, s26, v12
	v_addc_co_u32_e32 v13, vcc, v11, v13, vcc
	global_load_dword v11, v[12:13], off
.LBB4_36:                               ;   in Loop: Header=BB4_19 Depth=1
	s_or_b64 exec, exec, s[10:11]
	s_waitcnt vmcnt(0)
	v_cmp_eq_u32_e32 vcc, -1, v11
	s_mov_b64 s[10:11], -1
	s_mov_b64 s[12:13], -1
	s_and_saveexec_b64 s[30:31], vcc
	s_cbranch_execz .LBB4_17
; %bb.37:                               ;   in Loop: Header=BB4_19 Depth=1
	v_add_u32_e32 v11, -1, v19
	v_cmp_le_i32_e32 vcc, v19, v18
	s_xor_b64 s[12:13], exec, -1
	s_orn2_b64 s[10:11], vcc, exec
	v_mov_b32_e32 v19, v11
	s_branch .LBB4_17
.LBB4_38:
	s_or_b64 exec, exec, s[18:19]
	s_and_saveexec_b64 s[6:7], s[20:21]
	s_xor_b64 s[6:7], exec, s[6:7]
	s_cbranch_execz .LBB4_41
; %bb.39:
	v_cmp_ne_u32_e32 vcc, v23, v4
	s_and_b64 exec, exec, vcc
	s_cbranch_execz .LBB4_41
; %bb.40:
	global_store_dword v[8:9], v4, off
	global_store_dword v[2:3], v23, off
	v_mov_b32_e32 v3, s39
	v_add_co_u32_e32 v2, vcc, s38, v6
	v_addc_co_u32_e32 v3, vcc, v3, v7, vcc
	v_mov_b32_e32 v4, s39
	v_add_co_u32_e32 v0, vcc, s38, v0
	v_addc_co_u32_e32 v1, vcc, v4, v1, vcc
	global_load_dword v4, v[0:1], off
	global_load_dword v5, v[2:3], off
	s_waitcnt vmcnt(1)
	global_store_dword v[2:3], v4, off
	s_waitcnt vmcnt(1)
	global_store_dword v[0:1], v5, off
.LBB4_41:
	s_or_b64 exec, exec, s[16:17]
.LBB4_42:
	s_waitcnt lgkmcnt(0)
	s_or_saveexec_b64 s[26:27], s[14:15]
	s_mov_b64 s[6:7], s[28:29]
	s_xor_b64 exec, exec, s[26:27]
	s_cbranch_execz .LBB4_44
; %bb.43:
	s_add_u32 s8, s4, 56
	s_addc_u32 s9, s5, 0
	s_getpc_b64 s[4:5]
	s_add_u32 s4, s4, .str.4@rel32@lo+4
	s_addc_u32 s5, s5, .str.4@rel32@hi+12
	s_getpc_b64 s[6:7]
	s_add_u32 s6, s6, .str.1@rel32@lo+4
	s_addc_u32 s7, s7, .str.1@rel32@hi+12
	s_getpc_b64 s[10:11]
	s_add_u32 s10, s10, __PRETTY_FUNCTION__._Z23sharedNodeDrivenPermutePiS_S_PKyPKjiii@rel32@lo+4
	s_addc_u32 s11, s11, __PRETTY_FUNCTION__._Z23sharedNodeDrivenPermutePiS_S_PKyPKjiii@rel32@hi+12
	v_mov_b32_e32 v0, s4
	v_mov_b32_e32 v1, s5
	;; [unrolled: 1-line block ×7, first 2 shown]
	s_getpc_b64 s[12:13]
	s_add_u32 s12, s12, __assert_fail@rel32@lo+4
	s_addc_u32 s13, s13, __assert_fail@rel32@hi+12
	s_swappc_b64 s[30:31], s[12:13]
	s_or_b64 s[6:7], s[28:29], exec
.LBB4_44:
	s_or_b64 exec, exec, s[26:27]
	s_andn2_b64 s[4:5], s[28:29], exec
	s_and_b64 s[6:7], s[6:7], exec
	s_or_b64 s[28:29], s[4:5], s[6:7]
	s_or_b64 exec, exec, s[34:35]
	s_and_b64 exec, exec, s[28:29]
	s_cbranch_execnz .LBB4_5
	s_branch .LBB4_6
	.section	.rodata,"a",@progbits
	.p2align	6, 0x0
	.amdhsa_kernel _Z23sharedNodeDrivenPermutePiS_S_PKyPKjiii
		.amdhsa_group_segment_fixed_size 0
		.amdhsa_private_segment_fixed_size 64
		.amdhsa_kernarg_size 312
		.amdhsa_user_sgpr_count 8
		.amdhsa_user_sgpr_private_segment_buffer 1
		.amdhsa_user_sgpr_dispatch_ptr 0
		.amdhsa_user_sgpr_queue_ptr 0
		.amdhsa_user_sgpr_kernarg_segment_ptr 1
		.amdhsa_user_sgpr_dispatch_id 0
		.amdhsa_user_sgpr_flat_scratch_init 1
		.amdhsa_user_sgpr_kernarg_preload_length 0
		.amdhsa_user_sgpr_kernarg_preload_offset 0
		.amdhsa_user_sgpr_private_segment_size 0
		.amdhsa_uses_dynamic_stack 0
		.amdhsa_system_sgpr_private_segment_wavefront_offset 1
		.amdhsa_system_sgpr_workgroup_id_x 1
		.amdhsa_system_sgpr_workgroup_id_y 0
		.amdhsa_system_sgpr_workgroup_id_z 0
		.amdhsa_system_sgpr_workgroup_info 0
		.amdhsa_system_vgpr_workitem_id 0
		.amdhsa_next_free_vgpr 54
		.amdhsa_next_free_sgpr 54
		.amdhsa_accum_offset 56
		.amdhsa_reserve_vcc 1
		.amdhsa_reserve_flat_scratch 1
		.amdhsa_float_round_mode_32 0
		.amdhsa_float_round_mode_16_64 0
		.amdhsa_float_denorm_mode_32 3
		.amdhsa_float_denorm_mode_16_64 3
		.amdhsa_dx10_clamp 1
		.amdhsa_ieee_mode 1
		.amdhsa_fp16_overflow 0
		.amdhsa_tg_split 0
		.amdhsa_exception_fp_ieee_invalid_op 0
		.amdhsa_exception_fp_denorm_src 0
		.amdhsa_exception_fp_ieee_div_zero 0
		.amdhsa_exception_fp_ieee_overflow 0
		.amdhsa_exception_fp_ieee_underflow 0
		.amdhsa_exception_fp_ieee_inexact 0
		.amdhsa_exception_int_div_zero 0
	.end_amdhsa_kernel
	.text
.Lfunc_end4:
	.size	_Z23sharedNodeDrivenPermutePiS_S_PKyPKjiii, .Lfunc_end4-_Z23sharedNodeDrivenPermutePiS_S_PKyPKjiii
                                        ; -- End function
	.section	.AMDGPU.csdata,"",@progbits
; Kernel info:
; codeLenInByte = 2340
; NumSgprs: 60
; NumVgprs: 54
; NumAgprs: 0
; TotalNumVgprs: 54
; ScratchSize: 64
; MemoryBound: 0
; FloatMode: 240
; IeeeMode: 1
; LDSByteSize: 0 bytes/workgroup (compile time only)
; SGPRBlocks: 7
; VGPRBlocks: 6
; NumSGPRsForWavesPerEU: 60
; NumVGPRsForWavesPerEU: 54
; AccumOffset: 56
; Occupancy: 8
; WaveLimiterHint : 1
; COMPUTE_PGM_RSRC2:SCRATCH_EN: 1
; COMPUTE_PGM_RSRC2:USER_SGPR: 8
; COMPUTE_PGM_RSRC2:TRAP_HANDLER: 0
; COMPUTE_PGM_RSRC2:TGID_X_EN: 1
; COMPUTE_PGM_RSRC2:TGID_Y_EN: 0
; COMPUTE_PGM_RSRC2:TGID_Z_EN: 0
; COMPUTE_PGM_RSRC2:TIDIG_COMP_CNT: 0
; COMPUTE_PGM_RSRC3_GFX90A:ACCUM_OFFSET: 13
; COMPUTE_PGM_RSRC3_GFX90A:TG_SPLIT: 0
	.section	.text.unlikely.,"ax",@progbits
	.p2align	2                               ; -- Begin function __ockl_dm_alloc
	.type	__ockl_dm_alloc,@function
__ockl_dm_alloc:                        ; @__ockl_dm_alloc
; %bb.0:
	s_waitcnt vmcnt(0) expcnt(0) lgkmcnt(0)
	s_or_saveexec_b64 s[4:5], -1
	buffer_store_dword v63, off, s[0:3], s32 offset:8 ; 4-byte Folded Spill
	s_mov_b64 exec, s[4:5]
	v_accvgpr_write_b32 a15, v40            ;  Reload Reuse
	v_accvgpr_write_b32 a20, v41            ;  Reload Reuse
	;; [unrolled: 1-line block ×13, first 2 shown]
	buffer_store_dword v61, off, s[0:3], s32 offset:4 ; 4-byte Folded Spill
	buffer_store_dword v62, off, s[0:3], s32 ; 4-byte Folded Spill
	v_writelane_b32 v63, s34, 0
	v_writelane_b32 v63, s35, 1
	;; [unrolled: 1-line block ×64, first 2 shown]
	v_mov_b32_e32 v3, v1
	v_mov_b32_e32 v2, v0
	v_cmp_ne_u64_e32 vcc, 0, v[2:3]
	v_pk_mov_b32 v[0:1], 0, 0
	s_and_saveexec_b64 s[24:25], vcc
	s_cbranch_execz .LBB5_688
; %bb.1:
	s_mov_b64 s[4:5], 0xc01
	v_cmp_gt_u64_e32 vcc, s[4:5], v[2:3]
	v_mbcnt_lo_u32_b32 v9, -1, 0
                                        ; implicit-def: $vgpr0_vgpr1
	s_and_saveexec_b64 s[4:5], vcc
	s_xor_b64 s[26:27], exec, s[4:5]
	s_cbranch_execz .LBB5_655
; %bb.2:
	s_load_dwordx2 s[28:29], s[8:9], 0x60
	v_max_u32_e32 v1, 16, v2
	v_ffbh_u32_e32 v2, v1
	s_brev_b32 s4, 1
	v_lshrrev_b32_e64 v3, v2, s4
	s_waitcnt lgkmcnt(0)
	s_add_u32 s30, s28, 0x2800
	s_addc_u32 s31, s29, 0
	s_add_u32 s6, s28, 0x1000
	s_addc_u32 s7, s29, 0
	;; [unrolled: 2-line block ×3, first 2 shown]
	v_cmp_gt_u32_e32 vcc, v1, v3
	s_add_u32 s12, s28, 0x1800
	v_cndmask_b32_e64 v3, 0, 1, vcc
	v_lshrrev_b32_e64 v4, v2, -2.0
	v_lshlrev_b32_e32 v2, 1, v2
	s_addc_u32 s13, s29, 0
	v_sub_u32_e32 v2, v3, v2
	v_cmp_gt_u32_e32 vcc, v1, v4
	s_add_u32 s34, s28, 0x1a800
	v_mov_b32_e32 v8, 0
	v_addc_co_u32_e32 v2, vcc, 54, v2, vcc
	s_addc_u32 s35, s29, 0
	v_mov_b32_e32 v3, v8
	s_add_u32 s36, s28, 0x1a808
	v_lshlrev_b64 v[4:5], 7, v[2:3]
	s_addc_u32 s37, s29, 0
	v_mov_b32_e32 v1, s29
	v_add_co_u32_e32 v30, vcc, s28, v4
	v_addc_co_u32_e32 v31, vcc, v1, v5, vcc
	v_lshlrev_b64 v[6:7], 5, v[2:3]
	s_getpc_b64 s[4:5]
	s_add_u32 s4, s4, __unnamed_1@rel32@lo+12
	s_addc_u32 s5, s5, __unnamed_1@rel32@hi+20
	v_mov_b32_e32 v1, s5
	v_add_co_u32_e32 v28, vcc, s4, v6
	v_addc_co_u32_e32 v29, vcc, v7, v1, vcc
	s_getpc_b64 s[4:5]
	s_add_u32 s4, s4, __unnamed_1@rel32@lo+4
	s_addc_u32 s5, s5, __unnamed_1@rel32@hi+12
	v_mov_b32_e32 v1, s5
	v_add_co_u32_e32 v34, vcc, s4, v6
	v_addc_co_u32_e32 v35, vcc, v7, v1, vcc
	v_mov_b32_e32 v1, s7
	v_add_co_u32_e32 v36, vcc, s6, v4
	v_addc_co_u32_e32 v37, vcc, v1, v5, vcc
	v_mov_b32_e32 v1, s11
	v_add_co_u32_e32 v48, vcc, s10, v4
	v_addc_co_u32_e32 v49, vcc, v1, v5, vcc
	v_mov_b32_e32 v1, s13
	v_add_co_u32_e32 v38, vcc, s12, v4
	v_addc_co_u32_e32 v39, vcc, v1, v5, vcc
	s_getpc_b64 s[4:5]
	s_add_u32 s4, s4, __unnamed_1@rel32@lo+24
	s_addc_u32 s5, s5, __unnamed_1@rel32@hi+32
	s_mov_b64 s[38:39], 0xbf
	v_mov_b32_e32 v1, s5
	v_add_co_u32_e32 v54, vcc, s4, v6
	v_lshrrev_b64 v[4:5], v2, s[38:39]
	v_addc_co_u32_e32 v55, vcc, v7, v1, vcc
	v_and_b32_e32 v1, 1, v4
	s_getpc_b64 s[6:7]
	s_add_u32 s6, s6, __unnamed_1@rel32@lo+20
	s_addc_u32 s7, s7, __unnamed_1@rel32@hi+28
	v_cmp_eq_u32_e64 s[4:5], 1, v1
	v_mov_b32_e32 v1, s7
	v_add_co_u32_e32 v42, vcc, s6, v6
	s_getpc_b64 s[6:7]
	s_add_u32 s6, s6, __unnamed_1@rel32@lo+28
	s_addc_u32 s7, s7, __unnamed_1@rel32@hi+36
	s_add_u32 s70, s28, 0x900
	s_addc_u32 s71, s29, 0
	s_add_u32 s72, s28, 0x100
	s_addc_u32 s73, s29, 0
	s_add_u32 s74, s28, 0x1100
	v_addc_co_u32_e32 v43, vcc, v7, v1, vcc
	s_addc_u32 s75, s29, 0
	v_mov_b32_e32 v1, s7
	v_add_co_u32_e32 v4, vcc, s6, v6
	s_add_u32 s76, s28, 0x2100
	v_addc_co_u32_e32 v5, vcc, v7, v1, vcc
	s_addc_u32 s77, s29, 0
	v_accvgpr_write_b32 a13, v5
	s_add_u32 s78, s28, 0x1900
	v_mov_b32_e32 v13, 1
	v_accvgpr_write_b32 a12, v4
	s_mov_b32 s21, 0
	v_mov_b32_e32 v4, v8
	v_mov_b32_e32 v5, v8
	s_addc_u32 s79, s29, 0
	v_pk_mov_b32 v[0:1], 0, 0
	s_mov_b32 s80, 0xff00ff01
	s_movk_i32 s81, 0x100
	s_movk_i32 s82, 0x1800
	s_mov_b32 s83, 0x10100
	s_mov_b64 s[40:41], 0x752f
	s_movk_i32 s84, 0x300
	s_movk_i32 s85, 0x2ff
	v_mov_b32_e32 v40, 0x100
	s_mov_b64 s[42:43], 0x7530
	s_mov_b64 s[44:45], 0x4e1f
	s_mov_b32 s86, 0x200000
	v_mov_b32_e32 v62, 1
	s_mov_b64 s[46:47], 0x4e20
	v_mbcnt_hi_u32_b32 v32, -1, v9
	v_mov_b32_e32 v12, 3
	v_mov_b32_e32 v16, 0x1800
	;; [unrolled: 1-line block ×4, first 2 shown]
.LBB5_3:                                ; =>This Loop Header: Depth=1
                                        ;     Child Loop BB5_6 Depth 2
                                        ;       Child Loop BB5_11 Depth 3
                                        ;         Child Loop BB5_14 Depth 4
                                        ;         Child Loop BB5_43 Depth 4
                                        ;           Child Loop BB5_47 Depth 5
                                        ;           Child Loop BB5_75 Depth 5
                                        ;             Child Loop BB5_93 Depth 6
                                        ;             Child Loop BB5_101 Depth 6
	;; [unrolled: 1-line block ×29, first 2 shown]
                                        ;           Child Loop BB5_313 Depth 5
                                        ;           Child Loop BB5_316 Depth 5
	;; [unrolled: 1-line block ×7, first 2 shown]
                                        ;       Child Loop BB5_340 Depth 3
                                        ;         Child Loop BB5_344 Depth 4
                                        ;         Child Loop BB5_372 Depth 4
                                        ;           Child Loop BB5_390 Depth 5
                                        ;           Child Loop BB5_398 Depth 5
	;; [unrolled: 1-line block ×29, first 2 shown]
                                        ;         Child Loop BB5_610 Depth 4
                                        ;         Child Loop BB5_613 Depth 4
	;; [unrolled: 1-line block ×7, first 2 shown]
                                        ;       Child Loop BB5_636 Depth 3
	v_cmp_ne_u32_e32 vcc, 0, v27
	v_mov_b32_e32 v27, v8
	s_and_saveexec_b64 s[48:49], vcc
	s_cbranch_execz .LBB5_653
; %bb.4:                                ;   in Loop: Header=BB5_3 Depth=1
	v_readfirstlane_b32 s6, v2
	v_cmp_eq_u32_e32 vcc, s6, v2
	v_mov_b32_e32 v27, 1
	s_and_saveexec_b64 s[50:51], vcc
	s_cbranch_execz .LBB5_652
; %bb.5:                                ;   in Loop: Header=BB5_3 Depth=1
	v_mov_b32_e32 v27, 1
	v_mov_b32_e32 v9, 1
.LBB5_6:                                ;   Parent Loop BB5_3 Depth=1
                                        ; =>  This Loop Header: Depth=2
                                        ;       Child Loop BB5_11 Depth 3
                                        ;         Child Loop BB5_14 Depth 4
                                        ;         Child Loop BB5_43 Depth 4
                                        ;           Child Loop BB5_47 Depth 5
                                        ;           Child Loop BB5_75 Depth 5
                                        ;             Child Loop BB5_93 Depth 6
                                        ;             Child Loop BB5_101 Depth 6
	;; [unrolled: 1-line block ×29, first 2 shown]
                                        ;           Child Loop BB5_313 Depth 5
                                        ;           Child Loop BB5_316 Depth 5
	;; [unrolled: 1-line block ×7, first 2 shown]
                                        ;       Child Loop BB5_340 Depth 3
                                        ;         Child Loop BB5_344 Depth 4
                                        ;         Child Loop BB5_372 Depth 4
                                        ;           Child Loop BB5_390 Depth 5
                                        ;           Child Loop BB5_398 Depth 5
	;; [unrolled: 1-line block ×29, first 2 shown]
                                        ;         Child Loop BB5_610 Depth 4
                                        ;         Child Loop BB5_613 Depth 4
                                        ;         Child Loop BB5_615 Depth 4
                                        ;         Child Loop BB5_617 Depth 4
                                        ;         Child Loop BB5_619 Depth 4
                                        ;         Child Loop BB5_621 Depth 4
                                        ;         Child Loop BB5_623 Depth 4
                                        ;       Child Loop BB5_636 Depth 3
	v_cmp_ne_u32_e32 vcc, 0, v9
	v_mov_b32_e32 v9, 0
	s_and_saveexec_b64 s[52:53], vcc
	s_cbranch_execz .LBB5_651
; %bb.7:                                ;   in Loop: Header=BB5_6 Depth=2
	v_mbcnt_lo_u32_b32 v7, exec_lo, 0
	v_mbcnt_hi_u32_b32 v7, exec_hi, v7
	v_mov_b32_e32 v6, 0
	v_cmp_eq_u32_e32 vcc, 0, v7
	s_and_saveexec_b64 s[6:7], vcc
	s_cbranch_execz .LBB5_9
; %bb.8:                                ;   in Loop: Header=BB5_6 Depth=2
	global_load_dword v6, v[30:31], off offset:2048 glc
.LBB5_9:                                ;   in Loop: Header=BB5_6 Depth=2
	s_or_b64 exec, exec, s[6:7]
	v_accvgpr_write_b32 a17, v1
	s_waitcnt vmcnt(0)
	v_readfirstlane_b32 s87, v6
	v_accvgpr_write_b32 a16, v0
	s_cmp_gt_u32 s87, 0x100ff
	s_cbranch_scc0 .LBB5_337
; %bb.10:                               ;   in Loop: Header=BB5_6 Depth=2
	v_mbcnt_lo_u32_b32 v0, exec_lo, 0
	v_mbcnt_hi_u32_b32 v33, exec_hi, v0
	v_accvgpr_write_b32 a14, v27
	s_bcnt1_i32_b64 s88, exec
	v_cmp_eq_u32_e64 s[6:7], 0, v33
	s_mov_b64 s[54:55], 0
	v_mov_b32_e32 v22, v2
                                        ; implicit-def: $vgpr6_vgpr7
.LBB5_11:                               ;   Parent Loop BB5_3 Depth=1
                                        ;     Parent Loop BB5_6 Depth=2
                                        ; =>    This Loop Header: Depth=3
                                        ;         Child Loop BB5_14 Depth 4
                                        ;         Child Loop BB5_43 Depth 4
                                        ;           Child Loop BB5_47 Depth 5
                                        ;           Child Loop BB5_75 Depth 5
                                        ;             Child Loop BB5_93 Depth 6
                                        ;             Child Loop BB5_101 Depth 6
	;; [unrolled: 1-line block ×29, first 2 shown]
                                        ;           Child Loop BB5_313 Depth 5
                                        ;           Child Loop BB5_316 Depth 5
	;; [unrolled: 1-line block ×7, first 2 shown]
	v_mov_b32_e32 v23, v8
	v_mov_b32_e32 v10, 0
	v_lshlrev_b64 v[0:1], 7, v[22:23]
	s_and_saveexec_b64 s[10:11], s[6:7]
	s_cbranch_execz .LBB5_13
; %bb.12:                               ;   in Loop: Header=BB5_11 Depth=3
	v_mov_b32_e32 v9, s29
	v_add_co_u32_e32 v10, vcc, s28, v0
	v_addc_co_u32_e32 v11, vcc, v9, v1, vcc
	global_load_dword v10, v[10:11], off glc
.LBB5_13:                               ;   in Loop: Header=BB5_11 Depth=3
	s_or_b64 exec, exec, s[10:11]
	v_lshlrev_b64 v[14:15], 5, v[22:23]
	s_getpc_b64 s[10:11]
	s_add_u32 s10, s10, __unnamed_1@rel32@lo+8
	s_addc_u32 s11, s11, __unnamed_1@rel32@hi+16
	v_mov_b32_e32 v9, s11
	v_add_co_u32_e32 v14, vcc, s10, v14
	v_addc_co_u32_e32 v15, vcc, v15, v9, vcc
	global_load_dword v9, v[14:15], off
	s_waitcnt vmcnt(1)
	v_readfirstlane_b32 s10, v10
	v_add_u32_e32 v10, s10, v33
	v_mul_hi_u32 v11, v10, s80
	s_mov_b32 s16, 0x10100
	v_mul_u32_u24_sdwa v11, v11, s16 dst_sel:DWORD dst_unused:UNUSED_PAD src0_sel:WORD_1 src1_sel:DWORD
	v_sub_u32_e32 v14, v10, v11
	v_mov_b32_e32 v10, s29
	v_add_co_u32_e32 v0, vcc, s28, v0
	v_addc_co_u32_e32 v1, vcc, v10, v1, vcc
.LBB5_14:                               ;   Parent Loop BB5_3 Depth=1
                                        ;     Parent Loop BB5_6 Depth=2
                                        ;       Parent Loop BB5_11 Depth=3
                                        ; =>      This Inner Loop Header: Depth=4
	v_cmp_gt_u32_e32 vcc, s81, v14
                                        ; implicit-def: $vgpr10_vgpr11
	s_and_saveexec_b64 s[10:11], vcc
	s_xor_b64 s[10:11], exec, s[10:11]
; %bb.15:                               ;   in Loop: Header=BB5_14 Depth=4
	v_pk_mov_b32 v[10:11], s[30:31], s[30:31] op_sel:[0,1]
	v_mad_u64_u32 v[10:11], s[12:13], v22, s82, v[10:11]
	v_mad_u64_u32 v[10:11], s[12:13], v14, 24, v[10:11]
; %bb.16:                               ;   in Loop: Header=BB5_14 Depth=4
	s_andn2_saveexec_b64 s[10:11], s[10:11]
	s_cbranch_execz .LBB5_18
; %bb.17:                               ;   in Loop: Header=BB5_14 Depth=4
	v_add_u32_e32 v10, 0xffffff00, v14
	v_lshrrev_b32_e32 v15, 8, v10
	v_pk_mov_b32 v[10:11], s[30:31], s[30:31] op_sel:[0,1]
	v_mad_u64_u32 v[10:11], s[12:13], v22, s82, v[10:11]
	v_mad_u64_u32 v[10:11], s[12:13], v15, 24, v[10:11]
	global_load_dwordx2 v[10:11], v[10:11], off glc
	v_and_b32_e32 v15, 0xff, v14
	s_waitcnt vmcnt(0)
	v_mad_u64_u32 v[10:11], s[12:13], v15, 24, v[10:11]
.LBB5_18:                               ;   in Loop: Header=BB5_14 Depth=4
	s_or_b64 exec, exec, s[10:11]
	global_load_dword v10, v[10:11], off offset:16 glc
	s_waitcnt vmcnt(0)
	v_cmp_lt_u32_e32 vcc, v10, v9
	s_cbranch_vccz .LBB5_20
; %bb.19:                               ;   in Loop: Header=BB5_14 Depth=4
	s_ff1_i32_b64 s10, vcc
	s_lshl_b32 s10, s10, 2
	v_mov_b32_e32 v10, s10
	ds_bpermute_b32 v10, v10, v14
	s_branch .LBB5_21
.LBB5_20:                               ;   in Loop: Header=BB5_14 Depth=4
	v_mov_b32_e32 v10, -1
.LBB5_21:                               ;   in Loop: Header=BB5_14 Depth=4
	s_waitcnt lgkmcnt(0)
	v_readfirstlane_b32 s14, v10
	s_cmp_eq_u32 s14, -1
	s_cselect_b64 s[10:11], -1, 0
	s_and_b64 vcc, exec, s[10:11]
	s_cbranch_vccnz .LBB5_24
; %bb.22:                               ;   in Loop: Header=BB5_14 Depth=4
	s_cmpk_lt_u32 s14, 0x100
	s_cbranch_scc0 .LBB5_25
; %bb.23:                               ;   in Loop: Header=BB5_14 Depth=4
	v_pk_mov_b32 v[10:11], s[30:31], s[30:31] op_sel:[0,1]
	v_mad_u64_u32 v[10:11], s[12:13], v22, s82, v[10:11]
	v_mad_u64_u32 v[10:11], s[12:13], s14, 24, v[10:11]
	s_mov_b64 s[12:13], 0
	s_branch .LBB5_26
.LBB5_24:                               ;   in Loop: Header=BB5_14 Depth=4
	s_mov_b64 s[12:13], -1
                                        ; implicit-def: $vgpr10_vgpr11
	s_branch .LBB5_29
.LBB5_25:                               ;   in Loop: Header=BB5_14 Depth=4
	s_mov_b64 s[12:13], -1
                                        ; implicit-def: $vgpr10_vgpr11
.LBB5_26:                               ;   in Loop: Header=BB5_14 Depth=4
	s_andn2_b64 vcc, exec, s[12:13]
	s_cbranch_vccnz .LBB5_28
; %bb.27:                               ;   in Loop: Header=BB5_14 Depth=4
	s_add_i32 s12, s14, 0xffffff00
	v_pk_mov_b32 v[10:11], s[30:31], s[30:31] op_sel:[0,1]
	s_lshr_b32 s15, s12, 8
	v_mad_u64_u32 v[10:11], s[12:13], v22, s82, v[10:11]
	v_mad_u64_u32 v[10:11], s[12:13], s15, 24, v[10:11]
	global_load_dwordx2 v[10:11], v[10:11], off glc
	s_and_b32 s12, s14, 0xff
	s_waitcnt vmcnt(0)
	v_mad_u64_u32 v[10:11], s[12:13], s12, 24, v[10:11]
.LBB5_28:                               ;   in Loop: Header=BB5_14 Depth=4
	s_mov_b64 s[12:13], 0
.LBB5_29:                               ;   in Loop: Header=BB5_14 Depth=4
	s_andn2_b64 vcc, exec, s[12:13]
	s_cbranch_vccnz .LBB5_33
; %bb.30:                               ;   in Loop: Header=BB5_14 Depth=4
	v_add_u32_e32 v10, s88, v14
	v_mul_hi_u32 v11, v10, s80
	v_mul_u32_u24_sdwa v11, v11, s83 dst_sel:DWORD dst_unused:UNUSED_PAD src0_sel:WORD_1 src1_sel:DWORD
	v_sub_u32_e32 v14, v10, v11
	s_and_saveexec_b64 s[12:13], s[6:7]
	s_cbranch_execz .LBB5_32
; %bb.31:                               ;   in Loop: Header=BB5_14 Depth=4
	global_store_dword v[0:1], v14, off
.LBB5_32:                               ;   in Loop: Header=BB5_14 Depth=4
	s_or_b64 exec, exec, s[12:13]
	s_sub_i32 s16, s16, s88
	v_pk_mov_b32 v[10:11], v[6:7], v[6:7] op_sel:[0,1]
.LBB5_33:                               ;   in Loop: Header=BB5_14 Depth=4
	s_andn2_b64 vcc, exec, s[10:11]
	s_cbranch_vccz .LBB5_35
; %bb.34:                               ;   in Loop: Header=BB5_14 Depth=4
	s_mov_b64 s[10:11], 0
	s_mov_b64 s[12:13], -1
                                        ; implicit-def: $sgpr16
                                        ; implicit-def: $vgpr14
	s_mov_b64 s[14:15], -1
	s_branch .LBB5_36
.LBB5_35:                               ;   in Loop: Header=BB5_14 Depth=4
	s_cmp_lt_i32 s16, 1
	s_mov_b64 s[12:13], 0
	s_cselect_b64 s[14:15], -1, 0
                                        ; implicit-def: $sgpr10_sgpr11
.LBB5_36:                               ;   in Loop: Header=BB5_14 Depth=4
	s_andn2_b64 vcc, exec, s[14:15]
	v_pk_mov_b32 v[6:7], v[10:11], v[10:11] op_sel:[0,1]
	s_cbranch_vccnz .LBB5_14
; %bb.37:                               ;   in Loop: Header=BB5_11 Depth=3
	s_andn2_b64 vcc, exec, s[12:13]
	v_pk_mov_b32 v[6:7], v[10:11], v[10:11] op_sel:[0,1]
	s_cbranch_vccz .LBB5_335
; %bb.38:                               ;   in Loop: Header=BB5_11 Depth=3
	v_cmp_eq_u32_e32 vcc, v22, v2
	v_cmp_gt_u32_e64 s[10:11], 14, v22
	s_and_b64 s[12:13], vcc, s[10:11]
	s_mov_b64 s[10:11], 0
	v_pk_mov_b32 v[6:7], 0, 0
	s_and_saveexec_b64 s[56:57], s[12:13]
	s_cbranch_execz .LBB5_334
; %bb.39:                               ;   in Loop: Header=BB5_11 Depth=3
	v_and_b32_e32 v0, -2, v22
	v_mov_b32_e32 v1, 0
	s_and_saveexec_b64 s[10:11], s[6:7]
	s_cbranch_execz .LBB5_41
; %bb.40:                               ;   in Loop: Header=BB5_11 Depth=3
	v_mov_b32_e32 v1, v8
	v_lshlrev_b64 v[6:7], 7, v[0:1]
	v_mov_b32_e32 v1, s71
	v_add_co_u32_e32 v6, vcc, s70, v6
	v_addc_co_u32_e32 v7, vcc, v1, v7, vcc
	global_load_dword v1, v[6:7], off glc
.LBB5_41:                               ;   in Loop: Header=BB5_11 Depth=3
	s_or_b64 exec, exec, s[10:11]
	s_waitcnt vmcnt(0)
	v_readfirstlane_b32 s90, v1
	v_add_u32_e32 v22, 2, v0
	s_cmp_gt_u32 s90, 0x100ff
	s_mov_b64 s[16:17], -1
	s_cbranch_scc1 .LBB5_333
; %bb.42:                               ;   in Loop: Header=BB5_11 Depth=3
	v_accvgpr_write_b32 a4, v34
	v_mbcnt_lo_u32_b32 v1, exec_lo, 0
	v_accvgpr_write_b32 a5, v35
	v_mbcnt_hi_u32_b32 v34, exec_hi, v1
	v_mov_b32_e32 v1, v8
	v_accvgpr_write_b32 a10, v42
	v_lshlrev_b64 v[6:7], 7, v[0:1]
	v_accvgpr_write_b32 a11, v43
	s_bcnt1_i32_b64 s89, exec
	v_mov_b32_e32 v9, s73
	v_add_co_u32_e32 v42, vcc, s72, v6
	v_addc_co_u32_e32 v43, vcc, v9, v7, vcc
	v_lshlrev_b64 v[10:11], 5, v[0:1]
	s_getpc_b64 s[12:13]
	s_add_u32 s12, s12, __unnamed_1@rel32@lo+76
	s_addc_u32 s13, s13, __unnamed_1@rel32@hi+84
	v_mov_b32_e32 v0, s13
	v_add_co_u32_e32 v44, vcc, s12, v10
	v_addc_co_u32_e32 v45, vcc, v11, v0, vcc
	s_getpc_b64 s[12:13]
	s_add_u32 s12, s12, __unnamed_1@rel32@lo+68
	s_addc_u32 s13, s13, __unnamed_1@rel32@hi+76
	v_mov_b32_e32 v0, s13
	v_add_co_u32_e32 v46, vcc, s12, v10
	v_addc_co_u32_e32 v47, vcc, v11, v0, vcc
	v_mov_b32_e32 v0, s71
	v_add_co_u32_e32 v56, vcc, s70, v6
	v_addc_co_u32_e32 v57, vcc, v0, v7, vcc
	;; [unrolled: 3-line block ×3, first 2 shown]
	v_mov_b32_e32 v0, s77
	v_add_co_u32_e32 v60, vcc, s76, v6
	v_accvgpr_write_b32 a8, v54
	v_addc_co_u32_e32 v61, vcc, v0, v7, vcc
	v_accvgpr_write_b32 a9, v55
	v_mov_b32_e32 v0, s79
	v_add_co_u32_e32 v54, vcc, s78, v6
	v_addc_co_u32_e32 v55, vcc, v0, v7, vcc
	s_getpc_b64 s[12:13]
	s_add_u32 s12, s12, __unnamed_1@rel32@lo+88
	s_addc_u32 s13, s13, __unnamed_1@rel32@hi+96
	v_mov_b32_e32 v1, s13
	v_add_co_u32_e32 v0, vcc, s12, v10
	v_lshrrev_b64 v[6:7], v22, s[38:39]
	v_addc_co_u32_e32 v1, vcc, v11, v1, vcc
	v_and_b32_e32 v6, 1, v6
	s_getpc_b64 s[14:15]
	s_add_u32 s14, s14, __unnamed_1@rel32@lo+84
	s_addc_u32 s15, s15, __unnamed_1@rel32@hi+92
	v_cmp_eq_u32_e64 s[12:13], 1, v6
	v_mov_b32_e32 v6, s15
	v_add_co_u32_e32 v52, vcc, s14, v10
	v_addc_co_u32_e32 v53, vcc, v11, v6, vcc
	s_getpc_b64 s[14:15]
	s_add_u32 s14, s14, __unnamed_1@rel32@lo+92
	s_addc_u32 s15, s15, __unnamed_1@rel32@hi+100
	v_mov_b32_e32 v6, s15
	v_add_co_u32_e32 v10, vcc, s14, v10
	v_addc_co_u32_e32 v11, vcc, v11, v6, vcc
	v_accvgpr_write_b32 a6, v48
	v_accvgpr_write_b32 a2, v28
	;; [unrolled: 1-line block ×5, first 2 shown]
	v_cmp_eq_u32_e64 s[10:11], 0, v34
	v_accvgpr_write_b32 a18, v10
	v_mov_b32_e32 v23, v8
	v_mov_b32_e32 v24, v8
	;; [unrolled: 1-line block ×3, first 2 shown]
                                        ; implicit-def: $agpr0_agpr1
.LBB5_43:                               ;   Parent Loop BB5_3 Depth=1
                                        ;     Parent Loop BB5_6 Depth=2
                                        ;       Parent Loop BB5_11 Depth=3
                                        ; =>      This Loop Header: Depth=4
                                        ;           Child Loop BB5_47 Depth 5
                                        ;           Child Loop BB5_75 Depth 5
                                        ;             Child Loop BB5_93 Depth 6
                                        ;             Child Loop BB5_101 Depth 6
	;; [unrolled: 1-line block ×29, first 2 shown]
                                        ;           Child Loop BB5_313 Depth 5
                                        ;           Child Loop BB5_316 Depth 5
	;; [unrolled: 1-line block ×7, first 2 shown]
	s_cmp_eq_u32 s90, 0
	s_mov_b64 s[14:15], -1
	s_cbranch_scc1 .LBB5_72
; %bb.44:                               ;   in Loop: Header=BB5_43 Depth=4
	v_mov_b32_e32 v6, 0
	s_and_saveexec_b64 s[16:17], s[10:11]
	s_cbranch_execz .LBB5_46
; %bb.45:                               ;   in Loop: Header=BB5_43 Depth=4
	global_load_dword v6, v[42:43], off glc
.LBB5_46:                               ;   in Loop: Header=BB5_43 Depth=4
	s_or_b64 exec, exec, s[16:17]
	global_load_dword v9, v[44:45], off
	v_cvt_f32_u32_e32 v7, s90
	s_waitcnt vmcnt(1)
	v_readfirstlane_b32 s16, v6
	v_add_u32_e32 v6, s16, v34
	s_sub_i32 s16, 0, s90
	v_rcp_iflag_f32_e32 v7, v7
	s_mov_b32 s20, s90
	v_mul_f32_e32 v7, 0x4f7ffffe, v7
	v_cvt_u32_f32_e32 v7, v7
	v_mul_lo_u32 v10, s16, v7
	v_mul_hi_u32 v10, v7, v10
	v_add_u32_e32 v14, v7, v10
	v_mul_hi_u32 v7, v6, v14
	v_mul_lo_u32 v7, v7, s90
	v_sub_u32_e32 v6, v6, v7
	v_subrev_u32_e32 v7, s90, v6
	v_cmp_le_u32_e32 vcc, s90, v6
	v_cndmask_b32_e32 v6, v6, v7, vcc
	v_subrev_u32_e32 v7, s90, v6
	v_cmp_le_u32_e32 vcc, s90, v6
	v_cndmask_b32_e32 v15, v6, v7, vcc
.LBB5_47:                               ;   Parent Loop BB5_3 Depth=1
                                        ;     Parent Loop BB5_6 Depth=2
                                        ;       Parent Loop BB5_11 Depth=3
                                        ;         Parent Loop BB5_43 Depth=4
                                        ; =>        This Inner Loop Header: Depth=5
	v_cmp_gt_u32_e32 vcc, s81, v15
                                        ; implicit-def: $vgpr6_vgpr7
	s_and_saveexec_b64 s[16:17], vcc
	s_xor_b64 s[16:17], exec, s[16:17]
; %bb.48:                               ;   in Loop: Header=BB5_47 Depth=5
	v_pk_mov_b32 v[6:7], s[30:31], s[30:31] op_sel:[0,1]
	v_mad_u64_u32 v[6:7], s[18:19], v22, s82, v[6:7]
	v_mad_u64_u32 v[6:7], s[18:19], v15, 24, v[6:7]
; %bb.49:                               ;   in Loop: Header=BB5_47 Depth=5
	s_andn2_saveexec_b64 s[16:17], s[16:17]
	s_cbranch_execz .LBB5_51
; %bb.50:                               ;   in Loop: Header=BB5_47 Depth=5
	v_add_u32_e32 v6, 0xffffff00, v15
	v_lshrrev_b32_e32 v10, 8, v6
	v_pk_mov_b32 v[6:7], s[30:31], s[30:31] op_sel:[0,1]
	v_mad_u64_u32 v[6:7], s[18:19], v22, s82, v[6:7]
	v_mad_u64_u32 v[6:7], s[18:19], v10, 24, v[6:7]
	global_load_dwordx2 v[6:7], v[6:7], off glc
	v_and_b32_e32 v10, 0xff, v15
	s_waitcnt vmcnt(0)
	v_mad_u64_u32 v[6:7], s[18:19], v10, 24, v[6:7]
.LBB5_51:                               ;   in Loop: Header=BB5_47 Depth=5
	s_or_b64 exec, exec, s[16:17]
	global_load_dword v6, v[6:7], off offset:16 glc
	s_waitcnt vmcnt(0)
	v_cmp_lt_u32_e32 vcc, v6, v9
	s_cbranch_vccz .LBB5_53
; %bb.52:                               ;   in Loop: Header=BB5_47 Depth=5
	s_ff1_i32_b64 s16, vcc
	s_lshl_b32 s16, s16, 2
	v_mov_b32_e32 v6, s16
	ds_bpermute_b32 v6, v6, v15
	s_branch .LBB5_54
.LBB5_53:                               ;   in Loop: Header=BB5_47 Depth=5
	v_mov_b32_e32 v6, -1
.LBB5_54:                               ;   in Loop: Header=BB5_47 Depth=5
	s_waitcnt lgkmcnt(0)
	v_readfirstlane_b32 s22, v6
	s_cmp_eq_u32 s22, -1
	s_cselect_b64 s[16:17], -1, 0
	s_and_b64 vcc, exec, s[16:17]
	s_cbranch_vccnz .LBB5_57
; %bb.55:                               ;   in Loop: Header=BB5_47 Depth=5
	s_cmpk_lt_u32 s22, 0x100
	s_cbranch_scc0 .LBB5_58
; %bb.56:                               ;   in Loop: Header=BB5_47 Depth=5
	v_pk_mov_b32 v[6:7], s[30:31], s[30:31] op_sel:[0,1]
	v_mad_u64_u32 v[6:7], s[18:19], v22, s82, v[6:7]
	v_mad_u64_u32 v[10:11], s[18:19], s22, 24, v[6:7]
	s_mov_b64 s[18:19], 0
	s_branch .LBB5_59
.LBB5_57:                               ;   in Loop: Header=BB5_47 Depth=5
	s_mov_b64 s[18:19], -1
                                        ; implicit-def: $vgpr10_vgpr11
	s_branch .LBB5_62
.LBB5_58:                               ;   in Loop: Header=BB5_47 Depth=5
	s_mov_b64 s[18:19], -1
                                        ; implicit-def: $vgpr10_vgpr11
.LBB5_59:                               ;   in Loop: Header=BB5_47 Depth=5
	s_andn2_b64 vcc, exec, s[18:19]
	s_cbranch_vccnz .LBB5_61
; %bb.60:                               ;   in Loop: Header=BB5_47 Depth=5
	s_add_i32 s18, s22, 0xffffff00
	v_pk_mov_b32 v[6:7], s[30:31], s[30:31] op_sel:[0,1]
	s_lshr_b32 s23, s18, 8
	v_mad_u64_u32 v[6:7], s[18:19], v22, s82, v[6:7]
	v_mad_u64_u32 v[6:7], s[18:19], s23, 24, v[6:7]
	global_load_dwordx2 v[6:7], v[6:7], off glc
	s_and_b32 s18, s22, 0xff
	s_waitcnt vmcnt(0)
	v_mad_u64_u32 v[10:11], s[18:19], s18, 24, v[6:7]
.LBB5_61:                               ;   in Loop: Header=BB5_47 Depth=5
	s_mov_b64 s[18:19], 0
.LBB5_62:                               ;   in Loop: Header=BB5_47 Depth=5
	s_andn2_b64 vcc, exec, s[18:19]
	s_cbranch_vccnz .LBB5_66
; %bb.63:                               ;   in Loop: Header=BB5_47 Depth=5
	v_add_u32_e32 v6, s89, v15
	v_mul_hi_u32 v7, v6, v14
	v_mul_lo_u32 v7, v7, s90
	v_sub_u32_e32 v6, v6, v7
	v_subrev_u32_e32 v7, s90, v6
	v_cmp_le_u32_e32 vcc, s90, v6
	v_cndmask_b32_e32 v6, v6, v7, vcc
	v_subrev_u32_e32 v7, s90, v6
	v_cmp_le_u32_e32 vcc, s90, v6
	v_cndmask_b32_e32 v15, v6, v7, vcc
	s_and_saveexec_b64 s[18:19], s[10:11]
	s_cbranch_execz .LBB5_65
; %bb.64:                               ;   in Loop: Header=BB5_47 Depth=5
	global_store_dword v[42:43], v15, off
.LBB5_65:                               ;   in Loop: Header=BB5_47 Depth=5
	s_or_b64 exec, exec, s[18:19]
	v_accvgpr_read_b32 v11, a1
	s_sub_i32 s20, s20, s89
	v_accvgpr_read_b32 v10, a0
.LBB5_66:                               ;   in Loop: Header=BB5_47 Depth=5
	s_andn2_b64 vcc, exec, s[16:17]
	s_cbranch_vccz .LBB5_68
; %bb.67:                               ;   in Loop: Header=BB5_47 Depth=5
	s_mov_b64 s[16:17], 0
	s_mov_b64 s[18:19], -1
                                        ; implicit-def: $sgpr20
                                        ; implicit-def: $vgpr15
	s_mov_b64 s[22:23], -1
	s_branch .LBB5_69
.LBB5_68:                               ;   in Loop: Header=BB5_47 Depth=5
	s_cmp_lt_i32 s20, 1
	s_mov_b64 s[18:19], 0
	s_cselect_b64 s[22:23], -1, 0
                                        ; implicit-def: $sgpr16_sgpr17
.LBB5_69:                               ;   in Loop: Header=BB5_47 Depth=5
	s_andn2_b64 vcc, exec, s[22:23]
	s_cbranch_vccz .LBB5_71
; %bb.70:                               ;   in Loop: Header=BB5_47 Depth=5
	v_accvgpr_write_b32 a0, v10
	v_accvgpr_write_b32 a1, v11
	s_branch .LBB5_47
.LBB5_71:                               ;   in Loop: Header=BB5_43 Depth=4
	v_accvgpr_write_b32 a0, v10
	s_xor_b64 s[18:19], s[18:19], -1
	v_accvgpr_write_b32 a1, v11
	s_branch .LBB5_73
.LBB5_72:                               ;   in Loop: Header=BB5_43 Depth=4
                                        ; implicit-def: $vgpr10_vgpr11
                                        ; implicit-def: $sgpr16_sgpr17
	s_mov_b64 s[18:19], -1
.LBB5_73:                               ;   in Loop: Header=BB5_43 Depth=4
	s_and_b64 vcc, exec, s[18:19]
	s_cbranch_vccz .LBB5_331
; %bb.74:                               ;   in Loop: Header=BB5_43 Depth=4
	v_mbcnt_lo_u32_b32 v6, exec_lo, 0
	v_mbcnt_hi_u32_b32 v6, exec_hi, v6
	v_cmp_eq_u32_e64 s[14:15], 0, v6
                                        ; implicit-def: $sgpr58_sgpr59
.LBB5_75:                               ;   Parent Loop BB5_3 Depth=1
                                        ;     Parent Loop BB5_6 Depth=2
                                        ;       Parent Loop BB5_11 Depth=3
                                        ;         Parent Loop BB5_43 Depth=4
                                        ; =>        This Loop Header: Depth=5
                                        ;             Child Loop BB5_93 Depth 6
                                        ;             Child Loop BB5_101 Depth 6
	;; [unrolled: 1-line block ×29, first 2 shown]
	v_mov_b32_e32 v6, 0
	s_and_saveexec_b64 s[16:17], s[14:15]
	s_cbranch_execz .LBB5_77
; %bb.76:                               ;   in Loop: Header=BB5_75 Depth=5
	global_load_dword v6, v[56:57], off glc
.LBB5_77:                               ;   in Loop: Header=BB5_75 Depth=5
	s_or_b64 exec, exec, s[16:17]
	s_waitcnt vmcnt(0)
	v_readfirstlane_b32 s91, v6
	s_cmp_eq_u32 s91, 0x10100
	s_cbranch_scc1 .LBB5_188
; %bb.78:                               ;   in Loop: Header=BB5_75 Depth=5
	v_mov_b32_e32 v6, 0
	s_and_saveexec_b64 s[16:17], s[14:15]
	s_cbranch_execz .LBB5_80
; %bb.79:                               ;   in Loop: Header=BB5_75 Depth=5
	v_mov_b32_e32 v41, v8
	global_atomic_cmpswap v6, v[58:59], v[40:41], off glc
	s_waitcnt vmcnt(0)
	v_cmp_ne_u32_e32 vcc, 0, v6
	v_cndmask_b32_e32 v6, v40, v6, vcc
.LBB5_80:                               ;   in Loop: Header=BB5_75 Depth=5
	s_or_b64 exec, exec, s[16:17]
	v_readfirstlane_b32 s92, v6
	s_cmp_lg_u32 s91, s92
	s_mov_b64 s[16:17], -1
	s_cbranch_scc1 .LBB5_189
; %bb.81:                               ;   in Loop: Header=BB5_75 Depth=5
	v_mbcnt_lo_u32_b32 v7, exec_lo, 0
	v_mbcnt_hi_u32_b32 v7, exec_hi, v7
	v_mov_b32_e32 v6, 0
	v_cmp_eq_u32_e64 s[16:17], 0, v7
	s_and_saveexec_b64 s[18:19], s[16:17]
	s_cbranch_execz .LBB5_83
; %bb.82:                               ;   in Loop: Header=BB5_75 Depth=5
	global_load_dword v6, v[58:59], off glc
.LBB5_83:                               ;   in Loop: Header=BB5_75 Depth=5
	s_or_b64 exec, exec, s[18:19]
	s_waitcnt vmcnt(0)
	v_readfirstlane_b32 s93, v6
	s_cmp_eq_u32 s93, 0x10100
	s_mov_b32 s20, 2
	s_cbranch_scc1 .LBB5_168
; %bb.84:                               ;   in Loop: Header=BB5_75 Depth=5
	v_mov_b32_e32 v6, 1
	s_and_saveexec_b64 s[18:19], s[16:17]
	s_cbranch_execz .LBB5_88
; %bb.85:                               ;   in Loop: Header=BB5_75 Depth=5
	global_load_dwordx2 v[28:29], v[60:61], off glc
	s_memrealtime s[22:23]
	s_waitcnt lgkmcnt(0)
	v_mov_b32_e32 v7, s23
	s_waitcnt vmcnt(0)
	v_sub_co_u32_e32 v6, vcc, s22, v28
	v_subb_co_u32_e32 v7, vcc, v7, v29, vcc
	v_cmp_lt_u64_e32 vcc, s[40:41], v[6:7]
	v_mov_b32_e32 v6, 1
	s_and_saveexec_b64 s[60:61], vcc
	s_cbranch_execz .LBB5_87
; %bb.86:                               ;   in Loop: Header=BB5_75 Depth=5
	v_mov_b32_e32 v26, s22
	v_mov_b32_e32 v27, s23
	global_atomic_cmpswap_x2 v[6:7], v[60:61], v[26:29], off glc
	s_waitcnt vmcnt(0)
	v_cmp_eq_u64_e32 vcc, v[6:7], v[28:29]
	v_cndmask_b32_e64 v6, 1, 2, vcc
.LBB5_87:                               ;   in Loop: Header=BB5_75 Depth=5
	s_or_b64 exec, exec, s[60:61]
.LBB5_88:                               ;   in Loop: Header=BB5_75 Depth=5
	s_or_b64 exec, exec, s[18:19]
	v_readfirstlane_b32 s94, v6
	s_cmp_eq_u32 s94, 1
	s_mov_b32 s20, 1
	s_cbranch_scc1 .LBB5_168
; %bb.89:                               ;   in Loop: Header=BB5_75 Depth=5
	v_pk_mov_b32 v[6:7], 0, 0
	s_and_saveexec_b64 s[60:61], s[16:17]
	s_cbranch_execz .LBB5_118
; %bb.90:                               ;   in Loop: Header=BB5_75 Depth=5
	s_load_dwordx2 s[62:63], s[8:9], 0x50
	v_readfirstlane_b32 s18, v32
	v_cmp_eq_u32_e64 s[18:19], s18, v32
	v_pk_mov_b32 v[6:7], 0, 0
	s_and_saveexec_b64 s[22:23], s[18:19]
	s_cbranch_execz .LBB5_96
; %bb.91:                               ;   in Loop: Header=BB5_75 Depth=5
	s_waitcnt lgkmcnt(0)
	global_load_dwordx2 v[28:29], v8, s[62:63] offset:24 glc
	s_waitcnt vmcnt(0)
	buffer_invl2
	buffer_wbinvl1_vol
	global_load_dwordx2 v[6:7], v8, s[62:63] offset:40
	global_load_dwordx2 v[10:11], v8, s[62:63]
	s_waitcnt vmcnt(1)
	v_and_b32_e32 v6, v6, v28
	v_and_b32_e32 v7, v7, v29
	v_mul_lo_u32 v7, v7, 24
	v_mul_hi_u32 v9, v6, 24
	v_mul_lo_u32 v6, v6, 24
	v_add_u32_e32 v7, v9, v7
	s_waitcnt vmcnt(0)
	v_add_co_u32_e32 v6, vcc, v10, v6
	v_addc_co_u32_e32 v7, vcc, v11, v7, vcc
	global_load_dwordx2 v[26:27], v[6:7], off glc
	s_waitcnt vmcnt(0)
	global_atomic_cmpswap_x2 v[6:7], v8, v[26:29], s[62:63] offset:24 glc
	s_waitcnt vmcnt(0)
	buffer_invl2
	buffer_wbinvl1_vol
	v_cmp_ne_u64_e32 vcc, v[6:7], v[28:29]
	s_and_saveexec_b64 s[64:65], vcc
	s_cbranch_execz .LBB5_95
; %bb.92:                               ;   in Loop: Header=BB5_75 Depth=5
	s_mov_b64 s[66:67], 0
.LBB5_93:                               ;   Parent Loop BB5_3 Depth=1
                                        ;     Parent Loop BB5_6 Depth=2
                                        ;       Parent Loop BB5_11 Depth=3
                                        ;         Parent Loop BB5_43 Depth=4
                                        ;           Parent Loop BB5_75 Depth=5
                                        ; =>          This Inner Loop Header: Depth=6
	s_sleep 1
	global_load_dwordx2 v[10:11], v8, s[62:63] offset:40
	global_load_dwordx2 v[14:15], v8, s[62:63]
	v_pk_mov_b32 v[28:29], v[6:7], v[6:7] op_sel:[0,1]
	s_waitcnt vmcnt(1)
	v_and_b32_e32 v6, v10, v28
	s_waitcnt vmcnt(0)
	v_mad_u64_u32 v[6:7], vcc, v6, 24, v[14:15]
	v_and_b32_e32 v9, v11, v29
	v_mov_b32_e32 v10, v7
	v_mad_u64_u32 v[10:11], vcc, v9, 24, v[10:11]
	v_mov_b32_e32 v7, v10
	global_load_dwordx2 v[26:27], v[6:7], off glc
	s_waitcnt vmcnt(0)
	global_atomic_cmpswap_x2 v[6:7], v8, v[26:29], s[62:63] offset:24 glc
	s_waitcnt vmcnt(0)
	buffer_invl2
	buffer_wbinvl1_vol
	v_cmp_eq_u64_e32 vcc, v[6:7], v[28:29]
	s_or_b64 s[66:67], vcc, s[66:67]
	s_andn2_b64 exec, exec, s[66:67]
	s_cbranch_execnz .LBB5_93
; %bb.94:                               ;   in Loop: Header=BB5_75 Depth=5
	s_or_b64 exec, exec, s[66:67]
.LBB5_95:                               ;   in Loop: Header=BB5_75 Depth=5
	s_or_b64 exec, exec, s[64:65]
.LBB5_96:                               ;   in Loop: Header=BB5_75 Depth=5
	s_or_b64 exec, exec, s[22:23]
	s_waitcnt lgkmcnt(0)
	global_load_dwordx2 v[10:11], v8, s[62:63] offset:40
	global_load_dwordx4 v[26:29], v8, s[62:63]
	v_readfirstlane_b32 s64, v6
	v_readfirstlane_b32 s65, v7
	s_mov_b64 s[22:23], exec
	s_waitcnt vmcnt(1)
	v_readfirstlane_b32 vcc_lo, v10
	v_readfirstlane_b32 vcc_hi, v11
	s_and_b64 s[66:67], s[64:65], vcc
	s_mul_i32 s20, s67, 24
	s_mul_hi_u32 vcc_lo, s66, 24
	s_mul_i32 vcc_hi, s66, 24
	s_add_i32 s20, vcc_lo, s20
	v_mov_b32_e32 v7, s20
	s_waitcnt vmcnt(0)
	v_add_co_u32_e32 v6, vcc, vcc_hi, v26
	v_addc_co_u32_e32 v7, vcc, v27, v7, vcc
	s_and_saveexec_b64 vcc, s[18:19]
	s_cbranch_execz .LBB5_98
; %bb.97:                               ;   in Loop: Header=BB5_75 Depth=5
	v_pk_mov_b32 v[10:11], s[22:23], s[22:23] op_sel:[0,1]
	global_store_dwordx4 v[6:7], v[10:13], off offset:8
.LBB5_98:                               ;   in Loop: Header=BB5_75 Depth=5
	s_or_b64 exec, exec, vcc
	s_lshl_b64 s[22:23], s[66:67], 12
	v_mov_b32_e32 v9, s23
	v_add_co_u32_e32 v10, vcc, s22, v28
	s_mov_b32 s22, s21
	s_mov_b32 s23, s21
	v_addc_co_u32_e32 v9, vcc, v29, v9, vcc
	s_mov_b32 s20, s21
	v_pk_mov_b32 v[50:51], s[22:23], s[22:23] op_sel:[0,1]
	v_lshlrev_b32_e32 v11, 6, v32
	v_mov_b32_e32 v14, v8
	v_mov_b32_e32 v15, v8
	;; [unrolled: 1-line block ×3, first 2 shown]
	v_readfirstlane_b32 s66, v10
	v_readfirstlane_b32 s67, v9
	v_pk_mov_b32 v[48:49], s[20:21], s[20:21] op_sel:[0,1]
	s_nop 3
	global_store_dwordx4 v11, v[14:17], s[66:67]
	global_store_dwordx4 v11, v[48:51], s[66:67] offset:16
	global_store_dwordx4 v11, v[48:51], s[66:67] offset:32
	;; [unrolled: 1-line block ×3, first 2 shown]
	s_and_saveexec_b64 s[22:23], s[18:19]
	s_cbranch_execz .LBB5_106
; %bb.99:                               ;   in Loop: Header=BB5_75 Depth=5
	global_load_dwordx2 v[50:51], v8, s[62:63] offset:32 glc
	global_load_dwordx2 v[14:15], v8, s[62:63] offset:40
	v_mov_b32_e32 v48, s64
	v_mov_b32_e32 v49, s65
	s_waitcnt vmcnt(0)
	v_and_b32_e32 v14, s64, v14
	v_and_b32_e32 v15, s65, v15
	v_mul_lo_u32 v15, v15, 24
	v_mul_hi_u32 v17, v14, 24
	v_mul_lo_u32 v14, v14, 24
	v_add_u32_e32 v15, v17, v15
	v_add_co_u32_e32 v14, vcc, v26, v14
	v_addc_co_u32_e32 v15, vcc, v27, v15, vcc
	global_store_dwordx2 v[14:15], v[50:51], off
	buffer_wbl2
	s_waitcnt vmcnt(0)
	global_atomic_cmpswap_x2 v[28:29], v8, v[48:51], s[62:63] offset:32 glc
	s_waitcnt vmcnt(0)
	v_cmp_ne_u64_e32 vcc, v[28:29], v[50:51]
	s_and_saveexec_b64 s[66:67], vcc
	s_cbranch_execz .LBB5_102
; %bb.100:                              ;   in Loop: Header=BB5_75 Depth=5
	s_mov_b64 s[68:69], 0
.LBB5_101:                              ;   Parent Loop BB5_3 Depth=1
                                        ;     Parent Loop BB5_6 Depth=2
                                        ;       Parent Loop BB5_11 Depth=3
                                        ;         Parent Loop BB5_43 Depth=4
                                        ;           Parent Loop BB5_75 Depth=5
                                        ; =>          This Inner Loop Header: Depth=6
	s_sleep 1
	global_store_dwordx2 v[14:15], v[28:29], off
	v_mov_b32_e32 v26, s64
	v_mov_b32_e32 v27, s65
	buffer_wbl2
	s_waitcnt vmcnt(0)
	global_atomic_cmpswap_x2 v[18:19], v8, v[26:29], s[62:63] offset:32 glc
	s_waitcnt vmcnt(0)
	v_cmp_eq_u64_e32 vcc, v[18:19], v[28:29]
	s_or_b64 s[68:69], vcc, s[68:69]
	v_pk_mov_b32 v[28:29], v[18:19], v[18:19] op_sel:[0,1]
	s_andn2_b64 exec, exec, s[68:69]
	s_cbranch_execnz .LBB5_101
.LBB5_102:                              ;   in Loop: Header=BB5_75 Depth=5
	s_or_b64 exec, exec, s[66:67]
	global_load_dwordx2 v[14:15], v8, s[62:63] offset:16
	s_mov_b64 s[68:69], exec
	v_mbcnt_lo_u32_b32 v17, s68, 0
	v_mbcnt_hi_u32_b32 v17, s69, v17
	v_cmp_eq_u32_e32 vcc, 0, v17
	s_and_saveexec_b64 s[66:67], vcc
	s_cbranch_execz .LBB5_104
; %bb.103:                              ;   in Loop: Header=BB5_75 Depth=5
	s_bcnt1_i32_b64 s20, s[68:69]
	v_mov_b32_e32 v18, s20
	v_mov_b32_e32 v19, v8
	buffer_wbl2
	s_waitcnt vmcnt(0)
	global_atomic_add_x2 v[14:15], v[18:19], off offset:8
.LBB5_104:                              ;   in Loop: Header=BB5_75 Depth=5
	s_or_b64 exec, exec, s[66:67]
	s_waitcnt vmcnt(0)
	global_load_dwordx2 v[18:19], v[14:15], off offset:16
	s_waitcnt vmcnt(0)
	v_cmp_eq_u64_e32 vcc, 0, v[18:19]
	s_cbranch_vccnz .LBB5_106
; %bb.105:                              ;   in Loop: Header=BB5_75 Depth=5
	global_load_dword v14, v[14:15], off offset:24
	v_mov_b32_e32 v15, v8
	buffer_wbl2
	s_waitcnt vmcnt(0)
	global_store_dwordx2 v[18:19], v[14:15], off
	v_and_b32_e32 v14, 0xffffff, v14
	v_readfirstlane_b32 m0, v14
	s_sendmsg sendmsg(MSG_INTERRUPT)
.LBB5_106:                              ;   in Loop: Header=BB5_75 Depth=5
	s_or_b64 exec, exec, s[22:23]
	v_add_co_u32_e32 v10, vcc, v10, v11
	v_addc_co_u32_e32 v11, vcc, 0, v9, vcc
.LBB5_107:                              ;   Parent Loop BB5_3 Depth=1
                                        ;     Parent Loop BB5_6 Depth=2
                                        ;       Parent Loop BB5_11 Depth=3
                                        ;         Parent Loop BB5_43 Depth=4
                                        ;           Parent Loop BB5_75 Depth=5
                                        ; =>          This Inner Loop Header: Depth=6
	v_mov_b32_e32 v9, 1
	s_and_saveexec_b64 s[22:23], s[18:19]
	s_cbranch_execz .LBB5_109
; %bb.108:                              ;   in Loop: Header=BB5_107 Depth=6
	global_load_dword v9, v[6:7], off offset:20 glc
	s_waitcnt vmcnt(0)
	buffer_invl2
	buffer_wbinvl1_vol
	v_and_b32_e32 v9, 1, v9
.LBB5_109:                              ;   in Loop: Header=BB5_107 Depth=6
	s_or_b64 exec, exec, s[22:23]
	v_readfirstlane_b32 s20, v9
	s_cmp_eq_u32 s20, 0
	s_cbranch_scc1 .LBB5_111
; %bb.110:                              ;   in Loop: Header=BB5_107 Depth=6
	s_mov_b64 s[22:23], 0
	s_sleep 1
	s_branch .LBB5_112
.LBB5_111:                              ;   in Loop: Header=BB5_107 Depth=6
	s_mov_b64 s[22:23], -1
.LBB5_112:                              ;   in Loop: Header=BB5_107 Depth=6
	s_andn2_b64 vcc, exec, s[22:23]
	s_cbranch_vccnz .LBB5_107
; %bb.113:                              ;   in Loop: Header=BB5_75 Depth=5
	global_load_dwordx2 v[6:7], v[10:11], off
	s_and_saveexec_b64 s[22:23], s[18:19]
	s_cbranch_execz .LBB5_117
; %bb.114:                              ;   in Loop: Header=BB5_75 Depth=5
	global_load_dwordx2 v[10:11], v8, s[62:63] offset:40
	global_load_dwordx2 v[14:15], v8, s[62:63] offset:24 glc
	global_load_dwordx2 v[18:19], v8, s[62:63]
	v_mov_b32_e32 v9, s65
	s_waitcnt vmcnt(2)
	v_add_co_u32_e32 v17, vcc, 1, v10
	v_addc_co_u32_e32 v21, vcc, 0, v11, vcc
	v_add_co_u32_e32 v26, vcc, s64, v17
	v_addc_co_u32_e32 v27, vcc, v21, v9, vcc
	v_cmp_eq_u64_e32 vcc, 0, v[26:27]
	v_cndmask_b32_e32 v27, v27, v21, vcc
	v_cndmask_b32_e32 v26, v26, v17, vcc
	v_and_b32_e32 v9, v27, v11
	v_and_b32_e32 v10, v26, v10
	v_mul_lo_u32 v9, v9, 24
	v_mul_hi_u32 v11, v10, 24
	v_mul_lo_u32 v10, v10, 24
	v_add_u32_e32 v9, v11, v9
	s_waitcnt vmcnt(0)
	v_add_co_u32_e32 v10, vcc, v18, v10
	v_addc_co_u32_e32 v11, vcc, v19, v9, vcc
	v_mov_b32_e32 v28, v14
	global_store_dwordx2 v[10:11], v[14:15], off
	v_mov_b32_e32 v29, v15
	buffer_wbl2
	s_waitcnt vmcnt(0)
	global_atomic_cmpswap_x2 v[28:29], v8, v[26:29], s[62:63] offset:24 glc
	s_waitcnt vmcnt(0)
	v_cmp_ne_u64_e32 vcc, v[28:29], v[14:15]
	s_and_b64 exec, exec, vcc
	s_cbranch_execz .LBB5_117
; %bb.115:                              ;   in Loop: Header=BB5_75 Depth=5
	s_mov_b64 s[18:19], 0
.LBB5_116:                              ;   Parent Loop BB5_3 Depth=1
                                        ;     Parent Loop BB5_6 Depth=2
                                        ;       Parent Loop BB5_11 Depth=3
                                        ;         Parent Loop BB5_43 Depth=4
                                        ;           Parent Loop BB5_75 Depth=5
                                        ; =>          This Inner Loop Header: Depth=6
	s_sleep 1
	global_store_dwordx2 v[10:11], v[28:29], off
	buffer_wbl2
	s_waitcnt vmcnt(0)
	global_atomic_cmpswap_x2 v[14:15], v8, v[26:29], s[62:63] offset:24 glc
	s_waitcnt vmcnt(0)
	v_cmp_eq_u64_e32 vcc, v[14:15], v[28:29]
	s_or_b64 s[18:19], vcc, s[18:19]
	v_pk_mov_b32 v[28:29], v[14:15], v[14:15] op_sel:[0,1]
	s_andn2_b64 exec, exec, s[18:19]
	s_cbranch_execnz .LBB5_116
.LBB5_117:                              ;   in Loop: Header=BB5_75 Depth=5
	s_or_b64 exec, exec, s[22:23]
.LBB5_118:                              ;   in Loop: Header=BB5_75 Depth=5
	s_or_b64 exec, exec, s[60:61]
	s_waitcnt vmcnt(0)
	v_readfirstlane_b32 s22, v6
	v_readfirstlane_b32 s23, v7
	s_cmp_eq_u64 s[22:23], 0
	s_cbranch_scc1 .LBB5_167
; %bb.119:                              ;   in Loop: Header=BB5_75 Depth=5
	s_mov_b64 s[18:19], exec
	v_mbcnt_lo_u32_b32 v6, exec_lo, 0
	v_mbcnt_hi_u32_b32 v10, s19, v6
	v_cmp_gt_u32_e32 vcc, s84, v10
	s_and_saveexec_b64 s[60:61], vcc
	s_cbranch_execz .LBB5_122
; %bb.120:                              ;   in Loop: Header=BB5_75 Depth=5
	v_lshlrev_b32_e32 v6, 3, v10
	s_bcnt1_i32_b64 s20, s[18:19]
	v_mov_b32_e32 v7, s23
	v_add_co_u32_e32 v6, vcc, s22, v6
	v_addc_co_u32_e32 v7, vcc, 0, v7, vcc
	s_lshl_b32 s64, s20, 3
	s_mov_b64 s[62:63], 0
.LBB5_121:                              ;   Parent Loop BB5_3 Depth=1
                                        ;     Parent Loop BB5_6 Depth=2
                                        ;       Parent Loop BB5_11 Depth=3
                                        ;         Parent Loop BB5_43 Depth=4
                                        ;           Parent Loop BB5_75 Depth=5
                                        ; =>          This Inner Loop Header: Depth=6
	v_mov_b32_e32 v9, v8
	v_add_u32_e32 v10, s20, v10
	v_mov_b32_e32 v11, s21
	global_store_dwordx2 v[6:7], v[8:9], off
	v_cmp_lt_u32_e32 vcc, s85, v10
	v_add_co_u32_e64 v6, s[18:19], s64, v6
	s_or_b64 s[62:63], vcc, s[62:63]
	v_addc_co_u32_e64 v7, vcc, v7, v11, s[18:19]
	s_andn2_b64 exec, exec, s[62:63]
	s_cbranch_execnz .LBB5_121
.LBB5_122:                              ;   in Loop: Header=BB5_75 Depth=5
	s_or_b64 exec, exec, s[60:61]
.LBB5_123:                              ;   Parent Loop BB5_3 Depth=1
                                        ;     Parent Loop BB5_6 Depth=2
                                        ;       Parent Loop BB5_11 Depth=3
                                        ;         Parent Loop BB5_43 Depth=4
                                        ;           Parent Loop BB5_75 Depth=5
                                        ; =>          This Inner Loop Header: Depth=6
	v_mov_b32_e32 v6, s93
	s_and_saveexec_b64 s[18:19], s[16:17]
	s_cbranch_execz .LBB5_125
; %bb.124:                              ;   in Loop: Header=BB5_123 Depth=6
	global_load_dword v6, v[58:59], off glc
.LBB5_125:                              ;   in Loop: Header=BB5_123 Depth=6
	s_or_b64 exec, exec, s[18:19]
	s_waitcnt vmcnt(0)
	v_readfirstlane_b32 s93, v6
	s_cmp_lg_u32 s93, 0x10100
	s_mov_b64 s[60:61], -1
	s_cbranch_scc0 .LBB5_132
; %bb.126:                              ;   in Loop: Header=BB5_123 Depth=6
	v_mov_b32_e32 v6, s94
	s_and_saveexec_b64 s[18:19], s[16:17]
	s_cbranch_execz .LBB5_130
; %bb.127:                              ;   in Loop: Header=BB5_123 Depth=6
	s_add_i32 s20, s93, 0xffffff00
	v_pk_mov_b32 v[6:7], s[30:31], s[30:31] op_sel:[0,1]
	s_lshr_b32 s20, s20, 8
	v_mad_u64_u32 v[6:7], vcc, v22, s82, v[6:7]
	v_mad_u64_u32 v[10:11], vcc, s20, 24, v[6:7]
	v_mov_b32_e32 v6, s22
	v_mov_b32_e32 v7, s23
	;; [unrolled: 1-line block ×3, first 2 shown]
	global_atomic_cmpswap_x2 v[6:7], v[10:11], v[6:9], off glc
	s_waitcnt vmcnt(0)
	v_cmp_eq_u64_e32 vcc, 0, v[6:7]
	v_mov_b32_e32 v6, s94
	s_and_saveexec_b64 s[60:61], vcc
	s_cbranch_execz .LBB5_129
; %bb.128:                              ;   in Loop: Header=BB5_123 Depth=6
	global_atomic_add v[58:59], v40, off
	v_mov_b32_e32 v6, 0
.LBB5_129:                              ;   in Loop: Header=BB5_123 Depth=6
	s_or_b64 exec, exec, s[60:61]
.LBB5_130:                              ;   in Loop: Header=BB5_123 Depth=6
	s_or_b64 exec, exec, s[18:19]
	v_readfirstlane_b32 vcc_lo, v6
	s_cmp_eq_u32 vcc_lo, 0
	s_cbranch_scc1 .LBB5_133
; %bb.131:                              ;   in Loop: Header=BB5_123 Depth=6
	s_mov_b64 s[18:19], 0
	s_sleep 2
                                        ; implicit-def: $sgpr94
	s_branch .LBB5_134
.LBB5_132:                              ;   in Loop: Header=BB5_123 Depth=6
                                        ; implicit-def: $sgpr93
                                        ; implicit-def: $sgpr20
	s_mov_b32 s68, s94
	s_mov_b64 s[18:19], -1
	s_branch .LBB5_135
.LBB5_133:                              ;   in Loop: Header=BB5_123 Depth=6
	s_mov_b64 s[18:19], -1
                                        ; implicit-def: $sgpr93
                                        ; implicit-def: $vcc_lo
.LBB5_134:                              ;   in Loop: Header=BB5_123 Depth=6
	s_mov_b32 s68, s94
	s_mov_b32 s20, 0
	s_mov_b64 s[60:61], 0
	s_mov_b32 s94, vcc_lo
.LBB5_135:                              ;   in Loop: Header=BB5_123 Depth=6
	s_and_b64 vcc, exec, s[18:19]
	s_cbranch_vccz .LBB5_123
; %bb.136:                              ;   in Loop: Header=BB5_75 Depth=5
	s_and_b64 vcc, exec, s[60:61]
	s_cbranch_vccz .LBB5_166
; %bb.137:                              ;   in Loop: Header=BB5_75 Depth=5
	s_and_saveexec_b64 s[18:19], s[16:17]
	s_cbranch_execz .LBB5_165
; %bb.138:                              ;   in Loop: Header=BB5_75 Depth=5
	s_load_dwordx2 s[60:61], s[8:9], 0x50
	v_readfirstlane_b32 s16, v32
	v_cmp_eq_u32_e64 s[16:17], s16, v32
	v_pk_mov_b32 v[6:7], 0, 0
	s_and_saveexec_b64 s[62:63], s[16:17]
	s_cbranch_execz .LBB5_144
; %bb.139:                              ;   in Loop: Header=BB5_75 Depth=5
	s_waitcnt lgkmcnt(0)
	global_load_dwordx2 v[28:29], v8, s[60:61] offset:24 glc
	s_waitcnt vmcnt(0)
	buffer_invl2
	buffer_wbinvl1_vol
	global_load_dwordx2 v[6:7], v8, s[60:61] offset:40
	global_load_dwordx2 v[10:11], v8, s[60:61]
	s_waitcnt vmcnt(1)
	v_and_b32_e32 v6, v6, v28
	v_and_b32_e32 v7, v7, v29
	v_mul_lo_u32 v7, v7, 24
	v_mul_hi_u32 v9, v6, 24
	v_mul_lo_u32 v6, v6, 24
	v_add_u32_e32 v7, v9, v7
	s_waitcnt vmcnt(0)
	v_add_co_u32_e32 v6, vcc, v10, v6
	v_addc_co_u32_e32 v7, vcc, v11, v7, vcc
	global_load_dwordx2 v[26:27], v[6:7], off glc
	s_waitcnt vmcnt(0)
	global_atomic_cmpswap_x2 v[6:7], v8, v[26:29], s[60:61] offset:24 glc
	s_waitcnt vmcnt(0)
	buffer_invl2
	buffer_wbinvl1_vol
	v_cmp_ne_u64_e32 vcc, v[6:7], v[28:29]
	s_and_saveexec_b64 s[64:65], vcc
	s_cbranch_execz .LBB5_143
; %bb.140:                              ;   in Loop: Header=BB5_75 Depth=5
	s_mov_b64 s[66:67], 0
.LBB5_141:                              ;   Parent Loop BB5_3 Depth=1
                                        ;     Parent Loop BB5_6 Depth=2
                                        ;       Parent Loop BB5_11 Depth=3
                                        ;         Parent Loop BB5_43 Depth=4
                                        ;           Parent Loop BB5_75 Depth=5
                                        ; =>          This Inner Loop Header: Depth=6
	s_sleep 1
	global_load_dwordx2 v[10:11], v8, s[60:61] offset:40
	global_load_dwordx2 v[14:15], v8, s[60:61]
	v_pk_mov_b32 v[28:29], v[6:7], v[6:7] op_sel:[0,1]
	s_waitcnt vmcnt(1)
	v_and_b32_e32 v6, v10, v28
	s_waitcnt vmcnt(0)
	v_mad_u64_u32 v[6:7], vcc, v6, 24, v[14:15]
	v_and_b32_e32 v9, v11, v29
	v_mov_b32_e32 v10, v7
	v_mad_u64_u32 v[10:11], vcc, v9, 24, v[10:11]
	v_mov_b32_e32 v7, v10
	global_load_dwordx2 v[26:27], v[6:7], off glc
	s_waitcnt vmcnt(0)
	global_atomic_cmpswap_x2 v[6:7], v8, v[26:29], s[60:61] offset:24 glc
	s_waitcnt vmcnt(0)
	buffer_invl2
	buffer_wbinvl1_vol
	v_cmp_eq_u64_e32 vcc, v[6:7], v[28:29]
	s_or_b64 s[66:67], vcc, s[66:67]
	s_andn2_b64 exec, exec, s[66:67]
	s_cbranch_execnz .LBB5_141
; %bb.142:                              ;   in Loop: Header=BB5_75 Depth=5
	s_or_b64 exec, exec, s[66:67]
.LBB5_143:                              ;   in Loop: Header=BB5_75 Depth=5
	s_or_b64 exec, exec, s[64:65]
.LBB5_144:                              ;   in Loop: Header=BB5_75 Depth=5
	s_or_b64 exec, exec, s[62:63]
	s_waitcnt lgkmcnt(0)
	global_load_dwordx2 v[10:11], v8, s[60:61] offset:40
	global_load_dwordx4 v[26:29], v8, s[60:61]
	v_readfirstlane_b32 s62, v6
	v_readfirstlane_b32 s63, v7
	s_mov_b64 s[64:65], exec
	s_waitcnt vmcnt(1)
	v_readfirstlane_b32 vcc_lo, v10
	v_readfirstlane_b32 vcc_hi, v11
	s_and_b64 s[66:67], s[62:63], vcc
	s_mul_i32 s20, s67, 24
	s_mul_hi_u32 vcc_lo, s66, 24
	s_mul_i32 vcc_hi, s66, 24
	s_add_i32 s20, vcc_lo, s20
	v_mov_b32_e32 v7, s20
	s_waitcnt vmcnt(0)
	v_add_co_u32_e32 v6, vcc, vcc_hi, v26
	v_addc_co_u32_e32 v7, vcc, v27, v7, vcc
	s_and_saveexec_b64 vcc, s[16:17]
	s_cbranch_execz .LBB5_146
; %bb.145:                              ;   in Loop: Header=BB5_75 Depth=5
	v_pk_mov_b32 v[10:11], s[64:65], s[64:65] op_sel:[0,1]
	global_store_dwordx4 v[6:7], v[10:13], off offset:8
.LBB5_146:                              ;   in Loop: Header=BB5_75 Depth=5
	s_or_b64 exec, exec, vcc
	s_lshl_b64 vcc, s[66:67], 12
	v_mov_b32_e32 v9, vcc_hi
	v_add_co_u32_e32 v10, vcc, vcc_lo, v28
	v_pk_mov_b32 v[14:15], s[22:23], s[22:23] op_sel:[0,1]
	s_mov_b32 s22, s21
	s_mov_b32 s23, s21
	v_addc_co_u32_e32 v9, vcc, v29, v9, vcc
	s_mov_b32 s20, s21
	v_pk_mov_b32 v[50:51], s[22:23], s[22:23] op_sel:[0,1]
	v_lshlrev_b32_e32 v11, 6, v32
	v_readfirstlane_b32 s64, v10
	v_readfirstlane_b32 s65, v9
	v_pk_mov_b32 v[48:49], s[20:21], s[20:21] op_sel:[0,1]
	v_mov_b32_e32 v9, v8
	s_nop 2
	global_store_dwordx2 v11, v[14:15], s[64:65]
	global_store_dwordx4 v11, v[48:51], s[64:65] offset:8
	global_store_dwordx4 v11, v[48:51], s[64:65] offset:24
	;; [unrolled: 1-line block ×3, first 2 shown]
	global_store_dwordx2 v11, v[8:9], s[64:65] offset:56
	s_and_saveexec_b64 s[22:23], s[16:17]
	s_cbranch_execz .LBB5_154
; %bb.147:                              ;   in Loop: Header=BB5_75 Depth=5
	global_load_dwordx2 v[50:51], v8, s[60:61] offset:32 glc
	global_load_dwordx2 v[10:11], v8, s[60:61] offset:40
	v_mov_b32_e32 v48, s62
	v_mov_b32_e32 v49, s63
	s_waitcnt vmcnt(0)
	v_and_b32_e32 v9, s62, v10
	v_and_b32_e32 v10, s63, v11
	v_mul_lo_u32 v10, v10, 24
	v_mul_hi_u32 v11, v9, 24
	v_mul_lo_u32 v9, v9, 24
	v_add_u32_e32 v11, v11, v10
	v_add_co_u32_e32 v10, vcc, v26, v9
	v_addc_co_u32_e32 v11, vcc, v27, v11, vcc
	global_store_dwordx2 v[10:11], v[50:51], off
	buffer_wbl2
	s_waitcnt vmcnt(0)
	global_atomic_cmpswap_x2 v[28:29], v8, v[48:51], s[60:61] offset:32 glc
	s_waitcnt vmcnt(0)
	v_cmp_ne_u64_e32 vcc, v[28:29], v[50:51]
	s_and_saveexec_b64 s[64:65], vcc
	s_cbranch_execz .LBB5_150
; %bb.148:                              ;   in Loop: Header=BB5_75 Depth=5
	s_mov_b64 s[66:67], 0
.LBB5_149:                              ;   Parent Loop BB5_3 Depth=1
                                        ;     Parent Loop BB5_6 Depth=2
                                        ;       Parent Loop BB5_11 Depth=3
                                        ;         Parent Loop BB5_43 Depth=4
                                        ;           Parent Loop BB5_75 Depth=5
                                        ; =>          This Inner Loop Header: Depth=6
	s_sleep 1
	global_store_dwordx2 v[10:11], v[28:29], off
	v_mov_b32_e32 v26, s62
	v_mov_b32_e32 v27, s63
	buffer_wbl2
	s_waitcnt vmcnt(0)
	global_atomic_cmpswap_x2 v[14:15], v8, v[26:29], s[60:61] offset:32 glc
	s_waitcnt vmcnt(0)
	v_cmp_eq_u64_e32 vcc, v[14:15], v[28:29]
	s_or_b64 s[66:67], vcc, s[66:67]
	v_pk_mov_b32 v[28:29], v[14:15], v[14:15] op_sel:[0,1]
	s_andn2_b64 exec, exec, s[66:67]
	s_cbranch_execnz .LBB5_149
.LBB5_150:                              ;   in Loop: Header=BB5_75 Depth=5
	s_or_b64 exec, exec, s[64:65]
	global_load_dwordx2 v[10:11], v8, s[60:61] offset:16
	s_mov_b64 s[66:67], exec
	v_mbcnt_lo_u32_b32 v9, s66, 0
	v_mbcnt_hi_u32_b32 v9, s67, v9
	v_cmp_eq_u32_e32 vcc, 0, v9
	s_and_saveexec_b64 s[64:65], vcc
	s_cbranch_execz .LBB5_152
; %bb.151:                              ;   in Loop: Header=BB5_75 Depth=5
	s_bcnt1_i32_b64 s20, s[66:67]
	v_mov_b32_e32 v14, s20
	v_mov_b32_e32 v15, v8
	buffer_wbl2
	s_waitcnt vmcnt(0)
	global_atomic_add_x2 v[10:11], v[14:15], off offset:8
.LBB5_152:                              ;   in Loop: Header=BB5_75 Depth=5
	s_or_b64 exec, exec, s[64:65]
	s_waitcnt vmcnt(0)
	global_load_dwordx2 v[14:15], v[10:11], off offset:16
	s_waitcnt vmcnt(0)
	v_cmp_eq_u64_e32 vcc, 0, v[14:15]
	s_cbranch_vccnz .LBB5_154
; %bb.153:                              ;   in Loop: Header=BB5_75 Depth=5
	global_load_dword v10, v[10:11], off offset:24
	v_mov_b32_e32 v11, v8
	s_waitcnt vmcnt(0)
	v_and_b32_e32 v9, 0xffffff, v10
	v_readfirstlane_b32 m0, v9
	buffer_wbl2
	global_store_dwordx2 v[14:15], v[10:11], off
	s_sendmsg sendmsg(MSG_INTERRUPT)
.LBB5_154:                              ;   in Loop: Header=BB5_75 Depth=5
	s_or_b64 exec, exec, s[22:23]
.LBB5_155:                              ;   Parent Loop BB5_3 Depth=1
                                        ;     Parent Loop BB5_6 Depth=2
                                        ;       Parent Loop BB5_11 Depth=3
                                        ;         Parent Loop BB5_43 Depth=4
                                        ;           Parent Loop BB5_75 Depth=5
                                        ; =>          This Inner Loop Header: Depth=6
	v_mov_b32_e32 v9, 1
	s_and_saveexec_b64 s[22:23], s[16:17]
	s_cbranch_execz .LBB5_157
; %bb.156:                              ;   in Loop: Header=BB5_155 Depth=6
	global_load_dword v9, v[6:7], off offset:20 glc
	s_waitcnt vmcnt(0)
	buffer_invl2
	buffer_wbinvl1_vol
	v_and_b32_e32 v9, 1, v9
.LBB5_157:                              ;   in Loop: Header=BB5_155 Depth=6
	s_or_b64 exec, exec, s[22:23]
	v_readfirstlane_b32 s20, v9
	s_cmp_eq_u32 s20, 0
	s_cbranch_scc1 .LBB5_159
; %bb.158:                              ;   in Loop: Header=BB5_155 Depth=6
	s_mov_b64 s[22:23], 0
	s_sleep 1
	s_branch .LBB5_160
.LBB5_159:                              ;   in Loop: Header=BB5_155 Depth=6
	s_mov_b64 s[22:23], -1
.LBB5_160:                              ;   in Loop: Header=BB5_155 Depth=6
	s_andn2_b64 vcc, exec, s[22:23]
	s_cbranch_vccnz .LBB5_155
; %bb.161:                              ;   in Loop: Header=BB5_75 Depth=5
	s_and_b64 exec, exec, s[16:17]
	s_cbranch_execz .LBB5_165
; %bb.162:                              ;   in Loop: Header=BB5_75 Depth=5
	global_load_dwordx2 v[6:7], v8, s[60:61] offset:40
	global_load_dwordx2 v[10:11], v8, s[60:61] offset:24 glc
	global_load_dwordx2 v[14:15], v8, s[60:61]
	v_mov_b32_e32 v9, s63
	s_waitcnt vmcnt(2)
	v_add_co_u32_e32 v17, vcc, 1, v6
	v_addc_co_u32_e32 v21, vcc, 0, v7, vcc
	v_add_co_u32_e32 v18, vcc, s62, v17
	v_addc_co_u32_e32 v19, vcc, v21, v9, vcc
	v_cmp_eq_u64_e32 vcc, 0, v[18:19]
	v_cndmask_b32_e32 v27, v19, v21, vcc
	v_cndmask_b32_e32 v26, v18, v17, vcc
	v_and_b32_e32 v7, v27, v7
	v_and_b32_e32 v6, v26, v6
	v_mul_lo_u32 v7, v7, 24
	v_mul_hi_u32 v9, v6, 24
	v_mul_lo_u32 v6, v6, 24
	v_add_u32_e32 v7, v9, v7
	s_waitcnt vmcnt(0)
	v_add_co_u32_e32 v6, vcc, v14, v6
	v_addc_co_u32_e32 v7, vcc, v15, v7, vcc
	v_mov_b32_e32 v28, v10
	global_store_dwordx2 v[6:7], v[10:11], off
	v_mov_b32_e32 v29, v11
	buffer_wbl2
	s_waitcnt vmcnt(0)
	global_atomic_cmpswap_x2 v[28:29], v8, v[26:29], s[60:61] offset:24 glc
	s_waitcnt vmcnt(0)
	v_cmp_ne_u64_e32 vcc, v[28:29], v[10:11]
	s_and_b64 exec, exec, vcc
	s_cbranch_execz .LBB5_165
; %bb.163:                              ;   in Loop: Header=BB5_75 Depth=5
	s_mov_b64 s[16:17], 0
.LBB5_164:                              ;   Parent Loop BB5_3 Depth=1
                                        ;     Parent Loop BB5_6 Depth=2
                                        ;       Parent Loop BB5_11 Depth=3
                                        ;         Parent Loop BB5_43 Depth=4
                                        ;           Parent Loop BB5_75 Depth=5
                                        ; =>          This Inner Loop Header: Depth=6
	s_sleep 1
	global_store_dwordx2 v[6:7], v[28:29], off
	buffer_wbl2
	s_waitcnt vmcnt(0)
	global_atomic_cmpswap_x2 v[10:11], v8, v[26:29], s[60:61] offset:24 glc
	s_waitcnt vmcnt(0)
	v_cmp_eq_u64_e32 vcc, v[10:11], v[28:29]
	s_or_b64 s[16:17], vcc, s[16:17]
	v_pk_mov_b32 v[28:29], v[10:11], v[10:11] op_sel:[0,1]
	s_andn2_b64 exec, exec, s[16:17]
	s_cbranch_execnz .LBB5_164
.LBB5_165:                              ;   in Loop: Header=BB5_75 Depth=5
	s_or_b64 exec, exec, s[18:19]
	s_mov_b32 s20, s68
.LBB5_166:                              ;   in Loop: Header=BB5_75 Depth=5
	s_mov_b32 s94, s20
.LBB5_167:                              ;   in Loop: Header=BB5_75 Depth=5
	s_mov_b32 s20, s94
.LBB5_168:                              ;   in Loop: Header=BB5_75 Depth=5
	s_cmp_eq_u32 s20, 0
	s_cselect_b64 s[16:17], -1, 0
	s_and_b64 vcc, exec, s[16:17]
	s_cbranch_vccnz .LBB5_187
; %bb.169:                              ;   in Loop: Header=BB5_75 Depth=5
	v_mbcnt_lo_u32_b32 v6, exec_lo, 0
	v_mbcnt_hi_u32_b32 v6, exec_hi, v6
	v_cmp_eq_u32_e32 vcc, 0, v6
	s_and_saveexec_b64 s[18:19], vcc
	s_cbranch_execz .LBB5_186
; %bb.170:                              ;   in Loop: Header=BB5_75 Depth=5
	global_load_dwordx2 v[6:7], v[60:61], off glc
	s_memrealtime s[22:23]
	s_waitcnt lgkmcnt(0)
	v_mov_b32_e32 v9, s23
	s_waitcnt vmcnt(0)
	v_sub_co_u32_e32 v6, vcc, s22, v6
	v_subb_co_u32_e32 v7, vcc, v9, v7, vcc
	v_cmp_gt_u64_e32 vcc, s[42:43], v[6:7]
	s_and_b64 exec, exec, vcc
	s_cbranch_execz .LBB5_186
; %bb.171:                              ;   in Loop: Header=BB5_75 Depth=5
	s_memrealtime s[58:59]
	v_sub_u32_e32 v6, 0x7530, v6
	v_readfirstlane_b32 s22, v6
	s_ashr_i32 s23, s22, 31
	s_waitcnt lgkmcnt(0)
	s_add_u32 s22, s58, s22
	s_addc_u32 s23, s59, s23
.LBB5_172:                              ;   Parent Loop BB5_3 Depth=1
                                        ;     Parent Loop BB5_6 Depth=2
                                        ;       Parent Loop BB5_11 Depth=3
                                        ;         Parent Loop BB5_43 Depth=4
                                        ;           Parent Loop BB5_75 Depth=5
                                        ; =>          This Inner Loop Header: Depth=6
	s_waitcnt lgkmcnt(0)
	s_add_u32 vcc_lo, s58, 0x659
	s_addc_u32 vcc_hi, s59, 0
	v_pk_mov_b32 v[6:7], vcc, vcc op_sel:[0,1]
	v_cmp_le_u64_e32 vcc, s[22:23], v[6:7]
	s_cbranch_vccnz .LBB5_175
; %bb.173:                              ;   in Loop: Header=BB5_172 Depth=6
	s_sleep 0x7f
	s_memrealtime s[58:59]
	s_branch .LBB5_172
.LBB5_174:                              ;   in Loop: Header=BB5_175 Depth=6
	s_sleep 63
	s_memrealtime s[58:59]
.LBB5_175:                              ;   Parent Loop BB5_3 Depth=1
                                        ;     Parent Loop BB5_6 Depth=2
                                        ;       Parent Loop BB5_11 Depth=3
                                        ;         Parent Loop BB5_43 Depth=4
                                        ;           Parent Loop BB5_75 Depth=5
                                        ; =>          This Inner Loop Header: Depth=6
	s_waitcnt lgkmcnt(0)
	s_add_u32 vcc_lo, s58, 0x326
	s_addc_u32 vcc_hi, s59, 0
	v_pk_mov_b32 v[6:7], vcc, vcc op_sel:[0,1]
	v_cmp_le_u64_e32 vcc, s[22:23], v[6:7]
	s_cbranch_vccz .LBB5_174
; %bb.176:                              ;   in Loop: Header=BB5_75 Depth=5
	s_add_u32 vcc_lo, s58, 0x18c
	s_addc_u32 vcc_hi, s59, 0
	v_pk_mov_b32 v[6:7], vcc, vcc op_sel:[0,1]
	v_cmp_le_u64_e32 vcc, s[22:23], v[6:7]
	s_cbranch_vccnz .LBB5_179
.LBB5_177:                              ;   Parent Loop BB5_3 Depth=1
                                        ;     Parent Loop BB5_6 Depth=2
                                        ;       Parent Loop BB5_11 Depth=3
                                        ;         Parent Loop BB5_43 Depth=4
                                        ;           Parent Loop BB5_75 Depth=5
                                        ; =>          This Inner Loop Header: Depth=6
	s_sleep 31
	s_memrealtime s[58:59]
	s_waitcnt lgkmcnt(0)
	s_add_u32 vcc_lo, s58, 0x18c
	s_addc_u32 vcc_hi, s59, 0
	v_pk_mov_b32 v[6:7], vcc, vcc op_sel:[0,1]
	v_cmp_gt_u64_e32 vcc, s[22:23], v[6:7]
	s_cbranch_vccnz .LBB5_177
	s_branch .LBB5_179
.LBB5_178:                              ;   in Loop: Header=BB5_179 Depth=6
	s_sleep 15
	s_memrealtime s[58:59]
.LBB5_179:                              ;   Parent Loop BB5_3 Depth=1
                                        ;     Parent Loop BB5_6 Depth=2
                                        ;       Parent Loop BB5_11 Depth=3
                                        ;         Parent Loop BB5_43 Depth=4
                                        ;           Parent Loop BB5_75 Depth=5
                                        ; =>          This Inner Loop Header: Depth=6
	s_waitcnt lgkmcnt(0)
	s_add_u32 vcc_lo, s58, 0xc0
	s_addc_u32 vcc_hi, s59, 0
	v_pk_mov_b32 v[6:7], vcc, vcc op_sel:[0,1]
	v_cmp_le_u64_e32 vcc, s[22:23], v[6:7]
	s_cbranch_vccz .LBB5_178
	s_branch .LBB5_181
.LBB5_180:                              ;   in Loop: Header=BB5_181 Depth=6
	s_sleep 7
	s_memrealtime s[58:59]
.LBB5_181:                              ;   Parent Loop BB5_3 Depth=1
                                        ;     Parent Loop BB5_6 Depth=2
                                        ;       Parent Loop BB5_11 Depth=3
                                        ;         Parent Loop BB5_43 Depth=4
                                        ;           Parent Loop BB5_75 Depth=5
                                        ; =>          This Inner Loop Header: Depth=6
	s_waitcnt lgkmcnt(0)
	s_add_u32 vcc_lo, s58, 0x59
	s_addc_u32 vcc_hi, s59, 0
	v_pk_mov_b32 v[6:7], vcc, vcc op_sel:[0,1]
	v_cmp_le_u64_e32 vcc, s[22:23], v[6:7]
	s_cbranch_vccz .LBB5_180
	s_branch .LBB5_183
.LBB5_182:                              ;   in Loop: Header=BB5_183 Depth=6
	s_sleep 3
	s_memrealtime s[58:59]
.LBB5_183:                              ;   Parent Loop BB5_3 Depth=1
                                        ;     Parent Loop BB5_6 Depth=2
                                        ;       Parent Loop BB5_11 Depth=3
                                        ;         Parent Loop BB5_43 Depth=4
                                        ;           Parent Loop BB5_75 Depth=5
                                        ; =>          This Inner Loop Header: Depth=6
	s_waitcnt lgkmcnt(0)
	s_add_u32 vcc_lo, s58, 38
	s_addc_u32 vcc_hi, s59, 0
	v_pk_mov_b32 v[6:7], vcc, vcc op_sel:[0,1]
	v_cmp_le_u64_e32 vcc, s[22:23], v[6:7]
	s_cbranch_vccz .LBB5_182
; %bb.184:                              ;   in Loop: Header=BB5_75 Depth=5
	v_pk_mov_b32 v[6:7], s[58:59], s[58:59] op_sel:[0,1]
	v_cmp_le_u64_e32 vcc, s[22:23], v[6:7]
	s_cbranch_vccnz .LBB5_186
.LBB5_185:                              ;   Parent Loop BB5_3 Depth=1
                                        ;     Parent Loop BB5_6 Depth=2
                                        ;       Parent Loop BB5_11 Depth=3
                                        ;         Parent Loop BB5_43 Depth=4
                                        ;           Parent Loop BB5_75 Depth=5
                                        ; =>          This Inner Loop Header: Depth=6
	s_sleep 1
	s_memrealtime vcc
	s_waitcnt lgkmcnt(0)
	v_pk_mov_b32 v[6:7], vcc, vcc op_sel:[0,1]
	v_cmp_gt_u64_e32 vcc, s[22:23], v[6:7]
	s_cbranch_vccnz .LBB5_185
.LBB5_186:                              ;   in Loop: Header=BB5_75 Depth=5
	s_or_b64 exec, exec, s[18:19]
	s_cmp_lg_u32 s20, 2
	s_cselect_b64 s[18:19], -1, 0
	v_cndmask_b32_e64 v6, 0, 1, s[18:19]
	v_readfirstlane_b32 s20, v6
	s_mov_b64 s[58:59], s[20:21]
.LBB5_187:                              ;   in Loop: Header=BB5_75 Depth=5
	s_mov_b64 s[22:23], 0
	s_branch .LBB5_190
.LBB5_188:                              ;   in Loop: Header=BB5_75 Depth=5
	s_mov_b64 s[22:23], 0
	s_mov_b64 s[58:59], 0
	s_branch .LBB5_198
.LBB5_189:                              ;   in Loop: Header=BB5_75 Depth=5
                                        ; implicit-def: $sgpr22_sgpr23
.LBB5_190:                              ;   in Loop: Header=BB5_75 Depth=5
	s_and_b64 vcc, exec, s[16:17]
	s_cbranch_vccz .LBB5_198
; %bb.191:                              ;   in Loop: Header=BB5_75 Depth=5
	v_mov_b32_e32 v6, 1
	v_mov_b32_e32 v7, 0
	s_and_saveexec_b64 s[16:17], s[14:15]
	s_cbranch_execz .LBB5_195
; %bb.192:                              ;   in Loop: Header=BB5_75 Depth=5
	global_load_dwordx2 v[28:29], v[54:55], off glc
	s_memrealtime s[22:23]
	s_waitcnt lgkmcnt(0)
	v_mov_b32_e32 v7, s23
	s_waitcnt vmcnt(0)
	v_sub_co_u32_e32 v6, vcc, s22, v28
	v_subb_co_u32_e32 v7, vcc, v7, v29, vcc
	v_cmp_lt_u64_e32 vcc, s[44:45], v[6:7]
	v_mov_b32_e32 v6, 1
	v_mov_b32_e32 v7, 0
	s_and_saveexec_b64 s[18:19], vcc
	s_cbranch_execz .LBB5_194
; %bb.193:                              ;   in Loop: Header=BB5_75 Depth=5
	v_mov_b32_e32 v26, s22
	v_mov_b32_e32 v27, s23
	global_atomic_cmpswap_x2 v[6:7], v[54:55], v[26:29], off glc
	s_waitcnt vmcnt(0)
	v_cmp_ne_u64_e32 vcc, v[6:7], v[28:29]
	v_cndmask_b32_e64 v6, 0, 1, vcc
	v_mov_b32_e32 v7, s21
.LBB5_194:                              ;   in Loop: Header=BB5_75 Depth=5
	s_or_b64 exec, exec, s[18:19]
.LBB5_195:                              ;   in Loop: Header=BB5_75 Depth=5
	s_or_b64 exec, exec, s[16:17]
	v_readfirstlane_b32 s16, v6
	v_readfirstlane_b32 s17, v7
	s_cmp_lg_u64 s[16:17], 0
	s_cbranch_scc0 .LBB5_199
.LBB5_196:                              ;   in Loop: Header=BB5_75 Depth=5
	s_mov_b64 s[22:23], 0
.LBB5_197:                              ;   in Loop: Header=BB5_75 Depth=5
	s_mov_b64 s[58:59], s[16:17]
.LBB5_198:                              ;   in Loop: Header=BB5_75 Depth=5
	s_xor_b64 s[16:17], s[22:23], -1
	s_andn2_b64 vcc, exec, s[16:17]
	s_cbranch_vccnz .LBB5_75
	s_branch .LBB5_308
.LBB5_199:                              ;   in Loop: Header=BB5_75 Depth=5
	v_pk_mov_b32 v[6:7], 0, 0
	s_and_saveexec_b64 s[18:19], s[14:15]
	s_cbranch_execz .LBB5_235
; %bb.200:                              ;   in Loop: Header=BB5_75 Depth=5
	global_load_dwordx2 v[6:7], v8, s[34:35] glc
	global_load_dwordx2 v[10:11], v8, s[36:37]
	s_waitcnt vmcnt(0)
	v_cmp_ge_u64_e32 vcc, v[6:7], v[10:11]
	s_cbranch_vccnz .LBB5_204
; %bb.201:                              ;   in Loop: Header=BB5_75 Depth=5
	s_mov_b64 s[22:23], exec
	v_mbcnt_lo_u32_b32 v6, s22, 0
	v_mbcnt_hi_u32_b32 v9, s23, v6
	v_cmp_eq_u32_e32 vcc, 0, v9
                                        ; implicit-def: $vgpr6_vgpr7
	s_and_saveexec_b64 s[16:17], vcc
	s_cbranch_execz .LBB5_203
; %bb.202:                              ;   in Loop: Header=BB5_75 Depth=5
	s_bcnt1_i32_b64 s20, s[22:23]
	s_lshl_b32 s20, s20, 21
	v_mov_b32_e32 v6, s20
	v_mov_b32_e32 v7, v8
	global_atomic_add_x2 v[6:7], v8, v[6:7], s[34:35] glc
.LBB5_203:                              ;   in Loop: Header=BB5_75 Depth=5
	s_or_b64 exec, exec, s[16:17]
	s_waitcnt vmcnt(0)
	v_readfirstlane_b32 s16, v7
	v_readfirstlane_b32 s17, v6
	v_mov_b32_e32 v6, s17
	v_mov_b32_e32 v7, s16
	v_mad_u64_u32 v[6:7], s[16:17], v9, s86, v[6:7]
	v_cmp_ge_u64_e64 s[16:17], v[6:7], v[10:11]
	s_branch .LBB5_205
.LBB5_204:                              ;   in Loop: Header=BB5_75 Depth=5
	s_mov_b64 s[16:17], -1
                                        ; implicit-def: $vgpr6_vgpr7
.LBB5_205:                              ;   in Loop: Header=BB5_75 Depth=5
	s_and_saveexec_b64 s[60:61], s[16:17]
	s_cbranch_execz .LBB5_234
; %bb.206:                              ;   in Loop: Header=BB5_75 Depth=5
	s_load_dwordx2 s[62:63], s[8:9], 0x50
	v_readfirstlane_b32 s16, v32
	v_cmp_eq_u32_e64 s[16:17], s16, v32
	v_pk_mov_b32 v[6:7], 0, 0
	s_and_saveexec_b64 s[22:23], s[16:17]
	s_cbranch_execz .LBB5_212
; %bb.207:                              ;   in Loop: Header=BB5_75 Depth=5
	s_waitcnt lgkmcnt(0)
	global_load_dwordx2 v[28:29], v8, s[62:63] offset:24 glc
	s_waitcnt vmcnt(0)
	buffer_invl2
	buffer_wbinvl1_vol
	global_load_dwordx2 v[6:7], v8, s[62:63] offset:40
	global_load_dwordx2 v[10:11], v8, s[62:63]
	s_waitcnt vmcnt(1)
	v_and_b32_e32 v6, v6, v28
	v_and_b32_e32 v7, v7, v29
	v_mul_lo_u32 v7, v7, 24
	v_mul_hi_u32 v9, v6, 24
	v_mul_lo_u32 v6, v6, 24
	v_add_u32_e32 v7, v9, v7
	s_waitcnt vmcnt(0)
	v_add_co_u32_e32 v6, vcc, v10, v6
	v_addc_co_u32_e32 v7, vcc, v11, v7, vcc
	global_load_dwordx2 v[26:27], v[6:7], off glc
	s_waitcnt vmcnt(0)
	global_atomic_cmpswap_x2 v[6:7], v8, v[26:29], s[62:63] offset:24 glc
	s_waitcnt vmcnt(0)
	buffer_invl2
	buffer_wbinvl1_vol
	v_cmp_ne_u64_e32 vcc, v[6:7], v[28:29]
	s_and_saveexec_b64 s[64:65], vcc
	s_cbranch_execz .LBB5_211
; %bb.208:                              ;   in Loop: Header=BB5_75 Depth=5
	s_mov_b64 s[66:67], 0
.LBB5_209:                              ;   Parent Loop BB5_3 Depth=1
                                        ;     Parent Loop BB5_6 Depth=2
                                        ;       Parent Loop BB5_11 Depth=3
                                        ;         Parent Loop BB5_43 Depth=4
                                        ;           Parent Loop BB5_75 Depth=5
                                        ; =>          This Inner Loop Header: Depth=6
	s_sleep 1
	global_load_dwordx2 v[10:11], v8, s[62:63] offset:40
	global_load_dwordx2 v[14:15], v8, s[62:63]
	v_pk_mov_b32 v[28:29], v[6:7], v[6:7] op_sel:[0,1]
	s_waitcnt vmcnt(1)
	v_and_b32_e32 v6, v10, v28
	s_waitcnt vmcnt(0)
	v_mad_u64_u32 v[6:7], vcc, v6, 24, v[14:15]
	v_and_b32_e32 v9, v11, v29
	v_mov_b32_e32 v10, v7
	v_mad_u64_u32 v[10:11], vcc, v9, 24, v[10:11]
	v_mov_b32_e32 v7, v10
	global_load_dwordx2 v[26:27], v[6:7], off glc
	s_waitcnt vmcnt(0)
	global_atomic_cmpswap_x2 v[6:7], v8, v[26:29], s[62:63] offset:24 glc
	s_waitcnt vmcnt(0)
	buffer_invl2
	buffer_wbinvl1_vol
	v_cmp_eq_u64_e32 vcc, v[6:7], v[28:29]
	s_or_b64 s[66:67], vcc, s[66:67]
	s_andn2_b64 exec, exec, s[66:67]
	s_cbranch_execnz .LBB5_209
; %bb.210:                              ;   in Loop: Header=BB5_75 Depth=5
	s_or_b64 exec, exec, s[66:67]
.LBB5_211:                              ;   in Loop: Header=BB5_75 Depth=5
	s_or_b64 exec, exec, s[64:65]
.LBB5_212:                              ;   in Loop: Header=BB5_75 Depth=5
	s_or_b64 exec, exec, s[22:23]
	s_waitcnt lgkmcnt(0)
	global_load_dwordx2 v[10:11], v8, s[62:63] offset:40
	global_load_dwordx4 v[26:29], v8, s[62:63]
	v_readfirstlane_b32 s64, v6
	v_readfirstlane_b32 s65, v7
	s_mov_b64 s[22:23], exec
	s_waitcnt vmcnt(1)
	v_readfirstlane_b32 vcc_lo, v10
	v_readfirstlane_b32 vcc_hi, v11
	s_and_b64 s[66:67], s[64:65], vcc
	s_mul_i32 s20, s67, 24
	s_mul_hi_u32 vcc_lo, s66, 24
	s_mul_i32 vcc_hi, s66, 24
	s_add_i32 s20, vcc_lo, s20
	v_mov_b32_e32 v7, s20
	s_waitcnt vmcnt(0)
	v_add_co_u32_e32 v6, vcc, vcc_hi, v26
	v_addc_co_u32_e32 v7, vcc, v27, v7, vcc
	s_and_saveexec_b64 vcc, s[16:17]
	s_cbranch_execz .LBB5_214
; %bb.213:                              ;   in Loop: Header=BB5_75 Depth=5
	v_pk_mov_b32 v[10:11], s[22:23], s[22:23] op_sel:[0,1]
	global_store_dwordx4 v[6:7], v[10:13], off offset:8
.LBB5_214:                              ;   in Loop: Header=BB5_75 Depth=5
	s_or_b64 exec, exec, vcc
	s_lshl_b64 s[22:23], s[66:67], 12
	v_mov_b32_e32 v9, s23
	v_add_co_u32_e32 v10, vcc, s22, v28
	s_mov_b32 s22, s21
	s_mov_b32 s23, s21
	v_addc_co_u32_e32 v9, vcc, v29, v9, vcc
	s_mov_b32 s20, s21
	v_pk_mov_b32 v[50:51], s[22:23], s[22:23] op_sel:[0,1]
	v_lshlrev_b32_e32 v11, 6, v32
	v_mov_b32_e32 v18, v8
	v_mov_b32_e32 v19, v8
	;; [unrolled: 1-line block ×3, first 2 shown]
	v_readfirstlane_b32 s66, v10
	v_readfirstlane_b32 s67, v9
	v_pk_mov_b32 v[48:49], s[20:21], s[20:21] op_sel:[0,1]
	s_nop 3
	global_store_dwordx4 v11, v[18:21], s[66:67]
	global_store_dwordx4 v11, v[48:51], s[66:67] offset:16
	global_store_dwordx4 v11, v[48:51], s[66:67] offset:32
	;; [unrolled: 1-line block ×3, first 2 shown]
	s_and_saveexec_b64 s[22:23], s[16:17]
	s_cbranch_execz .LBB5_222
; %bb.215:                              ;   in Loop: Header=BB5_75 Depth=5
	global_load_dwordx2 v[50:51], v8, s[62:63] offset:32 glc
	global_load_dwordx2 v[14:15], v8, s[62:63] offset:40
	v_mov_b32_e32 v48, s64
	v_mov_b32_e32 v49, s65
	s_waitcnt vmcnt(0)
	v_and_b32_e32 v14, s64, v14
	v_and_b32_e32 v15, s65, v15
	v_mul_lo_u32 v15, v15, 24
	v_mul_hi_u32 v17, v14, 24
	v_mul_lo_u32 v14, v14, 24
	v_add_u32_e32 v15, v17, v15
	v_add_co_u32_e32 v14, vcc, v26, v14
	v_addc_co_u32_e32 v15, vcc, v27, v15, vcc
	global_store_dwordx2 v[14:15], v[50:51], off
	buffer_wbl2
	s_waitcnt vmcnt(0)
	global_atomic_cmpswap_x2 v[28:29], v8, v[48:51], s[62:63] offset:32 glc
	s_waitcnt vmcnt(0)
	v_cmp_ne_u64_e32 vcc, v[28:29], v[50:51]
	s_and_saveexec_b64 s[66:67], vcc
	s_cbranch_execz .LBB5_218
; %bb.216:                              ;   in Loop: Header=BB5_75 Depth=5
	s_mov_b64 s[68:69], 0
.LBB5_217:                              ;   Parent Loop BB5_3 Depth=1
                                        ;     Parent Loop BB5_6 Depth=2
                                        ;       Parent Loop BB5_11 Depth=3
                                        ;         Parent Loop BB5_43 Depth=4
                                        ;           Parent Loop BB5_75 Depth=5
                                        ; =>          This Inner Loop Header: Depth=6
	s_sleep 1
	global_store_dwordx2 v[14:15], v[28:29], off
	v_mov_b32_e32 v26, s64
	v_mov_b32_e32 v27, s65
	buffer_wbl2
	s_waitcnt vmcnt(0)
	global_atomic_cmpswap_x2 v[18:19], v8, v[26:29], s[62:63] offset:32 glc
	s_waitcnt vmcnt(0)
	v_cmp_eq_u64_e32 vcc, v[18:19], v[28:29]
	s_or_b64 s[68:69], vcc, s[68:69]
	v_pk_mov_b32 v[28:29], v[18:19], v[18:19] op_sel:[0,1]
	s_andn2_b64 exec, exec, s[68:69]
	s_cbranch_execnz .LBB5_217
.LBB5_218:                              ;   in Loop: Header=BB5_75 Depth=5
	s_or_b64 exec, exec, s[66:67]
	global_load_dwordx2 v[14:15], v8, s[62:63] offset:16
	s_mov_b64 s[68:69], exec
	v_mbcnt_lo_u32_b32 v17, s68, 0
	v_mbcnt_hi_u32_b32 v17, s69, v17
	v_cmp_eq_u32_e32 vcc, 0, v17
	s_and_saveexec_b64 s[66:67], vcc
	s_cbranch_execz .LBB5_220
; %bb.219:                              ;   in Loop: Header=BB5_75 Depth=5
	s_bcnt1_i32_b64 s20, s[68:69]
	v_mov_b32_e32 v18, s20
	v_mov_b32_e32 v19, v8
	buffer_wbl2
	s_waitcnt vmcnt(0)
	global_atomic_add_x2 v[14:15], v[18:19], off offset:8
.LBB5_220:                              ;   in Loop: Header=BB5_75 Depth=5
	s_or_b64 exec, exec, s[66:67]
	s_waitcnt vmcnt(0)
	global_load_dwordx2 v[18:19], v[14:15], off offset:16
	s_waitcnt vmcnt(0)
	v_cmp_eq_u64_e32 vcc, 0, v[18:19]
	s_cbranch_vccnz .LBB5_222
; %bb.221:                              ;   in Loop: Header=BB5_75 Depth=5
	global_load_dword v14, v[14:15], off offset:24
	v_mov_b32_e32 v15, v8
	buffer_wbl2
	s_waitcnt vmcnt(0)
	global_store_dwordx2 v[18:19], v[14:15], off
	v_and_b32_e32 v14, 0xffffff, v14
	v_readfirstlane_b32 m0, v14
	s_sendmsg sendmsg(MSG_INTERRUPT)
.LBB5_222:                              ;   in Loop: Header=BB5_75 Depth=5
	s_or_b64 exec, exec, s[22:23]
	v_add_co_u32_e32 v10, vcc, v10, v11
	v_addc_co_u32_e32 v11, vcc, 0, v9, vcc
.LBB5_223:                              ;   Parent Loop BB5_3 Depth=1
                                        ;     Parent Loop BB5_6 Depth=2
                                        ;       Parent Loop BB5_11 Depth=3
                                        ;         Parent Loop BB5_43 Depth=4
                                        ;           Parent Loop BB5_75 Depth=5
                                        ; =>          This Inner Loop Header: Depth=6
	v_mov_b32_e32 v9, 1
	s_and_saveexec_b64 s[22:23], s[16:17]
	s_cbranch_execz .LBB5_225
; %bb.224:                              ;   in Loop: Header=BB5_223 Depth=6
	global_load_dword v9, v[6:7], off offset:20 glc
	s_waitcnt vmcnt(0)
	buffer_invl2
	buffer_wbinvl1_vol
	v_and_b32_e32 v9, 1, v9
.LBB5_225:                              ;   in Loop: Header=BB5_223 Depth=6
	s_or_b64 exec, exec, s[22:23]
	v_readfirstlane_b32 s20, v9
	s_cmp_eq_u32 s20, 0
	s_cbranch_scc1 .LBB5_227
; %bb.226:                              ;   in Loop: Header=BB5_223 Depth=6
	s_mov_b64 s[22:23], 0
	s_sleep 1
	s_branch .LBB5_228
.LBB5_227:                              ;   in Loop: Header=BB5_223 Depth=6
	s_mov_b64 s[22:23], -1
.LBB5_228:                              ;   in Loop: Header=BB5_223 Depth=6
	s_andn2_b64 vcc, exec, s[22:23]
	s_cbranch_vccnz .LBB5_223
; %bb.229:                              ;   in Loop: Header=BB5_75 Depth=5
	global_load_dwordx2 v[6:7], v[10:11], off
	s_and_saveexec_b64 s[22:23], s[16:17]
	s_cbranch_execz .LBB5_233
; %bb.230:                              ;   in Loop: Header=BB5_75 Depth=5
	global_load_dwordx2 v[10:11], v8, s[62:63] offset:40
	global_load_dwordx2 v[14:15], v8, s[62:63] offset:24 glc
	global_load_dwordx2 v[18:19], v8, s[62:63]
	v_mov_b32_e32 v9, s65
	s_waitcnt vmcnt(2)
	v_add_co_u32_e32 v17, vcc, 1, v10
	v_addc_co_u32_e32 v21, vcc, 0, v11, vcc
	v_add_co_u32_e32 v26, vcc, s64, v17
	v_addc_co_u32_e32 v27, vcc, v21, v9, vcc
	v_cmp_eq_u64_e32 vcc, 0, v[26:27]
	v_cndmask_b32_e32 v27, v27, v21, vcc
	v_cndmask_b32_e32 v26, v26, v17, vcc
	v_and_b32_e32 v9, v27, v11
	v_and_b32_e32 v10, v26, v10
	v_mul_lo_u32 v9, v9, 24
	v_mul_hi_u32 v11, v10, 24
	v_mul_lo_u32 v10, v10, 24
	v_add_u32_e32 v9, v11, v9
	s_waitcnt vmcnt(0)
	v_add_co_u32_e32 v10, vcc, v18, v10
	v_addc_co_u32_e32 v11, vcc, v19, v9, vcc
	v_mov_b32_e32 v28, v14
	global_store_dwordx2 v[10:11], v[14:15], off
	v_mov_b32_e32 v29, v15
	buffer_wbl2
	s_waitcnt vmcnt(0)
	global_atomic_cmpswap_x2 v[28:29], v8, v[26:29], s[62:63] offset:24 glc
	s_waitcnt vmcnt(0)
	v_cmp_ne_u64_e32 vcc, v[28:29], v[14:15]
	s_and_b64 exec, exec, vcc
	s_cbranch_execz .LBB5_233
; %bb.231:                              ;   in Loop: Header=BB5_75 Depth=5
	s_mov_b64 s[16:17], 0
.LBB5_232:                              ;   Parent Loop BB5_3 Depth=1
                                        ;     Parent Loop BB5_6 Depth=2
                                        ;       Parent Loop BB5_11 Depth=3
                                        ;         Parent Loop BB5_43 Depth=4
                                        ;           Parent Loop BB5_75 Depth=5
                                        ; =>          This Inner Loop Header: Depth=6
	s_sleep 1
	global_store_dwordx2 v[10:11], v[28:29], off
	buffer_wbl2
	s_waitcnt vmcnt(0)
	global_atomic_cmpswap_x2 v[14:15], v8, v[26:29], s[62:63] offset:24 glc
	s_waitcnt vmcnt(0)
	v_cmp_eq_u64_e32 vcc, v[14:15], v[28:29]
	s_or_b64 s[16:17], vcc, s[16:17]
	v_pk_mov_b32 v[28:29], v[14:15], v[14:15] op_sel:[0,1]
	s_andn2_b64 exec, exec, s[16:17]
	s_cbranch_execnz .LBB5_232
.LBB5_233:                              ;   in Loop: Header=BB5_75 Depth=5
	s_or_b64 exec, exec, s[22:23]
.LBB5_234:                              ;   in Loop: Header=BB5_75 Depth=5
	s_or_b64 exec, exec, s[60:61]
.LBB5_235:                              ;   in Loop: Header=BB5_75 Depth=5
	s_or_b64 exec, exec, s[18:19]
	s_waitcnt vmcnt(0)
	v_readfirstlane_b32 s18, v6
	v_readfirstlane_b32 s19, v7
	s_cmp_eq_u64 s[18:19], 0
	s_mov_b64 s[16:17], 0
	s_cbranch_scc1 .LBB5_196
; %bb.236:                              ;   in Loop: Header=BB5_75 Depth=5
	global_load_dword v10, v[46:47], off
	v_mbcnt_lo_u32_b32 v6, exec_lo, 0
	v_mbcnt_hi_u32_b32 v11, exec_hi, v6
	s_bcnt1_i32_b64 s20, exec
	s_waitcnt vmcnt(0)
	v_add_u32_e32 v6, 31, v10
	v_lshrrev_b32_e32 v9, 5, v6
	s_and_saveexec_b64 s[16:17], s[12:13]
	s_xor_b64 s[22:23], exec, s[16:17]
	s_cbranch_execz .LBB5_244
; %bb.237:                              ;   in Loop: Header=BB5_75 Depth=5
	global_load_dword v14, v[0:1], off
	v_cmp_lt_u32_e32 vcc, v11, v9
	s_and_saveexec_b64 s[60:61], vcc
	s_cbranch_execz .LBB5_240
; %bb.238:                              ;   in Loop: Header=BB5_75 Depth=5
	s_add_u32 s16, s18, 16
	s_addc_u32 s17, s19, 0
	v_lshlrev_b32_e32 v6, 2, v11
	v_mov_b32_e32 v7, s17
	v_add_co_u32_e32 v6, vcc, s16, v6
	v_addc_co_u32_e32 v7, vcc, 0, v7, vcc
	s_lshl_b32 s64, s20, 2
	s_mov_b64 s[62:63], 0
	v_mov_b32_e32 v15, v11
.LBB5_239:                              ;   Parent Loop BB5_3 Depth=1
                                        ;     Parent Loop BB5_6 Depth=2
                                        ;       Parent Loop BB5_11 Depth=3
                                        ;         Parent Loop BB5_43 Depth=4
                                        ;           Parent Loop BB5_75 Depth=5
                                        ; =>          This Inner Loop Header: Depth=6
	v_add_u32_e32 v15, s20, v15
	global_store_dword v[6:7], v8, off
	v_mov_b32_e32 v17, s21
	v_add_co_u32_e32 v6, vcc, s64, v6
	v_cmp_ge_u32_e64 s[16:17], v15, v9
	s_or_b64 s[62:63], s[16:17], s[62:63]
	v_addc_co_u32_e32 v7, vcc, v7, v17, vcc
	s_andn2_b64 exec, exec, s[62:63]
	s_cbranch_execnz .LBB5_239
.LBB5_240:                              ;   in Loop: Header=BB5_75 Depth=5
	s_or_b64 exec, exec, s[60:61]
	global_load_dword v6, v[52:53], off
	s_waitcnt vmcnt(0)
	v_mad_u64_u32 v[6:7], s[16:17], v14, v11, v[6:7]
	v_cmp_lt_u32_e32 vcc, v6, v10
	s_and_saveexec_b64 s[16:17], vcc
	s_cbranch_execz .LBB5_243
; %bb.241:                              ;   in Loop: Header=BB5_75 Depth=5
	s_add_u32 s60, s18, 16
	v_mul_lo_u32 v7, v14, s20
	s_addc_u32 s61, s19, 0
	s_mov_b64 s[62:63], 0
.LBB5_242:                              ;   Parent Loop BB5_3 Depth=1
                                        ;     Parent Loop BB5_6 Depth=2
                                        ;       Parent Loop BB5_11 Depth=3
                                        ;         Parent Loop BB5_43 Depth=4
                                        ;           Parent Loop BB5_75 Depth=5
                                        ; =>          This Inner Loop Header: Depth=6
	v_lshlrev_b32_e64 v14, v6, 1
	v_lshrrev_b32_e32 v15, 3, v6
	v_add_u32_e32 v6, v6, v7
	v_cmp_ge_u32_e32 vcc, v6, v10
	v_and_b32_e32 v15, 0x1ffffffc, v15
	s_or_b64 s[62:63], vcc, s[62:63]
	global_store_dword v15, v14, s[60:61]
	s_andn2_b64 exec, exec, s[62:63]
	s_cbranch_execnz .LBB5_242
.LBB5_243:                              ;   in Loop: Header=BB5_75 Depth=5
	s_or_b64 exec, exec, s[16:17]
.LBB5_244:                              ;   in Loop: Header=BB5_75 Depth=5
	s_andn2_saveexec_b64 s[22:23], s[22:23]
	s_cbranch_execz .LBB5_249
; %bb.245:                              ;   in Loop: Header=BB5_75 Depth=5
	v_cmp_lt_u32_e32 vcc, v11, v9
	s_and_saveexec_b64 s[60:61], vcc
	s_cbranch_execz .LBB5_248
; %bb.246:                              ;   in Loop: Header=BB5_75 Depth=5
	v_accvgpr_read_b32 v6, a18
	v_accvgpr_read_b32 v7, a19
	global_load_dword v14, v[6:7], off
	s_add_u32 s16, s18, 16
	s_addc_u32 s17, s19, 0
	v_lshlrev_b32_e32 v6, 2, v11
	v_mov_b32_e32 v7, s17
	v_add_co_u32_e32 v6, vcc, s16, v6
	v_addc_co_u32_e32 v7, vcc, 0, v7, vcc
	s_lshl_b32 s64, s20, 2
	s_mov_b64 s[62:63], 0
	v_mov_b32_e32 v15, v11
	s_waitcnt vmcnt(0)
.LBB5_247:                              ;   Parent Loop BB5_3 Depth=1
                                        ;     Parent Loop BB5_6 Depth=2
                                        ;       Parent Loop BB5_11 Depth=3
                                        ;         Parent Loop BB5_43 Depth=4
                                        ;           Parent Loop BB5_75 Depth=5
                                        ; =>          This Inner Loop Header: Depth=6
	v_add_u32_e32 v15, s20, v15
	global_store_dword v[6:7], v14, off
	v_mov_b32_e32 v17, s21
	v_add_co_u32_e32 v6, vcc, s64, v6
	v_cmp_ge_u32_e64 s[16:17], v15, v9
	s_or_b64 s[62:63], s[16:17], s[62:63]
	v_addc_co_u32_e32 v7, vcc, v7, v17, vcc
	s_andn2_b64 exec, exec, s[62:63]
	s_cbranch_execnz .LBB5_247
.LBB5_248:                              ;   in Loop: Header=BB5_75 Depth=5
	s_or_b64 exec, exec, s[60:61]
.LBB5_249:                              ;   in Loop: Header=BB5_75 Depth=5
	s_or_b64 exec, exec, s[22:23]
	v_cmp_eq_u32_e32 vcc, 0, v11
	s_and_saveexec_b64 s[16:17], vcc
	s_cbranch_execz .LBB5_253
; %bb.250:                              ;   in Loop: Header=BB5_75 Depth=5
	v_and_b32_e32 v6, 31, v10
	v_cmp_ne_u32_e32 vcc, 0, v6
	s_and_saveexec_b64 s[22:23], vcc
	s_cbranch_execz .LBB5_252
; %bb.251:                              ;   in Loop: Header=BB5_75 Depth=5
	v_add_u32_e32 v10, -1, v9
	v_mov_b32_e32 v11, v8
	v_lshlrev_b64 v[10:11], 2, v[10:11]
	v_mov_b32_e32 v7, s19
	v_add_co_u32_e32 v10, vcc, s18, v10
	v_addc_co_u32_e32 v11, vcc, v7, v11, vcc
	global_load_dword v7, v[10:11], off offset:16
	s_waitcnt vmcnt(0)
	v_lshl_or_b32 v6, -1, v6, v7
	global_store_dword v[10:11], v6, off offset:16
.LBB5_252:                              ;   in Loop: Header=BB5_75 Depth=5
	s_or_b64 exec, exec, s[22:23]
	global_store_dwordx4 v8, v[22:25], s[18:19]
.LBB5_253:                              ;   in Loop: Header=BB5_75 Depth=5
	s_or_b64 exec, exec, s[16:17]
.LBB5_254:                              ;   Parent Loop BB5_3 Depth=1
                                        ;     Parent Loop BB5_6 Depth=2
                                        ;       Parent Loop BB5_11 Depth=3
                                        ;         Parent Loop BB5_43 Depth=4
                                        ;           Parent Loop BB5_75 Depth=5
                                        ; =>          This Inner Loop Header: Depth=6
	v_mov_b32_e32 v6, s91
	s_and_saveexec_b64 s[16:17], s[14:15]
	s_cbranch_execz .LBB5_256
; %bb.255:                              ;   in Loop: Header=BB5_254 Depth=6
	global_load_dword v6, v[56:57], off glc
.LBB5_256:                              ;   in Loop: Header=BB5_254 Depth=6
	s_or_b64 exec, exec, s[16:17]
	s_waitcnt vmcnt(0)
	v_readfirstlane_b32 s91, v6
	s_cmp_eq_u32 s91, 0x10100
	s_cbranch_scc1 .LBB5_263
; %bb.257:                              ;   in Loop: Header=BB5_254 Depth=6
	v_mov_b32_e32 v6, s92
	s_and_saveexec_b64 s[16:17], s[14:15]
	s_cbranch_execz .LBB5_259
; %bb.258:                              ;   in Loop: Header=BB5_254 Depth=6
	global_load_dword v6, v[58:59], off glc
.LBB5_259:                              ;   in Loop: Header=BB5_254 Depth=6
	s_or_b64 exec, exec, s[16:17]
	s_waitcnt vmcnt(0)
	v_readfirstlane_b32 s92, v6
	s_mov_b64 s[22:23], -1
	s_cmp_lg_u32 s91, s92
	s_mov_b64 vcc, -1
                                        ; implicit-def: $sgpr16_sgpr17
	s_cbranch_scc0 .LBB5_273
; %bb.260:                              ;   in Loop: Header=BB5_254 Depth=6
	v_pk_mov_b32 v[6:7], 0, 0
	s_and_saveexec_b64 s[16:17], s[14:15]
	s_cbranch_execz .LBB5_270
; %bb.261:                              ;   in Loop: Header=BB5_254 Depth=6
	s_cmpk_lt_u32 s91, 0x100
	s_cbranch_scc0 .LBB5_264
; %bb.262:                              ;   in Loop: Header=BB5_254 Depth=6
	v_pk_mov_b32 v[6:7], s[30:31], s[30:31] op_sel:[0,1]
	v_mad_u64_u32 v[6:7], s[22:23], v22, s82, v[6:7]
	v_mad_u64_u32 v[10:11], s[22:23], s91, 24, v[6:7]
	s_mov_b64 s[22:23], 0
	s_branch .LBB5_265
.LBB5_263:                              ;   in Loop: Header=BB5_254 Depth=6
	s_mov_b64 s[16:17], 0
	s_mov_b64 s[60:61], -1
	s_mov_b64 s[22:23], 0
                                        ; implicit-def: $sgpr91
                                        ; implicit-def: $sgpr92
	s_mov_b64 vcc, -1
	s_branch .LBB5_274
.LBB5_264:                              ;   in Loop: Header=BB5_254 Depth=6
                                        ; implicit-def: $vgpr10_vgpr11
.LBB5_265:                              ;   in Loop: Header=BB5_254 Depth=6
	s_andn2_b64 vcc, exec, s[22:23]
	s_cbranch_vccnz .LBB5_267
; %bb.266:                              ;   in Loop: Header=BB5_254 Depth=6
	s_add_i32 s20, s91, 0xffffff00
	v_pk_mov_b32 v[6:7], s[30:31], s[30:31] op_sel:[0,1]
	s_lshr_b32 s20, s20, 8
	v_mad_u64_u32 v[6:7], s[22:23], v22, s82, v[6:7]
	v_mad_u64_u32 v[6:7], s[22:23], s20, 24, v[6:7]
	global_load_dwordx2 v[6:7], v[6:7], off glc
	s_and_b32 s20, s91, 0xff
	s_waitcnt vmcnt(0)
	v_mad_u64_u32 v[10:11], s[22:23], s20, 24, v[6:7]
.LBB5_267:                              ;   in Loop: Header=BB5_254 Depth=6
	v_mov_b32_e32 v6, s91
	global_store_dword v8, v6, s[18:19] offset:4
	v_mov_b32_e32 v6, s18
	v_mov_b32_e32 v7, s19
	;; [unrolled: 1-line block ×3, first 2 shown]
	global_atomic_cmpswap_x2 v[6:7], v[10:11], v[6:9], off offset:8 glc
	s_waitcnt vmcnt(0)
	v_cmp_eq_u64_e32 vcc, 0, v[6:7]
	v_pk_mov_b32 v[6:7], 0, 0
	s_and_saveexec_b64 s[22:23], vcc
	s_cbranch_execz .LBB5_269
; %bb.268:                              ;   in Loop: Header=BB5_254 Depth=6
	global_atomic_add v[56:57], v62, off
	v_pk_mov_b32 v[6:7], v[10:11], v[10:11] op_sel:[0,1]
.LBB5_269:                              ;   in Loop: Header=BB5_254 Depth=6
	s_or_b64 exec, exec, s[22:23]
.LBB5_270:                              ;   in Loop: Header=BB5_254 Depth=6
	s_or_b64 exec, exec, s[16:17]
	v_readfirstlane_b32 s16, v6
	v_readfirstlane_b32 s17, v7
	s_cmp_lg_u64 s[16:17], 0
	s_mov_b64 vcc, -1
	s_cbranch_scc1 .LBB5_272
; %bb.271:                              ;   in Loop: Header=BB5_254 Depth=6
	s_mov_b64 vcc, 0
	s_sleep 2
.LBB5_272:                              ;   in Loop: Header=BB5_254 Depth=6
	s_mov_b64 s[22:23], 0
.LBB5_273:                              ;   in Loop: Header=BB5_254 Depth=6
	s_mov_b64 s[60:61], 0
.LBB5_274:                              ;   in Loop: Header=BB5_254 Depth=6
	s_and_b64 vcc, exec, vcc
	s_cbranch_vccz .LBB5_254
; %bb.275:                              ;   in Loop: Header=BB5_75 Depth=5
	s_and_b64 vcc, exec, s[60:61]
	s_cbranch_vccnz .LBB5_197
; %bb.276:                              ;   in Loop: Header=BB5_75 Depth=5
	s_xor_b64 vcc, s[22:23], -1
	s_mov_b64 s[22:23], -1
	s_and_b64 vcc, exec, vcc
	s_cbranch_vccz .LBB5_278
; %bb.277:                              ;   in Loop: Header=BB5_75 Depth=5
	s_mov_b64 s[22:23], 0
.LBB5_278:                              ;   in Loop: Header=BB5_75 Depth=5
	s_andn2_b64 vcc, exec, s[22:23]
	s_cbranch_vccnz .LBB5_197
; %bb.279:                              ;   in Loop: Header=BB5_75 Depth=5
	s_and_saveexec_b64 s[60:61], s[14:15]
	s_cbranch_execz .LBB5_307
; %bb.280:                              ;   in Loop: Header=BB5_75 Depth=5
	s_load_dwordx2 s[62:63], s[8:9], 0x50
	v_readfirstlane_b32 s16, v32
	v_cmp_eq_u32_e64 s[16:17], s16, v32
	v_pk_mov_b32 v[6:7], 0, 0
	s_and_saveexec_b64 s[22:23], s[16:17]
	s_cbranch_execz .LBB5_286
; %bb.281:                              ;   in Loop: Header=BB5_75 Depth=5
	s_waitcnt lgkmcnt(0)
	global_load_dwordx2 v[28:29], v8, s[62:63] offset:24 glc
	s_waitcnt vmcnt(0)
	buffer_invl2
	buffer_wbinvl1_vol
	global_load_dwordx2 v[6:7], v8, s[62:63] offset:40
	global_load_dwordx2 v[10:11], v8, s[62:63]
	s_waitcnt vmcnt(1)
	v_and_b32_e32 v6, v6, v28
	v_and_b32_e32 v7, v7, v29
	v_mul_lo_u32 v7, v7, 24
	v_mul_hi_u32 v9, v6, 24
	v_mul_lo_u32 v6, v6, 24
	v_add_u32_e32 v7, v9, v7
	s_waitcnt vmcnt(0)
	v_add_co_u32_e32 v6, vcc, v10, v6
	v_addc_co_u32_e32 v7, vcc, v11, v7, vcc
	global_load_dwordx2 v[26:27], v[6:7], off glc
	s_waitcnt vmcnt(0)
	global_atomic_cmpswap_x2 v[6:7], v8, v[26:29], s[62:63] offset:24 glc
	s_waitcnt vmcnt(0)
	buffer_invl2
	buffer_wbinvl1_vol
	v_cmp_ne_u64_e32 vcc, v[6:7], v[28:29]
	s_and_saveexec_b64 s[64:65], vcc
	s_cbranch_execz .LBB5_285
; %bb.282:                              ;   in Loop: Header=BB5_75 Depth=5
	s_mov_b64 s[66:67], 0
.LBB5_283:                              ;   Parent Loop BB5_3 Depth=1
                                        ;     Parent Loop BB5_6 Depth=2
                                        ;       Parent Loop BB5_11 Depth=3
                                        ;         Parent Loop BB5_43 Depth=4
                                        ;           Parent Loop BB5_75 Depth=5
                                        ; =>          This Inner Loop Header: Depth=6
	s_sleep 1
	global_load_dwordx2 v[10:11], v8, s[62:63] offset:40
	global_load_dwordx2 v[14:15], v8, s[62:63]
	v_pk_mov_b32 v[28:29], v[6:7], v[6:7] op_sel:[0,1]
	s_waitcnt vmcnt(1)
	v_and_b32_e32 v6, v10, v28
	s_waitcnt vmcnt(0)
	v_mad_u64_u32 v[6:7], vcc, v6, 24, v[14:15]
	v_and_b32_e32 v9, v11, v29
	v_mov_b32_e32 v10, v7
	v_mad_u64_u32 v[10:11], vcc, v9, 24, v[10:11]
	v_mov_b32_e32 v7, v10
	global_load_dwordx2 v[26:27], v[6:7], off glc
	s_waitcnt vmcnt(0)
	global_atomic_cmpswap_x2 v[6:7], v8, v[26:29], s[62:63] offset:24 glc
	s_waitcnt vmcnt(0)
	buffer_invl2
	buffer_wbinvl1_vol
	v_cmp_eq_u64_e32 vcc, v[6:7], v[28:29]
	s_or_b64 s[66:67], vcc, s[66:67]
	s_andn2_b64 exec, exec, s[66:67]
	s_cbranch_execnz .LBB5_283
; %bb.284:                              ;   in Loop: Header=BB5_75 Depth=5
	s_or_b64 exec, exec, s[66:67]
.LBB5_285:                              ;   in Loop: Header=BB5_75 Depth=5
	s_or_b64 exec, exec, s[64:65]
.LBB5_286:                              ;   in Loop: Header=BB5_75 Depth=5
	s_or_b64 exec, exec, s[22:23]
	s_waitcnt lgkmcnt(0)
	global_load_dwordx2 v[10:11], v8, s[62:63] offset:40
	global_load_dwordx4 v[26:29], v8, s[62:63]
	v_readfirstlane_b32 s64, v6
	v_readfirstlane_b32 s65, v7
	s_mov_b64 s[22:23], exec
	s_waitcnt vmcnt(1)
	v_readfirstlane_b32 vcc_lo, v10
	v_readfirstlane_b32 vcc_hi, v11
	s_and_b64 s[66:67], s[64:65], vcc
	s_mul_i32 s20, s67, 24
	s_mul_hi_u32 vcc_lo, s66, 24
	s_mul_i32 vcc_hi, s66, 24
	s_add_i32 s20, vcc_lo, s20
	v_mov_b32_e32 v7, s20
	s_waitcnt vmcnt(0)
	v_add_co_u32_e32 v6, vcc, vcc_hi, v26
	v_addc_co_u32_e32 v7, vcc, v27, v7, vcc
	s_and_saveexec_b64 vcc, s[16:17]
	s_cbranch_execz .LBB5_288
; %bb.287:                              ;   in Loop: Header=BB5_75 Depth=5
	v_pk_mov_b32 v[10:11], s[22:23], s[22:23] op_sel:[0,1]
	global_store_dwordx4 v[6:7], v[10:13], off offset:8
.LBB5_288:                              ;   in Loop: Header=BB5_75 Depth=5
	s_or_b64 exec, exec, vcc
	s_lshl_b64 s[22:23], s[66:67], 12
	v_mov_b32_e32 v9, s23
	v_add_co_u32_e32 v10, vcc, s22, v28
	s_mov_b32 s22, s21
	s_mov_b32 s23, s21
	v_addc_co_u32_e32 v9, vcc, v29, v9, vcc
	s_mov_b32 s20, s21
	v_pk_mov_b32 v[50:51], s[22:23], s[22:23] op_sel:[0,1]
	v_lshlrev_b32_e32 v11, 6, v32
	v_pk_mov_b32 v[14:15], s[18:19], s[18:19] op_sel:[0,1]
	v_readfirstlane_b32 s18, v10
	v_readfirstlane_b32 s19, v9
	v_pk_mov_b32 v[48:49], s[20:21], s[20:21] op_sel:[0,1]
	v_mov_b32_e32 v9, v8
	s_nop 2
	global_store_dwordx2 v11, v[14:15], s[18:19]
	global_store_dwordx4 v11, v[48:51], s[18:19] offset:8
	global_store_dwordx4 v11, v[48:51], s[18:19] offset:24
	;; [unrolled: 1-line block ×3, first 2 shown]
	global_store_dwordx2 v11, v[8:9], s[18:19] offset:56
	s_and_saveexec_b64 s[18:19], s[16:17]
	s_cbranch_execz .LBB5_296
; %bb.289:                              ;   in Loop: Header=BB5_75 Depth=5
	global_load_dwordx2 v[50:51], v8, s[62:63] offset:32 glc
	global_load_dwordx2 v[10:11], v8, s[62:63] offset:40
	v_mov_b32_e32 v48, s64
	v_mov_b32_e32 v49, s65
	s_waitcnt vmcnt(0)
	v_and_b32_e32 v9, s64, v10
	v_and_b32_e32 v10, s65, v11
	v_mul_lo_u32 v10, v10, 24
	v_mul_hi_u32 v11, v9, 24
	v_mul_lo_u32 v9, v9, 24
	v_add_u32_e32 v11, v11, v10
	v_add_co_u32_e32 v10, vcc, v26, v9
	v_addc_co_u32_e32 v11, vcc, v27, v11, vcc
	global_store_dwordx2 v[10:11], v[50:51], off
	buffer_wbl2
	s_waitcnt vmcnt(0)
	global_atomic_cmpswap_x2 v[28:29], v8, v[48:51], s[62:63] offset:32 glc
	s_waitcnt vmcnt(0)
	v_cmp_ne_u64_e32 vcc, v[28:29], v[50:51]
	s_and_saveexec_b64 s[22:23], vcc
	s_cbranch_execz .LBB5_292
; %bb.290:                              ;   in Loop: Header=BB5_75 Depth=5
	s_mov_b64 s[66:67], 0
.LBB5_291:                              ;   Parent Loop BB5_3 Depth=1
                                        ;     Parent Loop BB5_6 Depth=2
                                        ;       Parent Loop BB5_11 Depth=3
                                        ;         Parent Loop BB5_43 Depth=4
                                        ;           Parent Loop BB5_75 Depth=5
                                        ; =>          This Inner Loop Header: Depth=6
	s_sleep 1
	global_store_dwordx2 v[10:11], v[28:29], off
	v_mov_b32_e32 v26, s64
	v_mov_b32_e32 v27, s65
	buffer_wbl2
	s_waitcnt vmcnt(0)
	global_atomic_cmpswap_x2 v[14:15], v8, v[26:29], s[62:63] offset:32 glc
	s_waitcnt vmcnt(0)
	v_cmp_eq_u64_e32 vcc, v[14:15], v[28:29]
	s_or_b64 s[66:67], vcc, s[66:67]
	v_pk_mov_b32 v[28:29], v[14:15], v[14:15] op_sel:[0,1]
	s_andn2_b64 exec, exec, s[66:67]
	s_cbranch_execnz .LBB5_291
.LBB5_292:                              ;   in Loop: Header=BB5_75 Depth=5
	s_or_b64 exec, exec, s[22:23]
	global_load_dwordx2 v[10:11], v8, s[62:63] offset:16
	s_mov_b64 s[66:67], exec
	v_mbcnt_lo_u32_b32 v9, s66, 0
	v_mbcnt_hi_u32_b32 v9, s67, v9
	v_cmp_eq_u32_e32 vcc, 0, v9
	s_and_saveexec_b64 s[22:23], vcc
	s_cbranch_execz .LBB5_294
; %bb.293:                              ;   in Loop: Header=BB5_75 Depth=5
	s_bcnt1_i32_b64 s20, s[66:67]
	v_mov_b32_e32 v14, s20
	v_mov_b32_e32 v15, v8
	buffer_wbl2
	s_waitcnt vmcnt(0)
	global_atomic_add_x2 v[10:11], v[14:15], off offset:8
.LBB5_294:                              ;   in Loop: Header=BB5_75 Depth=5
	s_or_b64 exec, exec, s[22:23]
	s_waitcnt vmcnt(0)
	global_load_dwordx2 v[14:15], v[10:11], off offset:16
	s_waitcnt vmcnt(0)
	v_cmp_eq_u64_e32 vcc, 0, v[14:15]
	s_cbranch_vccnz .LBB5_296
; %bb.295:                              ;   in Loop: Header=BB5_75 Depth=5
	global_load_dword v10, v[10:11], off offset:24
	v_mov_b32_e32 v11, v8
	s_waitcnt vmcnt(0)
	v_and_b32_e32 v9, 0xffffff, v10
	v_readfirstlane_b32 m0, v9
	buffer_wbl2
	global_store_dwordx2 v[14:15], v[10:11], off
	s_sendmsg sendmsg(MSG_INTERRUPT)
.LBB5_296:                              ;   in Loop: Header=BB5_75 Depth=5
	s_or_b64 exec, exec, s[18:19]
.LBB5_297:                              ;   Parent Loop BB5_3 Depth=1
                                        ;     Parent Loop BB5_6 Depth=2
                                        ;       Parent Loop BB5_11 Depth=3
                                        ;         Parent Loop BB5_43 Depth=4
                                        ;           Parent Loop BB5_75 Depth=5
                                        ; =>          This Inner Loop Header: Depth=6
	v_mov_b32_e32 v9, 1
	s_and_saveexec_b64 s[18:19], s[16:17]
	s_cbranch_execz .LBB5_299
; %bb.298:                              ;   in Loop: Header=BB5_297 Depth=6
	global_load_dword v9, v[6:7], off offset:20 glc
	s_waitcnt vmcnt(0)
	buffer_invl2
	buffer_wbinvl1_vol
	v_and_b32_e32 v9, 1, v9
.LBB5_299:                              ;   in Loop: Header=BB5_297 Depth=6
	s_or_b64 exec, exec, s[18:19]
	v_readfirstlane_b32 s18, v9
	s_cmp_eq_u32 s18, 0
	s_cbranch_scc1 .LBB5_301
; %bb.300:                              ;   in Loop: Header=BB5_297 Depth=6
	s_mov_b64 s[18:19], 0
	s_sleep 1
	s_branch .LBB5_302
.LBB5_301:                              ;   in Loop: Header=BB5_297 Depth=6
	s_mov_b64 s[18:19], -1
.LBB5_302:                              ;   in Loop: Header=BB5_297 Depth=6
	s_andn2_b64 vcc, exec, s[18:19]
	s_cbranch_vccnz .LBB5_297
; %bb.303:                              ;   in Loop: Header=BB5_75 Depth=5
	s_and_b64 exec, exec, s[16:17]
	s_cbranch_execz .LBB5_307
; %bb.304:                              ;   in Loop: Header=BB5_75 Depth=5
	global_load_dwordx2 v[6:7], v8, s[62:63] offset:40
	global_load_dwordx2 v[10:11], v8, s[62:63] offset:24 glc
	global_load_dwordx2 v[14:15], v8, s[62:63]
	v_mov_b32_e32 v9, s65
	s_waitcnt vmcnt(2)
	v_add_co_u32_e32 v17, vcc, 1, v6
	v_addc_co_u32_e32 v21, vcc, 0, v7, vcc
	v_add_co_u32_e32 v18, vcc, s64, v17
	v_addc_co_u32_e32 v19, vcc, v21, v9, vcc
	v_cmp_eq_u64_e32 vcc, 0, v[18:19]
	v_cndmask_b32_e32 v27, v19, v21, vcc
	v_cndmask_b32_e32 v26, v18, v17, vcc
	v_and_b32_e32 v7, v27, v7
	v_and_b32_e32 v6, v26, v6
	v_mul_lo_u32 v7, v7, 24
	v_mul_hi_u32 v9, v6, 24
	v_mul_lo_u32 v6, v6, 24
	v_add_u32_e32 v7, v9, v7
	s_waitcnt vmcnt(0)
	v_add_co_u32_e32 v6, vcc, v14, v6
	v_addc_co_u32_e32 v7, vcc, v15, v7, vcc
	v_mov_b32_e32 v28, v10
	global_store_dwordx2 v[6:7], v[10:11], off
	v_mov_b32_e32 v29, v11
	buffer_wbl2
	s_waitcnt vmcnt(0)
	global_atomic_cmpswap_x2 v[28:29], v8, v[26:29], s[62:63] offset:24 glc
	s_waitcnt vmcnt(0)
	v_cmp_ne_u64_e32 vcc, v[28:29], v[10:11]
	s_and_b64 exec, exec, vcc
	s_cbranch_execz .LBB5_307
; %bb.305:                              ;   in Loop: Header=BB5_75 Depth=5
	s_mov_b64 s[16:17], 0
.LBB5_306:                              ;   Parent Loop BB5_3 Depth=1
                                        ;     Parent Loop BB5_6 Depth=2
                                        ;       Parent Loop BB5_11 Depth=3
                                        ;         Parent Loop BB5_43 Depth=4
                                        ;           Parent Loop BB5_75 Depth=5
                                        ; =>          This Inner Loop Header: Depth=6
	s_sleep 1
	global_store_dwordx2 v[6:7], v[28:29], off
	buffer_wbl2
	s_waitcnt vmcnt(0)
	global_atomic_cmpswap_x2 v[10:11], v8, v[26:29], s[62:63] offset:24 glc
	s_waitcnt vmcnt(0)
	v_cmp_eq_u64_e32 vcc, v[10:11], v[28:29]
	s_or_b64 s[16:17], vcc, s[16:17]
	v_pk_mov_b32 v[28:29], v[10:11], v[10:11] op_sel:[0,1]
	s_andn2_b64 exec, exec, s[16:17]
	s_cbranch_execnz .LBB5_306
.LBB5_307:                              ;   in Loop: Header=BB5_75 Depth=5
	s_or_b64 exec, exec, s[60:61]
	s_mov_b64 s[22:23], -1
	s_mov_b64 s[16:17], s[58:59]
	s_branch .LBB5_197
.LBB5_308:                              ;   in Loop: Header=BB5_43 Depth=4
	s_cmp_lg_u64 s[58:59], 1
	s_cselect_b64 s[14:15], -1, 0
	s_and_b64 vcc, exec, s[14:15]
	s_cbranch_vccz .LBB5_310
; %bb.309:                              ;   in Loop: Header=BB5_43 Depth=4
	v_pk_mov_b32 v[6:7], s[58:59], s[58:59] op_sel:[0,1]
	v_accvgpr_write_b32 a0, v6
	v_accvgpr_write_b32 a1, v7
	s_branch .LBB5_330
.LBB5_310:                              ;   in Loop: Header=BB5_43 Depth=4
	v_mbcnt_lo_u32_b32 v6, exec_lo, 0
	v_mbcnt_hi_u32_b32 v6, exec_hi, v6
	v_cmp_eq_u32_e32 vcc, 0, v6
	s_and_saveexec_b64 s[16:17], vcc
	s_cbranch_execz .LBB5_327
; %bb.311:                              ;   in Loop: Header=BB5_43 Depth=4
	global_load_dwordx2 v[6:7], v[54:55], off glc
	s_memrealtime s[18:19]
	s_waitcnt lgkmcnt(0)
	v_mov_b32_e32 v9, s19
	s_waitcnt vmcnt(0)
	v_sub_co_u32_e32 v6, vcc, s18, v6
	v_subb_co_u32_e32 v7, vcc, v9, v7, vcc
	v_cmp_gt_u64_e32 vcc, s[46:47], v[6:7]
	s_and_b64 exec, exec, vcc
	s_cbranch_execz .LBB5_327
; %bb.312:                              ;   in Loop: Header=BB5_43 Depth=4
	s_memrealtime s[22:23]
	v_sub_u32_e32 v6, 0x4e20, v6
	v_readfirstlane_b32 s18, v6
	s_ashr_i32 s19, s18, 31
	s_waitcnt lgkmcnt(0)
	s_add_u32 s18, s22, s18
	s_addc_u32 s19, s23, s19
.LBB5_313:                              ;   Parent Loop BB5_3 Depth=1
                                        ;     Parent Loop BB5_6 Depth=2
                                        ;       Parent Loop BB5_11 Depth=3
                                        ;         Parent Loop BB5_43 Depth=4
                                        ; =>        This Inner Loop Header: Depth=5
	s_waitcnt lgkmcnt(0)
	s_add_u32 vcc_lo, s22, 0x659
	s_addc_u32 vcc_hi, s23, 0
	v_pk_mov_b32 v[6:7], vcc, vcc op_sel:[0,1]
	v_cmp_le_u64_e32 vcc, s[18:19], v[6:7]
	s_cbranch_vccnz .LBB5_316
; %bb.314:                              ;   in Loop: Header=BB5_313 Depth=5
	s_sleep 0x7f
	s_memrealtime s[22:23]
	s_branch .LBB5_313
.LBB5_315:                              ;   in Loop: Header=BB5_316 Depth=5
	s_sleep 63
	s_memrealtime s[22:23]
.LBB5_316:                              ;   Parent Loop BB5_3 Depth=1
                                        ;     Parent Loop BB5_6 Depth=2
                                        ;       Parent Loop BB5_11 Depth=3
                                        ;         Parent Loop BB5_43 Depth=4
                                        ; =>        This Inner Loop Header: Depth=5
	s_waitcnt lgkmcnt(0)
	s_add_u32 vcc_lo, s22, 0x326
	s_addc_u32 vcc_hi, s23, 0
	v_pk_mov_b32 v[6:7], vcc, vcc op_sel:[0,1]
	v_cmp_le_u64_e32 vcc, s[18:19], v[6:7]
	s_cbranch_vccz .LBB5_315
; %bb.317:                              ;   in Loop: Header=BB5_43 Depth=4
	s_add_u32 vcc_lo, s22, 0x18c
	s_addc_u32 vcc_hi, s23, 0
	v_pk_mov_b32 v[6:7], vcc, vcc op_sel:[0,1]
	v_cmp_le_u64_e32 vcc, s[18:19], v[6:7]
	s_cbranch_vccnz .LBB5_320
.LBB5_318:                              ;   Parent Loop BB5_3 Depth=1
                                        ;     Parent Loop BB5_6 Depth=2
                                        ;       Parent Loop BB5_11 Depth=3
                                        ;         Parent Loop BB5_43 Depth=4
                                        ; =>        This Inner Loop Header: Depth=5
	s_sleep 31
	s_memrealtime s[22:23]
	s_waitcnt lgkmcnt(0)
	s_add_u32 vcc_lo, s22, 0x18c
	s_addc_u32 vcc_hi, s23, 0
	v_pk_mov_b32 v[6:7], vcc, vcc op_sel:[0,1]
	v_cmp_gt_u64_e32 vcc, s[18:19], v[6:7]
	s_cbranch_vccnz .LBB5_318
	s_branch .LBB5_320
.LBB5_319:                              ;   in Loop: Header=BB5_320 Depth=5
	s_sleep 15
	s_memrealtime s[22:23]
.LBB5_320:                              ;   Parent Loop BB5_3 Depth=1
                                        ;     Parent Loop BB5_6 Depth=2
                                        ;       Parent Loop BB5_11 Depth=3
                                        ;         Parent Loop BB5_43 Depth=4
                                        ; =>        This Inner Loop Header: Depth=5
	s_waitcnt lgkmcnt(0)
	s_add_u32 vcc_lo, s22, 0xc0
	s_addc_u32 vcc_hi, s23, 0
	v_pk_mov_b32 v[6:7], vcc, vcc op_sel:[0,1]
	v_cmp_le_u64_e32 vcc, s[18:19], v[6:7]
	s_cbranch_vccz .LBB5_319
	s_branch .LBB5_322
.LBB5_321:                              ;   in Loop: Header=BB5_322 Depth=5
	s_sleep 7
	s_memrealtime s[22:23]
.LBB5_322:                              ;   Parent Loop BB5_3 Depth=1
                                        ;     Parent Loop BB5_6 Depth=2
                                        ;       Parent Loop BB5_11 Depth=3
                                        ;         Parent Loop BB5_43 Depth=4
                                        ; =>        This Inner Loop Header: Depth=5
	s_waitcnt lgkmcnt(0)
	s_add_u32 vcc_lo, s22, 0x59
	s_addc_u32 vcc_hi, s23, 0
	v_pk_mov_b32 v[6:7], vcc, vcc op_sel:[0,1]
	v_cmp_le_u64_e32 vcc, s[18:19], v[6:7]
	s_cbranch_vccz .LBB5_321
	;; [unrolled: 15-line block ×3, first 2 shown]
; %bb.325:                              ;   in Loop: Header=BB5_43 Depth=4
	v_pk_mov_b32 v[6:7], s[22:23], s[22:23] op_sel:[0,1]
	v_cmp_le_u64_e32 vcc, s[18:19], v[6:7]
	s_cbranch_vccnz .LBB5_327
.LBB5_326:                              ;   Parent Loop BB5_3 Depth=1
                                        ;     Parent Loop BB5_6 Depth=2
                                        ;       Parent Loop BB5_11 Depth=3
                                        ;         Parent Loop BB5_43 Depth=4
                                        ; =>        This Inner Loop Header: Depth=5
	s_sleep 1
	s_memrealtime s[22:23]
	s_waitcnt lgkmcnt(0)
	v_pk_mov_b32 v[6:7], s[22:23], s[22:23] op_sel:[0,1]
	v_cmp_gt_u64_e32 vcc, s[18:19], v[6:7]
	s_cbranch_vccnz .LBB5_326
.LBB5_327:                              ;   in Loop: Header=BB5_43 Depth=4
	s_or_b64 exec, exec, s[16:17]
	v_mov_b32_e32 v6, s90
	s_and_saveexec_b64 s[16:17], s[10:11]
	s_cbranch_execz .LBB5_329
; %bb.328:                              ;   in Loop: Header=BB5_43 Depth=4
	global_load_dword v6, v[56:57], off glc
.LBB5_329:                              ;   in Loop: Header=BB5_43 Depth=4
	s_or_b64 exec, exec, s[16:17]
	s_waitcnt vmcnt(0)
	v_readfirstlane_b32 s90, v6
.LBB5_330:                              ;   in Loop: Header=BB5_43 Depth=4
	v_accvgpr_read_b32 v11, a1
	s_mov_b64 s[16:17], 0
	v_accvgpr_read_b32 v10, a0
.LBB5_331:                              ;   in Loop: Header=BB5_43 Depth=4
	s_and_b64 vcc, exec, s[14:15]
	s_cbranch_vccz .LBB5_43
; %bb.332:                              ;   in Loop: Header=BB5_11 Depth=3
	v_accvgpr_read_b32 v29, a3
	v_accvgpr_read_b32 v35, a5
	;; [unrolled: 1-line block ×5, first 2 shown]
	v_mov_b32_e32 v22, v2
	v_accvgpr_read_b32 v28, a2
	v_accvgpr_read_b32 v34, a4
	;; [unrolled: 1-line block ×5, first 2 shown]
.LBB5_333:                              ;   in Loop: Header=BB5_11 Depth=3
	s_and_b64 s[10:11], s[16:17], exec
	v_pk_mov_b32 v[6:7], v[10:11], v[10:11] op_sel:[0,1]
.LBB5_334:                              ;   in Loop: Header=BB5_11 Depth=3
	s_or_b64 exec, exec, s[56:57]
.LBB5_335:                              ;   in Loop: Header=BB5_11 Depth=3
	s_xor_b64 s[10:11], s[10:11], -1
	s_and_b64 s[10:11], exec, s[10:11]
	s_or_b64 s[54:55], s[10:11], s[54:55]
	s_andn2_b64 exec, exec, s[54:55]
	s_cbranch_execnz .LBB5_11
; %bb.336:                              ;   in Loop: Header=BB5_6 Depth=2
	s_or_b64 exec, exec, s[54:55]
	s_mov_b64 s[6:7], 0
	v_accvgpr_read_b32 v27, a14
	s_branch .LBB5_338
.LBB5_337:                              ;   in Loop: Header=BB5_6 Depth=2
	s_mov_b64 s[6:7], -1
                                        ; implicit-def: $vgpr6_vgpr7
.LBB5_338:                              ;   in Loop: Header=BB5_6 Depth=2
	s_and_b64 vcc, exec, s[6:7]
	s_cbranch_vccz .LBB5_629
; %bb.339:                              ;   in Loop: Header=BB5_6 Depth=2
	v_mbcnt_lo_u32_b32 v0, exec_lo, 0
	v_mbcnt_hi_u32_b32 v26, exec_hi, v0
	s_bcnt1_i32_b64 s62, exec
	v_cmp_eq_u32_e64 s[6:7], 0, v26
                                        ; implicit-def: $vgpr0_vgpr1
.LBB5_340:                              ;   Parent Loop BB5_3 Depth=1
                                        ;     Parent Loop BB5_6 Depth=2
                                        ; =>    This Loop Header: Depth=3
                                        ;         Child Loop BB5_344 Depth 4
                                        ;         Child Loop BB5_372 Depth 4
                                        ;           Child Loop BB5_390 Depth 5
                                        ;           Child Loop BB5_398 Depth 5
	;; [unrolled: 1-line block ×29, first 2 shown]
                                        ;         Child Loop BB5_610 Depth 4
                                        ;         Child Loop BB5_613 Depth 4
                                        ;         Child Loop BB5_615 Depth 4
                                        ;         Child Loop BB5_617 Depth 4
                                        ;         Child Loop BB5_619 Depth 4
                                        ;         Child Loop BB5_621 Depth 4
                                        ;         Child Loop BB5_623 Depth 4
	s_cmp_eq_u32 s87, 0
	s_mov_b64 s[10:11], -1
	s_cbranch_scc1 .LBB5_369
; %bb.341:                              ;   in Loop: Header=BB5_340 Depth=3
	v_mov_b32_e32 v6, 0
	s_and_saveexec_b64 s[12:13], s[6:7]
	s_cbranch_execz .LBB5_343
; %bb.342:                              ;   in Loop: Header=BB5_340 Depth=3
	global_load_dword v6, v[30:31], off glc
.LBB5_343:                              ;   in Loop: Header=BB5_340 Depth=3
	s_or_b64 exec, exec, s[12:13]
	global_load_dword v9, v[28:29], off
	v_cvt_f32_u32_e32 v7, s87
	s_waitcnt vmcnt(1)
	v_readfirstlane_b32 s12, v6
	v_add_u32_e32 v6, s12, v26
	s_sub_i32 s12, 0, s87
	v_rcp_iflag_f32_e32 v7, v7
	s_mov_b32 s16, s87
	v_mul_f32_e32 v7, 0x4f7ffffe, v7
	v_cvt_u32_f32_e32 v7, v7
	v_mul_lo_u32 v10, s12, v7
	v_mul_hi_u32 v10, v7, v10
	v_add_u32_e32 v10, v7, v10
	v_mul_hi_u32 v7, v6, v10
	v_mul_lo_u32 v7, v7, s87
	v_sub_u32_e32 v6, v6, v7
	v_subrev_u32_e32 v7, s87, v6
	v_cmp_le_u32_e32 vcc, s87, v6
	v_cndmask_b32_e32 v6, v6, v7, vcc
	v_subrev_u32_e32 v7, s87, v6
	v_cmp_le_u32_e32 vcc, s87, v6
	v_cndmask_b32_e32 v11, v6, v7, vcc
.LBB5_344:                              ;   Parent Loop BB5_3 Depth=1
                                        ;     Parent Loop BB5_6 Depth=2
                                        ;       Parent Loop BB5_340 Depth=3
                                        ; =>      This Inner Loop Header: Depth=4
	v_cmp_gt_u32_e32 vcc, s81, v11
                                        ; implicit-def: $vgpr6_vgpr7
	s_and_saveexec_b64 s[12:13], vcc
	s_xor_b64 s[12:13], exec, s[12:13]
; %bb.345:                              ;   in Loop: Header=BB5_344 Depth=4
	v_pk_mov_b32 v[6:7], s[30:31], s[30:31] op_sel:[0,1]
	v_mad_u64_u32 v[6:7], s[14:15], v2, s82, v[6:7]
	v_mad_u64_u32 v[6:7], s[14:15], v11, 24, v[6:7]
; %bb.346:                              ;   in Loop: Header=BB5_344 Depth=4
	s_andn2_saveexec_b64 s[12:13], s[12:13]
	s_cbranch_execz .LBB5_348
; %bb.347:                              ;   in Loop: Header=BB5_344 Depth=4
	v_add_u32_e32 v6, 0xffffff00, v11
	v_lshrrev_b32_e32 v14, 8, v6
	v_pk_mov_b32 v[6:7], s[30:31], s[30:31] op_sel:[0,1]
	v_mad_u64_u32 v[6:7], s[14:15], v2, s82, v[6:7]
	v_mad_u64_u32 v[6:7], s[14:15], v14, 24, v[6:7]
	global_load_dwordx2 v[6:7], v[6:7], off glc
	v_and_b32_e32 v14, 0xff, v11
	s_waitcnt vmcnt(0)
	v_mad_u64_u32 v[6:7], s[14:15], v14, 24, v[6:7]
.LBB5_348:                              ;   in Loop: Header=BB5_344 Depth=4
	s_or_b64 exec, exec, s[12:13]
	global_load_dword v6, v[6:7], off offset:16 glc
	s_waitcnt vmcnt(0)
	v_cmp_lt_u32_e32 vcc, v6, v9
	s_cbranch_vccz .LBB5_350
; %bb.349:                              ;   in Loop: Header=BB5_344 Depth=4
	s_ff1_i32_b64 s12, vcc
	s_lshl_b32 s12, s12, 2
	v_mov_b32_e32 v6, s12
	ds_bpermute_b32 v6, v6, v11
	s_branch .LBB5_351
.LBB5_350:                              ;   in Loop: Header=BB5_344 Depth=4
	v_mov_b32_e32 v6, -1
.LBB5_351:                              ;   in Loop: Header=BB5_344 Depth=4
	s_waitcnt lgkmcnt(0)
	v_readfirstlane_b32 s17, v6
	s_cmp_eq_u32 s17, -1
	s_cselect_b64 s[12:13], -1, 0
	s_and_b64 vcc, exec, s[12:13]
	s_cbranch_vccnz .LBB5_354
; %bb.352:                              ;   in Loop: Header=BB5_344 Depth=4
	s_cmpk_lt_u32 s17, 0x100
	s_cbranch_scc0 .LBB5_355
; %bb.353:                              ;   in Loop: Header=BB5_344 Depth=4
	v_pk_mov_b32 v[6:7], s[30:31], s[30:31] op_sel:[0,1]
	v_mad_u64_u32 v[6:7], s[14:15], v2, s82, v[6:7]
	v_mad_u64_u32 v[6:7], s[14:15], s17, 24, v[6:7]
	s_mov_b64 s[14:15], 0
	s_branch .LBB5_356
.LBB5_354:                              ;   in Loop: Header=BB5_344 Depth=4
	s_mov_b64 s[14:15], -1
                                        ; implicit-def: $vgpr6_vgpr7
	s_branch .LBB5_359
.LBB5_355:                              ;   in Loop: Header=BB5_344 Depth=4
	s_mov_b64 s[14:15], -1
                                        ; implicit-def: $vgpr6_vgpr7
.LBB5_356:                              ;   in Loop: Header=BB5_344 Depth=4
	s_andn2_b64 vcc, exec, s[14:15]
	s_cbranch_vccnz .LBB5_358
; %bb.357:                              ;   in Loop: Header=BB5_344 Depth=4
	s_add_i32 s14, s17, 0xffffff00
	v_pk_mov_b32 v[6:7], s[30:31], s[30:31] op_sel:[0,1]
	s_lshr_b32 s18, s14, 8
	v_mad_u64_u32 v[6:7], s[14:15], v2, s82, v[6:7]
	v_mad_u64_u32 v[6:7], s[14:15], s18, 24, v[6:7]
	global_load_dwordx2 v[6:7], v[6:7], off glc
	s_and_b32 s14, s17, 0xff
	s_waitcnt vmcnt(0)
	v_mad_u64_u32 v[6:7], s[14:15], s14, 24, v[6:7]
.LBB5_358:                              ;   in Loop: Header=BB5_344 Depth=4
	s_mov_b64 s[14:15], 0
.LBB5_359:                              ;   in Loop: Header=BB5_344 Depth=4
	s_andn2_b64 vcc, exec, s[14:15]
	s_cbranch_vccnz .LBB5_363
; %bb.360:                              ;   in Loop: Header=BB5_344 Depth=4
	v_add_u32_e32 v6, s62, v11
	v_mul_hi_u32 v7, v6, v10
	v_mul_lo_u32 v7, v7, s87
	v_sub_u32_e32 v6, v6, v7
	v_subrev_u32_e32 v7, s87, v6
	v_cmp_le_u32_e32 vcc, s87, v6
	v_cndmask_b32_e32 v6, v6, v7, vcc
	v_subrev_u32_e32 v7, s87, v6
	v_cmp_le_u32_e32 vcc, s87, v6
	v_cndmask_b32_e32 v11, v6, v7, vcc
	s_and_saveexec_b64 s[14:15], s[6:7]
	s_cbranch_execz .LBB5_362
; %bb.361:                              ;   in Loop: Header=BB5_344 Depth=4
	global_store_dword v[30:31], v11, off
.LBB5_362:                              ;   in Loop: Header=BB5_344 Depth=4
	s_or_b64 exec, exec, s[14:15]
	s_sub_i32 s16, s16, s62
	v_pk_mov_b32 v[6:7], v[0:1], v[0:1] op_sel:[0,1]
.LBB5_363:                              ;   in Loop: Header=BB5_344 Depth=4
	s_andn2_b64 vcc, exec, s[12:13]
	s_cbranch_vccz .LBB5_365
; %bb.364:                              ;   in Loop: Header=BB5_344 Depth=4
	s_mov_b64 s[12:13], -1
                                        ; implicit-def: $sgpr16
                                        ; implicit-def: $vgpr11
	s_mov_b64 s[14:15], -1
	s_branch .LBB5_366
.LBB5_365:                              ;   in Loop: Header=BB5_344 Depth=4
	s_cmp_lt_i32 s16, 1
	s_mov_b64 s[12:13], 0
	s_cselect_b64 s[14:15], -1, 0
.LBB5_366:                              ;   in Loop: Header=BB5_344 Depth=4
	s_andn2_b64 vcc, exec, s[14:15]
	s_cbranch_vccz .LBB5_368
; %bb.367:                              ;   in Loop: Header=BB5_344 Depth=4
	v_pk_mov_b32 v[0:1], v[6:7], v[6:7] op_sel:[0,1]
	s_branch .LBB5_344
.LBB5_368:                              ;   in Loop: Header=BB5_340 Depth=3
	s_xor_b64 s[12:13], s[12:13], -1
	v_pk_mov_b32 v[0:1], v[6:7], v[6:7] op_sel:[0,1]
	s_branch .LBB5_370
.LBB5_369:                              ;   in Loop: Header=BB5_340 Depth=3
                                        ; implicit-def: $vgpr6_vgpr7
	s_mov_b64 s[12:13], -1
.LBB5_370:                              ;   in Loop: Header=BB5_340 Depth=3
	s_and_b64 vcc, exec, s[12:13]
	s_cbranch_vccz .LBB5_628
; %bb.371:                              ;   in Loop: Header=BB5_340 Depth=3
	v_mbcnt_lo_u32_b32 v6, exec_lo, 0
	v_mbcnt_hi_u32_b32 v6, exec_hi, v6
	v_cmp_eq_u32_e64 s[10:11], 0, v6
                                        ; implicit-def: $sgpr16_sgpr17
.LBB5_372:                              ;   Parent Loop BB5_3 Depth=1
                                        ;     Parent Loop BB5_6 Depth=2
                                        ;       Parent Loop BB5_340 Depth=3
                                        ; =>      This Loop Header: Depth=4
                                        ;           Child Loop BB5_390 Depth 5
                                        ;           Child Loop BB5_398 Depth 5
	;; [unrolled: 1-line block ×29, first 2 shown]
	v_mov_b32_e32 v6, 0
	s_and_saveexec_b64 s[12:13], s[10:11]
	s_cbranch_execz .LBB5_374
; %bb.373:                              ;   in Loop: Header=BB5_372 Depth=4
	global_load_dword v6, v[30:31], off offset:2048 glc
.LBB5_374:                              ;   in Loop: Header=BB5_372 Depth=4
	s_or_b64 exec, exec, s[12:13]
	s_waitcnt vmcnt(0)
	v_readfirstlane_b32 s63, v6
	s_cmp_eq_u32 s63, 0x10100
	s_cbranch_scc1 .LBB5_485
; %bb.375:                              ;   in Loop: Header=BB5_372 Depth=4
	v_mov_b32_e32 v6, 0
	s_and_saveexec_b64 s[12:13], s[10:11]
	s_cbranch_execz .LBB5_377
; %bb.376:                              ;   in Loop: Header=BB5_372 Depth=4
	v_mov_b32_e32 v41, v8
	global_atomic_cmpswap v6, v[36:37], v[40:41], off glc
	s_waitcnt vmcnt(0)
	v_cmp_ne_u32_e32 vcc, 0, v6
	v_cndmask_b32_e32 v6, v40, v6, vcc
.LBB5_377:                              ;   in Loop: Header=BB5_372 Depth=4
	s_or_b64 exec, exec, s[12:13]
	v_readfirstlane_b32 s64, v6
	s_cmp_lg_u32 s63, s64
	s_mov_b64 s[12:13], -1
	s_cbranch_scc1 .LBB5_486
; %bb.378:                              ;   in Loop: Header=BB5_372 Depth=4
	v_mbcnt_lo_u32_b32 v7, exec_lo, 0
	v_mbcnt_hi_u32_b32 v7, exec_hi, v7
	v_mov_b32_e32 v6, 0
	v_cmp_eq_u32_e64 s[12:13], 0, v7
	s_and_saveexec_b64 s[14:15], s[12:13]
	s_cbranch_execz .LBB5_380
; %bb.379:                              ;   in Loop: Header=BB5_372 Depth=4
	global_load_dword v6, v[36:37], off glc
.LBB5_380:                              ;   in Loop: Header=BB5_372 Depth=4
	s_or_b64 exec, exec, s[14:15]
	s_waitcnt vmcnt(0)
	v_readfirstlane_b32 s65, v6
	s_cmp_eq_u32 s65, 0x10100
	s_mov_b32 s20, 2
	s_cbranch_scc1 .LBB5_465
; %bb.381:                              ;   in Loop: Header=BB5_372 Depth=4
	v_mov_b32_e32 v6, 1
	s_and_saveexec_b64 s[14:15], s[12:13]
	s_cbranch_execz .LBB5_385
; %bb.382:                              ;   in Loop: Header=BB5_372 Depth=4
	global_load_dwordx2 v[24:25], v[48:49], off glc
	s_memrealtime s[18:19]
	s_waitcnt lgkmcnt(0)
	v_mov_b32_e32 v7, s19
	s_waitcnt vmcnt(0)
	v_sub_co_u32_e32 v6, vcc, s18, v24
	v_subb_co_u32_e32 v7, vcc, v7, v25, vcc
	v_cmp_lt_u64_e32 vcc, s[40:41], v[6:7]
	v_mov_b32_e32 v6, 1
	s_and_saveexec_b64 s[22:23], vcc
	s_cbranch_execz .LBB5_384
; %bb.383:                              ;   in Loop: Header=BB5_372 Depth=4
	v_mov_b32_e32 v22, s18
	v_mov_b32_e32 v23, s19
	global_atomic_cmpswap_x2 v[6:7], v[48:49], v[22:25], off glc
	s_waitcnt vmcnt(0)
	v_cmp_eq_u64_e32 vcc, v[6:7], v[24:25]
	v_cndmask_b32_e64 v6, 1, 2, vcc
.LBB5_384:                              ;   in Loop: Header=BB5_372 Depth=4
	s_or_b64 exec, exec, s[22:23]
.LBB5_385:                              ;   in Loop: Header=BB5_372 Depth=4
	s_or_b64 exec, exec, s[14:15]
	v_readfirstlane_b32 s66, v6
	s_cmp_eq_u32 s66, 1
	s_mov_b32 s20, 1
	s_cbranch_scc1 .LBB5_465
; %bb.386:                              ;   in Loop: Header=BB5_372 Depth=4
	v_pk_mov_b32 v[6:7], 0, 0
	s_and_saveexec_b64 s[18:19], s[12:13]
	s_cbranch_execz .LBB5_415
; %bb.387:                              ;   in Loop: Header=BB5_372 Depth=4
	s_load_dwordx2 s[54:55], s[8:9], 0x50
	v_readfirstlane_b32 s14, v32
	v_cmp_eq_u32_e64 s[14:15], s14, v32
	v_pk_mov_b32 v[6:7], 0, 0
	s_and_saveexec_b64 s[22:23], s[14:15]
	s_cbranch_execz .LBB5_393
; %bb.388:                              ;   in Loop: Header=BB5_372 Depth=4
	s_waitcnt lgkmcnt(0)
	global_load_dwordx2 v[24:25], v8, s[54:55] offset:24 glc
	s_waitcnt vmcnt(0)
	buffer_invl2
	buffer_wbinvl1_vol
	global_load_dwordx2 v[6:7], v8, s[54:55] offset:40
	global_load_dwordx2 v[10:11], v8, s[54:55]
	s_waitcnt vmcnt(1)
	v_and_b32_e32 v6, v6, v24
	v_and_b32_e32 v7, v7, v25
	v_mul_lo_u32 v7, v7, 24
	v_mul_hi_u32 v9, v6, 24
	v_mul_lo_u32 v6, v6, 24
	v_add_u32_e32 v7, v9, v7
	s_waitcnt vmcnt(0)
	v_add_co_u32_e32 v6, vcc, v10, v6
	v_addc_co_u32_e32 v7, vcc, v11, v7, vcc
	global_load_dwordx2 v[22:23], v[6:7], off glc
	s_waitcnt vmcnt(0)
	global_atomic_cmpswap_x2 v[6:7], v8, v[22:25], s[54:55] offset:24 glc
	s_waitcnt vmcnt(0)
	buffer_invl2
	buffer_wbinvl1_vol
	v_cmp_ne_u64_e32 vcc, v[6:7], v[24:25]
	s_and_saveexec_b64 s[56:57], vcc
	s_cbranch_execz .LBB5_392
; %bb.389:                              ;   in Loop: Header=BB5_372 Depth=4
	s_mov_b64 s[58:59], 0
.LBB5_390:                              ;   Parent Loop BB5_3 Depth=1
                                        ;     Parent Loop BB5_6 Depth=2
                                        ;       Parent Loop BB5_340 Depth=3
                                        ;         Parent Loop BB5_372 Depth=4
                                        ; =>        This Inner Loop Header: Depth=5
	s_sleep 1
	global_load_dwordx2 v[10:11], v8, s[54:55] offset:40
	global_load_dwordx2 v[14:15], v8, s[54:55]
	v_pk_mov_b32 v[24:25], v[6:7], v[6:7] op_sel:[0,1]
	s_waitcnt vmcnt(1)
	v_and_b32_e32 v6, v10, v24
	s_waitcnt vmcnt(0)
	v_mad_u64_u32 v[6:7], vcc, v6, 24, v[14:15]
	v_and_b32_e32 v9, v11, v25
	v_mov_b32_e32 v10, v7
	v_mad_u64_u32 v[10:11], vcc, v9, 24, v[10:11]
	v_mov_b32_e32 v7, v10
	global_load_dwordx2 v[22:23], v[6:7], off glc
	s_waitcnt vmcnt(0)
	global_atomic_cmpswap_x2 v[6:7], v8, v[22:25], s[54:55] offset:24 glc
	s_waitcnt vmcnt(0)
	buffer_invl2
	buffer_wbinvl1_vol
	v_cmp_eq_u64_e32 vcc, v[6:7], v[24:25]
	s_or_b64 s[58:59], vcc, s[58:59]
	s_andn2_b64 exec, exec, s[58:59]
	s_cbranch_execnz .LBB5_390
; %bb.391:                              ;   in Loop: Header=BB5_372 Depth=4
	s_or_b64 exec, exec, s[58:59]
.LBB5_392:                              ;   in Loop: Header=BB5_372 Depth=4
	s_or_b64 exec, exec, s[56:57]
.LBB5_393:                              ;   in Loop: Header=BB5_372 Depth=4
	s_or_b64 exec, exec, s[22:23]
	s_waitcnt lgkmcnt(0)
	global_load_dwordx2 v[10:11], v8, s[54:55] offset:40
	global_load_dwordx4 v[22:25], v8, s[54:55]
	v_readfirstlane_b32 s56, v6
	v_readfirstlane_b32 s57, v7
	s_mov_b64 s[22:23], exec
	s_waitcnt vmcnt(1)
	v_readfirstlane_b32 vcc_lo, v10
	v_readfirstlane_b32 vcc_hi, v11
	s_and_b64 s[58:59], s[56:57], vcc
	s_mul_i32 s20, s59, 24
	s_mul_hi_u32 vcc_lo, s58, 24
	s_mul_i32 vcc_hi, s58, 24
	s_add_i32 s20, vcc_lo, s20
	v_mov_b32_e32 v7, s20
	s_waitcnt vmcnt(0)
	v_add_co_u32_e32 v6, vcc, vcc_hi, v22
	v_addc_co_u32_e32 v7, vcc, v23, v7, vcc
	s_and_saveexec_b64 vcc, s[14:15]
	s_cbranch_execz .LBB5_395
; %bb.394:                              ;   in Loop: Header=BB5_372 Depth=4
	v_pk_mov_b32 v[10:11], s[22:23], s[22:23] op_sel:[0,1]
	global_store_dwordx4 v[6:7], v[10:13], off offset:8
.LBB5_395:                              ;   in Loop: Header=BB5_372 Depth=4
	s_or_b64 exec, exec, vcc
	s_lshl_b64 s[22:23], s[58:59], 12
	v_mov_b32_e32 v9, s23
	v_add_co_u32_e32 v10, vcc, s22, v24
	s_mov_b32 s22, s21
	s_mov_b32 s23, s21
	v_addc_co_u32_e32 v9, vcc, v25, v9, vcc
	s_mov_b32 s20, s21
	v_pk_mov_b32 v[52:53], s[22:23], s[22:23] op_sel:[0,1]
	v_lshlrev_b32_e32 v11, 6, v32
	v_mov_b32_e32 v14, v8
	v_mov_b32_e32 v15, v8
	;; [unrolled: 1-line block ×3, first 2 shown]
	v_readfirstlane_b32 s58, v10
	v_readfirstlane_b32 s59, v9
	v_pk_mov_b32 v[50:51], s[20:21], s[20:21] op_sel:[0,1]
	s_nop 3
	global_store_dwordx4 v11, v[14:17], s[58:59]
	global_store_dwordx4 v11, v[50:53], s[58:59] offset:16
	global_store_dwordx4 v11, v[50:53], s[58:59] offset:32
	;; [unrolled: 1-line block ×3, first 2 shown]
	s_and_saveexec_b64 s[22:23], s[14:15]
	s_cbranch_execz .LBB5_403
; %bb.396:                              ;   in Loop: Header=BB5_372 Depth=4
	global_load_dwordx2 v[52:53], v8, s[54:55] offset:32 glc
	global_load_dwordx2 v[14:15], v8, s[54:55] offset:40
	v_mov_b32_e32 v50, s56
	v_mov_b32_e32 v51, s57
	s_waitcnt vmcnt(0)
	v_and_b32_e32 v14, s56, v14
	v_and_b32_e32 v15, s57, v15
	v_mul_lo_u32 v15, v15, 24
	v_mul_hi_u32 v17, v14, 24
	v_mul_lo_u32 v14, v14, 24
	v_add_u32_e32 v15, v17, v15
	v_add_co_u32_e32 v14, vcc, v22, v14
	v_addc_co_u32_e32 v15, vcc, v23, v15, vcc
	global_store_dwordx2 v[14:15], v[52:53], off
	buffer_wbl2
	s_waitcnt vmcnt(0)
	global_atomic_cmpswap_x2 v[24:25], v8, v[50:53], s[54:55] offset:32 glc
	s_waitcnt vmcnt(0)
	v_cmp_ne_u64_e32 vcc, v[24:25], v[52:53]
	s_and_saveexec_b64 s[58:59], vcc
	s_cbranch_execz .LBB5_399
; %bb.397:                              ;   in Loop: Header=BB5_372 Depth=4
	s_mov_b64 s[60:61], 0
.LBB5_398:                              ;   Parent Loop BB5_3 Depth=1
                                        ;     Parent Loop BB5_6 Depth=2
                                        ;       Parent Loop BB5_340 Depth=3
                                        ;         Parent Loop BB5_372 Depth=4
                                        ; =>        This Inner Loop Header: Depth=5
	s_sleep 1
	global_store_dwordx2 v[14:15], v[24:25], off
	v_mov_b32_e32 v22, s56
	v_mov_b32_e32 v23, s57
	buffer_wbl2
	s_waitcnt vmcnt(0)
	global_atomic_cmpswap_x2 v[18:19], v8, v[22:25], s[54:55] offset:32 glc
	s_waitcnt vmcnt(0)
	v_cmp_eq_u64_e32 vcc, v[18:19], v[24:25]
	s_or_b64 s[60:61], vcc, s[60:61]
	v_pk_mov_b32 v[24:25], v[18:19], v[18:19] op_sel:[0,1]
	s_andn2_b64 exec, exec, s[60:61]
	s_cbranch_execnz .LBB5_398
.LBB5_399:                              ;   in Loop: Header=BB5_372 Depth=4
	s_or_b64 exec, exec, s[58:59]
	global_load_dwordx2 v[14:15], v8, s[54:55] offset:16
	s_mov_b64 s[60:61], exec
	v_mbcnt_lo_u32_b32 v17, s60, 0
	v_mbcnt_hi_u32_b32 v17, s61, v17
	v_cmp_eq_u32_e32 vcc, 0, v17
	s_and_saveexec_b64 s[58:59], vcc
	s_cbranch_execz .LBB5_401
; %bb.400:                              ;   in Loop: Header=BB5_372 Depth=4
	s_bcnt1_i32_b64 s20, s[60:61]
	v_mov_b32_e32 v18, s20
	v_mov_b32_e32 v19, v8
	buffer_wbl2
	s_waitcnt vmcnt(0)
	global_atomic_add_x2 v[14:15], v[18:19], off offset:8
.LBB5_401:                              ;   in Loop: Header=BB5_372 Depth=4
	s_or_b64 exec, exec, s[58:59]
	s_waitcnt vmcnt(0)
	global_load_dwordx2 v[18:19], v[14:15], off offset:16
	s_waitcnt vmcnt(0)
	v_cmp_eq_u64_e32 vcc, 0, v[18:19]
	s_cbranch_vccnz .LBB5_403
; %bb.402:                              ;   in Loop: Header=BB5_372 Depth=4
	global_load_dword v14, v[14:15], off offset:24
	v_mov_b32_e32 v15, v8
	buffer_wbl2
	s_waitcnt vmcnt(0)
	global_store_dwordx2 v[18:19], v[14:15], off
	v_and_b32_e32 v14, 0xffffff, v14
	v_readfirstlane_b32 m0, v14
	s_sendmsg sendmsg(MSG_INTERRUPT)
.LBB5_403:                              ;   in Loop: Header=BB5_372 Depth=4
	s_or_b64 exec, exec, s[22:23]
	v_add_co_u32_e32 v10, vcc, v10, v11
	v_addc_co_u32_e32 v11, vcc, 0, v9, vcc
.LBB5_404:                              ;   Parent Loop BB5_3 Depth=1
                                        ;     Parent Loop BB5_6 Depth=2
                                        ;       Parent Loop BB5_340 Depth=3
                                        ;         Parent Loop BB5_372 Depth=4
                                        ; =>        This Inner Loop Header: Depth=5
	v_mov_b32_e32 v9, 1
	s_and_saveexec_b64 s[22:23], s[14:15]
	s_cbranch_execz .LBB5_406
; %bb.405:                              ;   in Loop: Header=BB5_404 Depth=5
	global_load_dword v9, v[6:7], off offset:20 glc
	s_waitcnt vmcnt(0)
	buffer_invl2
	buffer_wbinvl1_vol
	v_and_b32_e32 v9, 1, v9
.LBB5_406:                              ;   in Loop: Header=BB5_404 Depth=5
	s_or_b64 exec, exec, s[22:23]
	v_readfirstlane_b32 s20, v9
	s_cmp_eq_u32 s20, 0
	s_cbranch_scc1 .LBB5_408
; %bb.407:                              ;   in Loop: Header=BB5_404 Depth=5
	s_mov_b64 s[22:23], 0
	s_sleep 1
	s_branch .LBB5_409
.LBB5_408:                              ;   in Loop: Header=BB5_404 Depth=5
	s_mov_b64 s[22:23], -1
.LBB5_409:                              ;   in Loop: Header=BB5_404 Depth=5
	s_andn2_b64 vcc, exec, s[22:23]
	s_cbranch_vccnz .LBB5_404
; %bb.410:                              ;   in Loop: Header=BB5_372 Depth=4
	global_load_dwordx2 v[6:7], v[10:11], off
	s_and_saveexec_b64 s[22:23], s[14:15]
	s_cbranch_execz .LBB5_414
; %bb.411:                              ;   in Loop: Header=BB5_372 Depth=4
	global_load_dwordx2 v[10:11], v8, s[54:55] offset:40
	global_load_dwordx2 v[14:15], v8, s[54:55] offset:24 glc
	global_load_dwordx2 v[18:19], v8, s[54:55]
	v_mov_b32_e32 v9, s57
	s_waitcnt vmcnt(2)
	v_add_co_u32_e32 v17, vcc, 1, v10
	v_addc_co_u32_e32 v21, vcc, 0, v11, vcc
	v_add_co_u32_e32 v22, vcc, s56, v17
	v_addc_co_u32_e32 v23, vcc, v21, v9, vcc
	v_cmp_eq_u64_e32 vcc, 0, v[22:23]
	v_cndmask_b32_e32 v23, v23, v21, vcc
	v_cndmask_b32_e32 v22, v22, v17, vcc
	v_and_b32_e32 v9, v23, v11
	v_and_b32_e32 v10, v22, v10
	v_mul_lo_u32 v9, v9, 24
	v_mul_hi_u32 v11, v10, 24
	v_mul_lo_u32 v10, v10, 24
	v_add_u32_e32 v9, v11, v9
	s_waitcnt vmcnt(0)
	v_add_co_u32_e32 v10, vcc, v18, v10
	v_addc_co_u32_e32 v11, vcc, v19, v9, vcc
	v_mov_b32_e32 v24, v14
	global_store_dwordx2 v[10:11], v[14:15], off
	v_mov_b32_e32 v25, v15
	buffer_wbl2
	s_waitcnt vmcnt(0)
	global_atomic_cmpswap_x2 v[24:25], v8, v[22:25], s[54:55] offset:24 glc
	s_waitcnt vmcnt(0)
	v_cmp_ne_u64_e32 vcc, v[24:25], v[14:15]
	s_and_b64 exec, exec, vcc
	s_cbranch_execz .LBB5_414
; %bb.412:                              ;   in Loop: Header=BB5_372 Depth=4
	s_mov_b64 s[14:15], 0
.LBB5_413:                              ;   Parent Loop BB5_3 Depth=1
                                        ;     Parent Loop BB5_6 Depth=2
                                        ;       Parent Loop BB5_340 Depth=3
                                        ;         Parent Loop BB5_372 Depth=4
                                        ; =>        This Inner Loop Header: Depth=5
	s_sleep 1
	global_store_dwordx2 v[10:11], v[24:25], off
	buffer_wbl2
	s_waitcnt vmcnt(0)
	global_atomic_cmpswap_x2 v[14:15], v8, v[22:25], s[54:55] offset:24 glc
	s_waitcnt vmcnt(0)
	v_cmp_eq_u64_e32 vcc, v[14:15], v[24:25]
	s_or_b64 s[14:15], vcc, s[14:15]
	v_pk_mov_b32 v[24:25], v[14:15], v[14:15] op_sel:[0,1]
	s_andn2_b64 exec, exec, s[14:15]
	s_cbranch_execnz .LBB5_413
.LBB5_414:                              ;   in Loop: Header=BB5_372 Depth=4
	s_or_b64 exec, exec, s[22:23]
.LBB5_415:                              ;   in Loop: Header=BB5_372 Depth=4
	s_or_b64 exec, exec, s[18:19]
	s_waitcnt vmcnt(0)
	v_readfirstlane_b32 s22, v6
	v_readfirstlane_b32 s23, v7
	s_cmp_eq_u64 s[22:23], 0
	s_cbranch_scc1 .LBB5_464
; %bb.416:                              ;   in Loop: Header=BB5_372 Depth=4
	s_mov_b64 s[14:15], exec
	v_mbcnt_lo_u32_b32 v6, exec_lo, 0
	v_mbcnt_hi_u32_b32 v10, s15, v6
	v_cmp_gt_u32_e32 vcc, s84, v10
	s_and_saveexec_b64 s[18:19], vcc
	s_cbranch_execz .LBB5_419
; %bb.417:                              ;   in Loop: Header=BB5_372 Depth=4
	v_lshlrev_b32_e32 v6, 3, v10
	s_bcnt1_i32_b64 s20, s[14:15]
	v_mov_b32_e32 v7, s23
	v_add_co_u32_e32 v6, vcc, s22, v6
	v_addc_co_u32_e32 v7, vcc, 0, v7, vcc
	s_lshl_b32 s56, s20, 3
	s_mov_b64 s[54:55], 0
.LBB5_418:                              ;   Parent Loop BB5_3 Depth=1
                                        ;     Parent Loop BB5_6 Depth=2
                                        ;       Parent Loop BB5_340 Depth=3
                                        ;         Parent Loop BB5_372 Depth=4
                                        ; =>        This Inner Loop Header: Depth=5
	v_mov_b32_e32 v9, v8
	v_add_u32_e32 v10, s20, v10
	v_mov_b32_e32 v11, s21
	global_store_dwordx2 v[6:7], v[8:9], off
	v_cmp_lt_u32_e32 vcc, s85, v10
	v_add_co_u32_e64 v6, s[14:15], s56, v6
	s_or_b64 s[54:55], vcc, s[54:55]
	v_addc_co_u32_e64 v7, vcc, v7, v11, s[14:15]
	s_andn2_b64 exec, exec, s[54:55]
	s_cbranch_execnz .LBB5_418
.LBB5_419:                              ;   in Loop: Header=BB5_372 Depth=4
	s_or_b64 exec, exec, s[18:19]
.LBB5_420:                              ;   Parent Loop BB5_3 Depth=1
                                        ;     Parent Loop BB5_6 Depth=2
                                        ;       Parent Loop BB5_340 Depth=3
                                        ;         Parent Loop BB5_372 Depth=4
                                        ; =>        This Inner Loop Header: Depth=5
	v_mov_b32_e32 v6, s65
	s_and_saveexec_b64 s[14:15], s[12:13]
	s_cbranch_execz .LBB5_422
; %bb.421:                              ;   in Loop: Header=BB5_420 Depth=5
	global_load_dword v6, v[36:37], off glc
.LBB5_422:                              ;   in Loop: Header=BB5_420 Depth=5
	s_or_b64 exec, exec, s[14:15]
	s_waitcnt vmcnt(0)
	v_readfirstlane_b32 s65, v6
	s_cmp_lg_u32 s65, 0x10100
	s_mov_b64 s[18:19], -1
	s_cbranch_scc0 .LBB5_429
; %bb.423:                              ;   in Loop: Header=BB5_420 Depth=5
	v_mov_b32_e32 v6, s66
	s_and_saveexec_b64 s[14:15], s[12:13]
	s_cbranch_execz .LBB5_427
; %bb.424:                              ;   in Loop: Header=BB5_420 Depth=5
	s_add_i32 s18, s65, 0xffffff00
	v_pk_mov_b32 v[6:7], s[30:31], s[30:31] op_sel:[0,1]
	s_lshr_b32 s20, s18, 8
	v_mad_u64_u32 v[6:7], s[18:19], v2, s82, v[6:7]
	v_mad_u64_u32 v[10:11], s[18:19], s20, 24, v[6:7]
	v_mov_b32_e32 v6, s22
	v_mov_b32_e32 v7, s23
	;; [unrolled: 1-line block ×3, first 2 shown]
	global_atomic_cmpswap_x2 v[6:7], v[10:11], v[6:9], off glc
	s_waitcnt vmcnt(0)
	v_cmp_eq_u64_e32 vcc, 0, v[6:7]
	v_mov_b32_e32 v6, s66
	s_and_saveexec_b64 s[18:19], vcc
	s_cbranch_execz .LBB5_426
; %bb.425:                              ;   in Loop: Header=BB5_420 Depth=5
	global_atomic_add v[36:37], v40, off
	v_mov_b32_e32 v6, 0
.LBB5_426:                              ;   in Loop: Header=BB5_420 Depth=5
	s_or_b64 exec, exec, s[18:19]
.LBB5_427:                              ;   in Loop: Header=BB5_420 Depth=5
	s_or_b64 exec, exec, s[14:15]
	v_readfirstlane_b32 vcc_lo, v6
	s_cmp_eq_u32 vcc_lo, 0
	s_cbranch_scc1 .LBB5_430
; %bb.428:                              ;   in Loop: Header=BB5_420 Depth=5
	s_mov_b64 s[14:15], 0
	s_sleep 2
                                        ; implicit-def: $sgpr66
	s_branch .LBB5_431
.LBB5_429:                              ;   in Loop: Header=BB5_420 Depth=5
                                        ; implicit-def: $sgpr65
                                        ; implicit-def: $sgpr20
	s_mov_b32 s60, s66
	s_mov_b64 s[14:15], -1
	s_branch .LBB5_432
.LBB5_430:                              ;   in Loop: Header=BB5_420 Depth=5
	s_mov_b64 s[14:15], -1
                                        ; implicit-def: $sgpr65
                                        ; implicit-def: $vcc_lo
.LBB5_431:                              ;   in Loop: Header=BB5_420 Depth=5
	s_mov_b32 s60, s66
	s_mov_b32 s20, 0
	s_mov_b64 s[18:19], 0
	s_mov_b32 s66, vcc_lo
.LBB5_432:                              ;   in Loop: Header=BB5_420 Depth=5
	s_and_b64 vcc, exec, s[14:15]
	s_cbranch_vccz .LBB5_420
; %bb.433:                              ;   in Loop: Header=BB5_372 Depth=4
	s_and_b64 vcc, exec, s[18:19]
	s_cbranch_vccz .LBB5_463
; %bb.434:                              ;   in Loop: Header=BB5_372 Depth=4
	s_and_saveexec_b64 s[14:15], s[12:13]
	s_cbranch_execz .LBB5_462
; %bb.435:                              ;   in Loop: Header=BB5_372 Depth=4
	s_load_dwordx2 s[18:19], s[8:9], 0x50
	v_readfirstlane_b32 s12, v32
	v_cmp_eq_u32_e64 s[12:13], s12, v32
	v_pk_mov_b32 v[6:7], 0, 0
	s_and_saveexec_b64 s[54:55], s[12:13]
	s_cbranch_execz .LBB5_441
; %bb.436:                              ;   in Loop: Header=BB5_372 Depth=4
	s_waitcnt lgkmcnt(0)
	global_load_dwordx2 v[24:25], v8, s[18:19] offset:24 glc
	s_waitcnt vmcnt(0)
	buffer_invl2
	buffer_wbinvl1_vol
	global_load_dwordx2 v[6:7], v8, s[18:19] offset:40
	global_load_dwordx2 v[10:11], v8, s[18:19]
	s_waitcnt vmcnt(1)
	v_and_b32_e32 v6, v6, v24
	v_and_b32_e32 v7, v7, v25
	v_mul_lo_u32 v7, v7, 24
	v_mul_hi_u32 v9, v6, 24
	v_mul_lo_u32 v6, v6, 24
	v_add_u32_e32 v7, v9, v7
	s_waitcnt vmcnt(0)
	v_add_co_u32_e32 v6, vcc, v10, v6
	v_addc_co_u32_e32 v7, vcc, v11, v7, vcc
	global_load_dwordx2 v[22:23], v[6:7], off glc
	s_waitcnt vmcnt(0)
	global_atomic_cmpswap_x2 v[6:7], v8, v[22:25], s[18:19] offset:24 glc
	s_waitcnt vmcnt(0)
	buffer_invl2
	buffer_wbinvl1_vol
	v_cmp_ne_u64_e32 vcc, v[6:7], v[24:25]
	s_and_saveexec_b64 s[56:57], vcc
	s_cbranch_execz .LBB5_440
; %bb.437:                              ;   in Loop: Header=BB5_372 Depth=4
	s_mov_b64 s[58:59], 0
.LBB5_438:                              ;   Parent Loop BB5_3 Depth=1
                                        ;     Parent Loop BB5_6 Depth=2
                                        ;       Parent Loop BB5_340 Depth=3
                                        ;         Parent Loop BB5_372 Depth=4
                                        ; =>        This Inner Loop Header: Depth=5
	s_sleep 1
	global_load_dwordx2 v[10:11], v8, s[18:19] offset:40
	global_load_dwordx2 v[14:15], v8, s[18:19]
	v_pk_mov_b32 v[24:25], v[6:7], v[6:7] op_sel:[0,1]
	s_waitcnt vmcnt(1)
	v_and_b32_e32 v6, v10, v24
	s_waitcnt vmcnt(0)
	v_mad_u64_u32 v[6:7], vcc, v6, 24, v[14:15]
	v_and_b32_e32 v9, v11, v25
	v_mov_b32_e32 v10, v7
	v_mad_u64_u32 v[10:11], vcc, v9, 24, v[10:11]
	v_mov_b32_e32 v7, v10
	global_load_dwordx2 v[22:23], v[6:7], off glc
	s_waitcnt vmcnt(0)
	global_atomic_cmpswap_x2 v[6:7], v8, v[22:25], s[18:19] offset:24 glc
	s_waitcnt vmcnt(0)
	buffer_invl2
	buffer_wbinvl1_vol
	v_cmp_eq_u64_e32 vcc, v[6:7], v[24:25]
	s_or_b64 s[58:59], vcc, s[58:59]
	s_andn2_b64 exec, exec, s[58:59]
	s_cbranch_execnz .LBB5_438
; %bb.439:                              ;   in Loop: Header=BB5_372 Depth=4
	s_or_b64 exec, exec, s[58:59]
.LBB5_440:                              ;   in Loop: Header=BB5_372 Depth=4
	s_or_b64 exec, exec, s[56:57]
.LBB5_441:                              ;   in Loop: Header=BB5_372 Depth=4
	s_or_b64 exec, exec, s[54:55]
	s_waitcnt lgkmcnt(0)
	global_load_dwordx2 v[10:11], v8, s[18:19] offset:40
	global_load_dwordx4 v[22:25], v8, s[18:19]
	v_readfirstlane_b32 s54, v6
	v_readfirstlane_b32 s55, v7
	s_mov_b64 s[56:57], exec
	s_waitcnt vmcnt(1)
	v_readfirstlane_b32 vcc_lo, v10
	v_readfirstlane_b32 vcc_hi, v11
	s_and_b64 s[58:59], s[54:55], vcc
	s_mul_i32 s20, s59, 24
	s_mul_hi_u32 vcc_lo, s58, 24
	s_mul_i32 vcc_hi, s58, 24
	s_add_i32 s20, vcc_lo, s20
	v_mov_b32_e32 v7, s20
	s_waitcnt vmcnt(0)
	v_add_co_u32_e32 v6, vcc, vcc_hi, v22
	v_addc_co_u32_e32 v7, vcc, v23, v7, vcc
	s_and_saveexec_b64 vcc, s[12:13]
	s_cbranch_execz .LBB5_443
; %bb.442:                              ;   in Loop: Header=BB5_372 Depth=4
	v_pk_mov_b32 v[10:11], s[56:57], s[56:57] op_sel:[0,1]
	global_store_dwordx4 v[6:7], v[10:13], off offset:8
.LBB5_443:                              ;   in Loop: Header=BB5_372 Depth=4
	s_or_b64 exec, exec, vcc
	s_lshl_b64 vcc, s[58:59], 12
	v_mov_b32_e32 v9, vcc_hi
	v_add_co_u32_e32 v10, vcc, vcc_lo, v24
	v_pk_mov_b32 v[14:15], s[22:23], s[22:23] op_sel:[0,1]
	s_mov_b32 s22, s21
	s_mov_b32 s23, s21
	v_addc_co_u32_e32 v9, vcc, v25, v9, vcc
	s_mov_b32 s20, s21
	v_pk_mov_b32 v[52:53], s[22:23], s[22:23] op_sel:[0,1]
	v_lshlrev_b32_e32 v11, 6, v32
	v_readfirstlane_b32 s56, v10
	v_readfirstlane_b32 s57, v9
	v_pk_mov_b32 v[50:51], s[20:21], s[20:21] op_sel:[0,1]
	v_mov_b32_e32 v9, v8
	s_nop 2
	global_store_dwordx2 v11, v[14:15], s[56:57]
	global_store_dwordx4 v11, v[50:53], s[56:57] offset:8
	global_store_dwordx4 v11, v[50:53], s[56:57] offset:24
	;; [unrolled: 1-line block ×3, first 2 shown]
	global_store_dwordx2 v11, v[8:9], s[56:57] offset:56
	s_and_saveexec_b64 s[22:23], s[12:13]
	s_cbranch_execz .LBB5_451
; %bb.444:                              ;   in Loop: Header=BB5_372 Depth=4
	global_load_dwordx2 v[52:53], v8, s[18:19] offset:32 glc
	global_load_dwordx2 v[10:11], v8, s[18:19] offset:40
	v_mov_b32_e32 v50, s54
	v_mov_b32_e32 v51, s55
	s_waitcnt vmcnt(0)
	v_and_b32_e32 v9, s54, v10
	v_and_b32_e32 v10, s55, v11
	v_mul_lo_u32 v10, v10, 24
	v_mul_hi_u32 v11, v9, 24
	v_mul_lo_u32 v9, v9, 24
	v_add_u32_e32 v11, v11, v10
	v_add_co_u32_e32 v10, vcc, v22, v9
	v_addc_co_u32_e32 v11, vcc, v23, v11, vcc
	global_store_dwordx2 v[10:11], v[52:53], off
	buffer_wbl2
	s_waitcnt vmcnt(0)
	global_atomic_cmpswap_x2 v[24:25], v8, v[50:53], s[18:19] offset:32 glc
	s_waitcnt vmcnt(0)
	v_cmp_ne_u64_e32 vcc, v[24:25], v[52:53]
	s_and_saveexec_b64 s[56:57], vcc
	s_cbranch_execz .LBB5_447
; %bb.445:                              ;   in Loop: Header=BB5_372 Depth=4
	s_mov_b64 s[58:59], 0
.LBB5_446:                              ;   Parent Loop BB5_3 Depth=1
                                        ;     Parent Loop BB5_6 Depth=2
                                        ;       Parent Loop BB5_340 Depth=3
                                        ;         Parent Loop BB5_372 Depth=4
                                        ; =>        This Inner Loop Header: Depth=5
	s_sleep 1
	global_store_dwordx2 v[10:11], v[24:25], off
	v_mov_b32_e32 v22, s54
	v_mov_b32_e32 v23, s55
	buffer_wbl2
	s_waitcnt vmcnt(0)
	global_atomic_cmpswap_x2 v[14:15], v8, v[22:25], s[18:19] offset:32 glc
	s_waitcnt vmcnt(0)
	v_cmp_eq_u64_e32 vcc, v[14:15], v[24:25]
	s_or_b64 s[58:59], vcc, s[58:59]
	v_pk_mov_b32 v[24:25], v[14:15], v[14:15] op_sel:[0,1]
	s_andn2_b64 exec, exec, s[58:59]
	s_cbranch_execnz .LBB5_446
.LBB5_447:                              ;   in Loop: Header=BB5_372 Depth=4
	s_or_b64 exec, exec, s[56:57]
	global_load_dwordx2 v[10:11], v8, s[18:19] offset:16
	s_mov_b64 s[58:59], exec
	v_mbcnt_lo_u32_b32 v9, s58, 0
	v_mbcnt_hi_u32_b32 v9, s59, v9
	v_cmp_eq_u32_e32 vcc, 0, v9
	s_and_saveexec_b64 s[56:57], vcc
	s_cbranch_execz .LBB5_449
; %bb.448:                              ;   in Loop: Header=BB5_372 Depth=4
	s_bcnt1_i32_b64 s20, s[58:59]
	v_mov_b32_e32 v14, s20
	v_mov_b32_e32 v15, v8
	buffer_wbl2
	s_waitcnt vmcnt(0)
	global_atomic_add_x2 v[10:11], v[14:15], off offset:8
.LBB5_449:                              ;   in Loop: Header=BB5_372 Depth=4
	s_or_b64 exec, exec, s[56:57]
	s_waitcnt vmcnt(0)
	global_load_dwordx2 v[14:15], v[10:11], off offset:16
	s_waitcnt vmcnt(0)
	v_cmp_eq_u64_e32 vcc, 0, v[14:15]
	s_cbranch_vccnz .LBB5_451
; %bb.450:                              ;   in Loop: Header=BB5_372 Depth=4
	global_load_dword v10, v[10:11], off offset:24
	v_mov_b32_e32 v11, v8
	s_waitcnt vmcnt(0)
	v_and_b32_e32 v9, 0xffffff, v10
	v_readfirstlane_b32 m0, v9
	buffer_wbl2
	global_store_dwordx2 v[14:15], v[10:11], off
	s_sendmsg sendmsg(MSG_INTERRUPT)
.LBB5_451:                              ;   in Loop: Header=BB5_372 Depth=4
	s_or_b64 exec, exec, s[22:23]
.LBB5_452:                              ;   Parent Loop BB5_3 Depth=1
                                        ;     Parent Loop BB5_6 Depth=2
                                        ;       Parent Loop BB5_340 Depth=3
                                        ;         Parent Loop BB5_372 Depth=4
                                        ; =>        This Inner Loop Header: Depth=5
	v_mov_b32_e32 v9, 1
	s_and_saveexec_b64 s[22:23], s[12:13]
	s_cbranch_execz .LBB5_454
; %bb.453:                              ;   in Loop: Header=BB5_452 Depth=5
	global_load_dword v9, v[6:7], off offset:20 glc
	s_waitcnt vmcnt(0)
	buffer_invl2
	buffer_wbinvl1_vol
	v_and_b32_e32 v9, 1, v9
.LBB5_454:                              ;   in Loop: Header=BB5_452 Depth=5
	s_or_b64 exec, exec, s[22:23]
	v_readfirstlane_b32 s20, v9
	s_cmp_eq_u32 s20, 0
	s_cbranch_scc1 .LBB5_456
; %bb.455:                              ;   in Loop: Header=BB5_452 Depth=5
	s_mov_b64 s[22:23], 0
	s_sleep 1
	s_branch .LBB5_457
.LBB5_456:                              ;   in Loop: Header=BB5_452 Depth=5
	s_mov_b64 s[22:23], -1
.LBB5_457:                              ;   in Loop: Header=BB5_452 Depth=5
	s_andn2_b64 vcc, exec, s[22:23]
	s_cbranch_vccnz .LBB5_452
; %bb.458:                              ;   in Loop: Header=BB5_372 Depth=4
	s_and_b64 exec, exec, s[12:13]
	s_cbranch_execz .LBB5_462
; %bb.459:                              ;   in Loop: Header=BB5_372 Depth=4
	global_load_dwordx2 v[6:7], v8, s[18:19] offset:40
	global_load_dwordx2 v[10:11], v8, s[18:19] offset:24 glc
	global_load_dwordx2 v[14:15], v8, s[18:19]
	v_mov_b32_e32 v9, s55
	s_waitcnt vmcnt(2)
	v_add_co_u32_e32 v17, vcc, 1, v6
	v_addc_co_u32_e32 v21, vcc, 0, v7, vcc
	v_add_co_u32_e32 v18, vcc, s54, v17
	v_addc_co_u32_e32 v19, vcc, v21, v9, vcc
	v_cmp_eq_u64_e32 vcc, 0, v[18:19]
	v_cndmask_b32_e32 v23, v19, v21, vcc
	v_cndmask_b32_e32 v22, v18, v17, vcc
	v_and_b32_e32 v7, v23, v7
	v_and_b32_e32 v6, v22, v6
	v_mul_lo_u32 v7, v7, 24
	v_mul_hi_u32 v9, v6, 24
	v_mul_lo_u32 v6, v6, 24
	v_add_u32_e32 v7, v9, v7
	s_waitcnt vmcnt(0)
	v_add_co_u32_e32 v6, vcc, v14, v6
	v_addc_co_u32_e32 v7, vcc, v15, v7, vcc
	v_mov_b32_e32 v24, v10
	global_store_dwordx2 v[6:7], v[10:11], off
	v_mov_b32_e32 v25, v11
	buffer_wbl2
	s_waitcnt vmcnt(0)
	global_atomic_cmpswap_x2 v[24:25], v8, v[22:25], s[18:19] offset:24 glc
	s_waitcnt vmcnt(0)
	v_cmp_ne_u64_e32 vcc, v[24:25], v[10:11]
	s_and_b64 exec, exec, vcc
	s_cbranch_execz .LBB5_462
; %bb.460:                              ;   in Loop: Header=BB5_372 Depth=4
	s_mov_b64 s[12:13], 0
.LBB5_461:                              ;   Parent Loop BB5_3 Depth=1
                                        ;     Parent Loop BB5_6 Depth=2
                                        ;       Parent Loop BB5_340 Depth=3
                                        ;         Parent Loop BB5_372 Depth=4
                                        ; =>        This Inner Loop Header: Depth=5
	s_sleep 1
	global_store_dwordx2 v[6:7], v[24:25], off
	buffer_wbl2
	s_waitcnt vmcnt(0)
	global_atomic_cmpswap_x2 v[10:11], v8, v[22:25], s[18:19] offset:24 glc
	s_waitcnt vmcnt(0)
	v_cmp_eq_u64_e32 vcc, v[10:11], v[24:25]
	s_or_b64 s[12:13], vcc, s[12:13]
	v_pk_mov_b32 v[24:25], v[10:11], v[10:11] op_sel:[0,1]
	s_andn2_b64 exec, exec, s[12:13]
	s_cbranch_execnz .LBB5_461
.LBB5_462:                              ;   in Loop: Header=BB5_372 Depth=4
	s_or_b64 exec, exec, s[14:15]
	s_mov_b32 s20, s60
.LBB5_463:                              ;   in Loop: Header=BB5_372 Depth=4
	s_mov_b32 s66, s20
.LBB5_464:                              ;   in Loop: Header=BB5_372 Depth=4
	s_mov_b32 s20, s66
.LBB5_465:                              ;   in Loop: Header=BB5_372 Depth=4
	s_cmp_eq_u32 s20, 0
	s_cselect_b64 s[12:13], -1, 0
	s_and_b64 vcc, exec, s[12:13]
	s_cbranch_vccnz .LBB5_484
; %bb.466:                              ;   in Loop: Header=BB5_372 Depth=4
	v_mbcnt_lo_u32_b32 v6, exec_lo, 0
	v_mbcnt_hi_u32_b32 v6, exec_hi, v6
	v_cmp_eq_u32_e32 vcc, 0, v6
	s_and_saveexec_b64 s[14:15], vcc
	s_cbranch_execz .LBB5_483
; %bb.467:                              ;   in Loop: Header=BB5_372 Depth=4
	global_load_dwordx2 v[6:7], v[48:49], off glc
	s_memrealtime s[16:17]
	s_waitcnt lgkmcnt(0)
	v_mov_b32_e32 v9, s17
	s_waitcnt vmcnt(0)
	v_sub_co_u32_e32 v6, vcc, s16, v6
	v_subb_co_u32_e32 v7, vcc, v9, v7, vcc
	v_cmp_gt_u64_e32 vcc, s[42:43], v[6:7]
	s_and_b64 exec, exec, vcc
	s_cbranch_execz .LBB5_483
; %bb.468:                              ;   in Loop: Header=BB5_372 Depth=4
	s_memrealtime s[18:19]
	v_sub_u32_e32 v6, 0x7530, v6
	v_readfirstlane_b32 s16, v6
	s_ashr_i32 s17, s16, 31
	s_waitcnt lgkmcnt(0)
	s_add_u32 s16, s18, s16
	s_addc_u32 s17, s19, s17
.LBB5_469:                              ;   Parent Loop BB5_3 Depth=1
                                        ;     Parent Loop BB5_6 Depth=2
                                        ;       Parent Loop BB5_340 Depth=3
                                        ;         Parent Loop BB5_372 Depth=4
                                        ; =>        This Inner Loop Header: Depth=5
	s_waitcnt lgkmcnt(0)
	s_add_u32 s22, s18, 0x659
	s_addc_u32 s23, s19, 0
	v_pk_mov_b32 v[6:7], s[22:23], s[22:23] op_sel:[0,1]
	v_cmp_le_u64_e32 vcc, s[16:17], v[6:7]
	s_cbranch_vccnz .LBB5_472
; %bb.470:                              ;   in Loop: Header=BB5_469 Depth=5
	s_sleep 0x7f
	s_memrealtime s[18:19]
	s_branch .LBB5_469
.LBB5_471:                              ;   in Loop: Header=BB5_472 Depth=5
	s_sleep 63
	s_memrealtime s[18:19]
.LBB5_472:                              ;   Parent Loop BB5_3 Depth=1
                                        ;     Parent Loop BB5_6 Depth=2
                                        ;       Parent Loop BB5_340 Depth=3
                                        ;         Parent Loop BB5_372 Depth=4
                                        ; =>        This Inner Loop Header: Depth=5
	s_waitcnt lgkmcnt(0)
	s_add_u32 s22, s18, 0x326
	s_addc_u32 s23, s19, 0
	v_pk_mov_b32 v[6:7], s[22:23], s[22:23] op_sel:[0,1]
	v_cmp_le_u64_e32 vcc, s[16:17], v[6:7]
	s_cbranch_vccz .LBB5_471
; %bb.473:                              ;   in Loop: Header=BB5_372 Depth=4
	s_add_u32 s22, s18, 0x18c
	s_addc_u32 s23, s19, 0
	v_pk_mov_b32 v[6:7], s[22:23], s[22:23] op_sel:[0,1]
	v_cmp_le_u64_e32 vcc, s[16:17], v[6:7]
	s_cbranch_vccnz .LBB5_476
.LBB5_474:                              ;   Parent Loop BB5_3 Depth=1
                                        ;     Parent Loop BB5_6 Depth=2
                                        ;       Parent Loop BB5_340 Depth=3
                                        ;         Parent Loop BB5_372 Depth=4
                                        ; =>        This Inner Loop Header: Depth=5
	s_sleep 31
	s_memrealtime s[18:19]
	s_waitcnt lgkmcnt(0)
	s_add_u32 s22, s18, 0x18c
	s_addc_u32 s23, s19, 0
	v_pk_mov_b32 v[6:7], s[22:23], s[22:23] op_sel:[0,1]
	v_cmp_gt_u64_e32 vcc, s[16:17], v[6:7]
	s_cbranch_vccnz .LBB5_474
	s_branch .LBB5_476
.LBB5_475:                              ;   in Loop: Header=BB5_476 Depth=5
	s_sleep 15
	s_memrealtime s[18:19]
.LBB5_476:                              ;   Parent Loop BB5_3 Depth=1
                                        ;     Parent Loop BB5_6 Depth=2
                                        ;       Parent Loop BB5_340 Depth=3
                                        ;         Parent Loop BB5_372 Depth=4
                                        ; =>        This Inner Loop Header: Depth=5
	s_waitcnt lgkmcnt(0)
	s_add_u32 s22, s18, 0xc0
	s_addc_u32 s23, s19, 0
	v_pk_mov_b32 v[6:7], s[22:23], s[22:23] op_sel:[0,1]
	v_cmp_le_u64_e32 vcc, s[16:17], v[6:7]
	s_cbranch_vccz .LBB5_475
	s_branch .LBB5_478
.LBB5_477:                              ;   in Loop: Header=BB5_478 Depth=5
	s_sleep 7
	s_memrealtime s[18:19]
.LBB5_478:                              ;   Parent Loop BB5_3 Depth=1
                                        ;     Parent Loop BB5_6 Depth=2
                                        ;       Parent Loop BB5_340 Depth=3
                                        ;         Parent Loop BB5_372 Depth=4
                                        ; =>        This Inner Loop Header: Depth=5
	s_waitcnt lgkmcnt(0)
	s_add_u32 s22, s18, 0x59
	s_addc_u32 s23, s19, 0
	v_pk_mov_b32 v[6:7], s[22:23], s[22:23] op_sel:[0,1]
	v_cmp_le_u64_e32 vcc, s[16:17], v[6:7]
	s_cbranch_vccz .LBB5_477
	;; [unrolled: 15-line block ×3, first 2 shown]
; %bb.481:                              ;   in Loop: Header=BB5_372 Depth=4
	v_pk_mov_b32 v[6:7], s[18:19], s[18:19] op_sel:[0,1]
	v_cmp_le_u64_e32 vcc, s[16:17], v[6:7]
	s_cbranch_vccnz .LBB5_483
.LBB5_482:                              ;   Parent Loop BB5_3 Depth=1
                                        ;     Parent Loop BB5_6 Depth=2
                                        ;       Parent Loop BB5_340 Depth=3
                                        ;         Parent Loop BB5_372 Depth=4
                                        ; =>        This Inner Loop Header: Depth=5
	s_sleep 1
	s_memrealtime s[18:19]
	s_waitcnt lgkmcnt(0)
	v_pk_mov_b32 v[6:7], s[18:19], s[18:19] op_sel:[0,1]
	v_cmp_gt_u64_e32 vcc, s[16:17], v[6:7]
	s_cbranch_vccnz .LBB5_482
.LBB5_483:                              ;   in Loop: Header=BB5_372 Depth=4
	s_or_b64 exec, exec, s[14:15]
	s_cmp_lg_u32 s20, 2
	s_cselect_b64 s[14:15], -1, 0
	v_cndmask_b32_e64 v6, 0, 1, s[14:15]
	v_readfirstlane_b32 s20, v6
	s_mov_b64 s[16:17], s[20:21]
.LBB5_484:                              ;   in Loop: Header=BB5_372 Depth=4
	s_mov_b64 s[18:19], 0
	s_branch .LBB5_487
.LBB5_485:                              ;   in Loop: Header=BB5_372 Depth=4
	s_mov_b64 s[18:19], 0
	s_mov_b64 s[16:17], 0
	s_branch .LBB5_495
.LBB5_486:                              ;   in Loop: Header=BB5_372 Depth=4
                                        ; implicit-def: $sgpr18_sgpr19
.LBB5_487:                              ;   in Loop: Header=BB5_372 Depth=4
	s_and_b64 vcc, exec, s[12:13]
	s_cbranch_vccz .LBB5_495
; %bb.488:                              ;   in Loop: Header=BB5_372 Depth=4
	v_mov_b32_e32 v6, 1
	v_mov_b32_e32 v7, 0
	s_and_saveexec_b64 s[12:13], s[10:11]
	s_cbranch_execz .LBB5_492
; %bb.489:                              ;   in Loop: Header=BB5_372 Depth=4
	global_load_dwordx2 v[24:25], v[38:39], off glc
	s_memrealtime s[18:19]
	s_waitcnt lgkmcnt(0)
	v_mov_b32_e32 v7, s19
	s_waitcnt vmcnt(0)
	v_sub_co_u32_e32 v6, vcc, s18, v24
	v_subb_co_u32_e32 v7, vcc, v7, v25, vcc
	v_cmp_lt_u64_e32 vcc, s[44:45], v[6:7]
	v_mov_b32_e32 v6, 1
	v_mov_b32_e32 v7, 0
	s_and_saveexec_b64 s[14:15], vcc
	s_cbranch_execz .LBB5_491
; %bb.490:                              ;   in Loop: Header=BB5_372 Depth=4
	v_mov_b32_e32 v22, s18
	v_mov_b32_e32 v23, s19
	global_atomic_cmpswap_x2 v[6:7], v[38:39], v[22:25], off glc
	s_waitcnt vmcnt(0)
	v_cmp_ne_u64_e32 vcc, v[6:7], v[24:25]
	v_cndmask_b32_e64 v6, 0, 1, vcc
	v_mov_b32_e32 v7, s21
.LBB5_491:                              ;   in Loop: Header=BB5_372 Depth=4
	s_or_b64 exec, exec, s[14:15]
.LBB5_492:                              ;   in Loop: Header=BB5_372 Depth=4
	s_or_b64 exec, exec, s[12:13]
	v_readfirstlane_b32 s12, v6
	v_readfirstlane_b32 s13, v7
	s_cmp_lg_u64 s[12:13], 0
	s_cbranch_scc0 .LBB5_496
.LBB5_493:                              ;   in Loop: Header=BB5_372 Depth=4
	s_mov_b64 s[18:19], 0
.LBB5_494:                              ;   in Loop: Header=BB5_372 Depth=4
	s_mov_b64 s[16:17], s[12:13]
.LBB5_495:                              ;   in Loop: Header=BB5_372 Depth=4
	s_xor_b64 s[12:13], s[18:19], -1
	s_andn2_b64 vcc, exec, s[12:13]
	s_cbranch_vccnz .LBB5_372
	s_branch .LBB5_605
.LBB5_496:                              ;   in Loop: Header=BB5_372 Depth=4
	v_pk_mov_b32 v[6:7], 0, 0
	s_and_saveexec_b64 s[14:15], s[10:11]
	s_cbranch_execz .LBB5_532
; %bb.497:                              ;   in Loop: Header=BB5_372 Depth=4
	global_load_dwordx2 v[6:7], v8, s[34:35] glc
	global_load_dwordx2 v[10:11], v8, s[36:37]
	s_waitcnt vmcnt(0)
	v_cmp_ge_u64_e32 vcc, v[6:7], v[10:11]
	s_cbranch_vccnz .LBB5_501
; %bb.498:                              ;   in Loop: Header=BB5_372 Depth=4
	s_mov_b64 s[18:19], exec
	v_mbcnt_lo_u32_b32 v6, s18, 0
	v_mbcnt_hi_u32_b32 v9, s19, v6
	v_cmp_eq_u32_e32 vcc, 0, v9
                                        ; implicit-def: $vgpr6_vgpr7
	s_and_saveexec_b64 s[12:13], vcc
	s_cbranch_execz .LBB5_500
; %bb.499:                              ;   in Loop: Header=BB5_372 Depth=4
	s_bcnt1_i32_b64 s18, s[18:19]
	s_lshl_b32 s18, s18, 21
	v_mov_b32_e32 v6, s18
	v_mov_b32_e32 v7, v8
	global_atomic_add_x2 v[6:7], v8, v[6:7], s[34:35] glc
.LBB5_500:                              ;   in Loop: Header=BB5_372 Depth=4
	s_or_b64 exec, exec, s[12:13]
	s_waitcnt vmcnt(0)
	v_readfirstlane_b32 s12, v7
	v_readfirstlane_b32 s13, v6
	v_mov_b32_e32 v6, s13
	v_mov_b32_e32 v7, s12
	v_mad_u64_u32 v[6:7], s[12:13], v9, s86, v[6:7]
	v_cmp_ge_u64_e64 s[12:13], v[6:7], v[10:11]
	s_branch .LBB5_502
.LBB5_501:                              ;   in Loop: Header=BB5_372 Depth=4
	s_mov_b64 s[12:13], -1
                                        ; implicit-def: $vgpr6_vgpr7
.LBB5_502:                              ;   in Loop: Header=BB5_372 Depth=4
	s_and_saveexec_b64 s[18:19], s[12:13]
	s_cbranch_execz .LBB5_531
; %bb.503:                              ;   in Loop: Header=BB5_372 Depth=4
	s_load_dwordx2 s[54:55], s[8:9], 0x50
	v_readfirstlane_b32 s12, v32
	v_cmp_eq_u32_e64 s[12:13], s12, v32
	v_pk_mov_b32 v[6:7], 0, 0
	s_and_saveexec_b64 s[22:23], s[12:13]
	s_cbranch_execz .LBB5_509
; %bb.504:                              ;   in Loop: Header=BB5_372 Depth=4
	s_waitcnt lgkmcnt(0)
	global_load_dwordx2 v[24:25], v8, s[54:55] offset:24 glc
	s_waitcnt vmcnt(0)
	buffer_invl2
	buffer_wbinvl1_vol
	global_load_dwordx2 v[6:7], v8, s[54:55] offset:40
	global_load_dwordx2 v[10:11], v8, s[54:55]
	s_waitcnt vmcnt(1)
	v_and_b32_e32 v6, v6, v24
	v_and_b32_e32 v7, v7, v25
	v_mul_lo_u32 v7, v7, 24
	v_mul_hi_u32 v9, v6, 24
	v_mul_lo_u32 v6, v6, 24
	v_add_u32_e32 v7, v9, v7
	s_waitcnt vmcnt(0)
	v_add_co_u32_e32 v6, vcc, v10, v6
	v_addc_co_u32_e32 v7, vcc, v11, v7, vcc
	global_load_dwordx2 v[22:23], v[6:7], off glc
	s_waitcnt vmcnt(0)
	global_atomic_cmpswap_x2 v[6:7], v8, v[22:25], s[54:55] offset:24 glc
	s_waitcnt vmcnt(0)
	buffer_invl2
	buffer_wbinvl1_vol
	v_cmp_ne_u64_e32 vcc, v[6:7], v[24:25]
	s_and_saveexec_b64 s[56:57], vcc
	s_cbranch_execz .LBB5_508
; %bb.505:                              ;   in Loop: Header=BB5_372 Depth=4
	s_mov_b64 s[58:59], 0
.LBB5_506:                              ;   Parent Loop BB5_3 Depth=1
                                        ;     Parent Loop BB5_6 Depth=2
                                        ;       Parent Loop BB5_340 Depth=3
                                        ;         Parent Loop BB5_372 Depth=4
                                        ; =>        This Inner Loop Header: Depth=5
	s_sleep 1
	global_load_dwordx2 v[10:11], v8, s[54:55] offset:40
	global_load_dwordx2 v[14:15], v8, s[54:55]
	v_pk_mov_b32 v[24:25], v[6:7], v[6:7] op_sel:[0,1]
	s_waitcnt vmcnt(1)
	v_and_b32_e32 v6, v10, v24
	s_waitcnt vmcnt(0)
	v_mad_u64_u32 v[6:7], vcc, v6, 24, v[14:15]
	v_and_b32_e32 v9, v11, v25
	v_mov_b32_e32 v10, v7
	v_mad_u64_u32 v[10:11], vcc, v9, 24, v[10:11]
	v_mov_b32_e32 v7, v10
	global_load_dwordx2 v[22:23], v[6:7], off glc
	s_waitcnt vmcnt(0)
	global_atomic_cmpswap_x2 v[6:7], v8, v[22:25], s[54:55] offset:24 glc
	s_waitcnt vmcnt(0)
	buffer_invl2
	buffer_wbinvl1_vol
	v_cmp_eq_u64_e32 vcc, v[6:7], v[24:25]
	s_or_b64 s[58:59], vcc, s[58:59]
	s_andn2_b64 exec, exec, s[58:59]
	s_cbranch_execnz .LBB5_506
; %bb.507:                              ;   in Loop: Header=BB5_372 Depth=4
	s_or_b64 exec, exec, s[58:59]
.LBB5_508:                              ;   in Loop: Header=BB5_372 Depth=4
	s_or_b64 exec, exec, s[56:57]
.LBB5_509:                              ;   in Loop: Header=BB5_372 Depth=4
	s_or_b64 exec, exec, s[22:23]
	s_waitcnt lgkmcnt(0)
	global_load_dwordx2 v[10:11], v8, s[54:55] offset:40
	global_load_dwordx4 v[22:25], v8, s[54:55]
	v_readfirstlane_b32 s56, v6
	v_readfirstlane_b32 s57, v7
	s_mov_b64 s[22:23], exec
	s_waitcnt vmcnt(1)
	v_readfirstlane_b32 vcc_lo, v10
	v_readfirstlane_b32 vcc_hi, v11
	s_and_b64 s[58:59], s[56:57], vcc
	s_mul_i32 s20, s59, 24
	s_mul_hi_u32 vcc_lo, s58, 24
	s_mul_i32 vcc_hi, s58, 24
	s_add_i32 s20, vcc_lo, s20
	v_mov_b32_e32 v7, s20
	s_waitcnt vmcnt(0)
	v_add_co_u32_e32 v6, vcc, vcc_hi, v22
	v_addc_co_u32_e32 v7, vcc, v23, v7, vcc
	s_and_saveexec_b64 vcc, s[12:13]
	s_cbranch_execz .LBB5_511
; %bb.510:                              ;   in Loop: Header=BB5_372 Depth=4
	v_pk_mov_b32 v[10:11], s[22:23], s[22:23] op_sel:[0,1]
	global_store_dwordx4 v[6:7], v[10:13], off offset:8
.LBB5_511:                              ;   in Loop: Header=BB5_372 Depth=4
	s_or_b64 exec, exec, vcc
	s_lshl_b64 s[22:23], s[58:59], 12
	v_mov_b32_e32 v9, s23
	v_add_co_u32_e32 v10, vcc, s22, v24
	s_mov_b32 s22, s21
	s_mov_b32 s23, s21
	v_addc_co_u32_e32 v9, vcc, v25, v9, vcc
	s_mov_b32 s20, s21
	v_pk_mov_b32 v[52:53], s[22:23], s[22:23] op_sel:[0,1]
	v_lshlrev_b32_e32 v11, 6, v32
	v_mov_b32_e32 v18, v8
	v_mov_b32_e32 v19, v8
	v_mov_b32_e32 v21, v8
	v_readfirstlane_b32 s58, v10
	v_readfirstlane_b32 s59, v9
	v_pk_mov_b32 v[50:51], s[20:21], s[20:21] op_sel:[0,1]
	s_nop 3
	global_store_dwordx4 v11, v[18:21], s[58:59]
	global_store_dwordx4 v11, v[50:53], s[58:59] offset:16
	global_store_dwordx4 v11, v[50:53], s[58:59] offset:32
	;; [unrolled: 1-line block ×3, first 2 shown]
	s_and_saveexec_b64 s[22:23], s[12:13]
	s_cbranch_execz .LBB5_519
; %bb.512:                              ;   in Loop: Header=BB5_372 Depth=4
	global_load_dwordx2 v[52:53], v8, s[54:55] offset:32 glc
	global_load_dwordx2 v[14:15], v8, s[54:55] offset:40
	v_mov_b32_e32 v50, s56
	v_mov_b32_e32 v51, s57
	s_waitcnt vmcnt(0)
	v_and_b32_e32 v14, s56, v14
	v_and_b32_e32 v15, s57, v15
	v_mul_lo_u32 v15, v15, 24
	v_mul_hi_u32 v17, v14, 24
	v_mul_lo_u32 v14, v14, 24
	v_add_u32_e32 v15, v17, v15
	v_add_co_u32_e32 v14, vcc, v22, v14
	v_addc_co_u32_e32 v15, vcc, v23, v15, vcc
	global_store_dwordx2 v[14:15], v[52:53], off
	buffer_wbl2
	s_waitcnt vmcnt(0)
	global_atomic_cmpswap_x2 v[24:25], v8, v[50:53], s[54:55] offset:32 glc
	s_waitcnt vmcnt(0)
	v_cmp_ne_u64_e32 vcc, v[24:25], v[52:53]
	s_and_saveexec_b64 s[58:59], vcc
	s_cbranch_execz .LBB5_515
; %bb.513:                              ;   in Loop: Header=BB5_372 Depth=4
	s_mov_b64 s[60:61], 0
.LBB5_514:                              ;   Parent Loop BB5_3 Depth=1
                                        ;     Parent Loop BB5_6 Depth=2
                                        ;       Parent Loop BB5_340 Depth=3
                                        ;         Parent Loop BB5_372 Depth=4
                                        ; =>        This Inner Loop Header: Depth=5
	s_sleep 1
	global_store_dwordx2 v[14:15], v[24:25], off
	v_mov_b32_e32 v22, s56
	v_mov_b32_e32 v23, s57
	buffer_wbl2
	s_waitcnt vmcnt(0)
	global_atomic_cmpswap_x2 v[18:19], v8, v[22:25], s[54:55] offset:32 glc
	s_waitcnt vmcnt(0)
	v_cmp_eq_u64_e32 vcc, v[18:19], v[24:25]
	s_or_b64 s[60:61], vcc, s[60:61]
	v_pk_mov_b32 v[24:25], v[18:19], v[18:19] op_sel:[0,1]
	s_andn2_b64 exec, exec, s[60:61]
	s_cbranch_execnz .LBB5_514
.LBB5_515:                              ;   in Loop: Header=BB5_372 Depth=4
	s_or_b64 exec, exec, s[58:59]
	global_load_dwordx2 v[14:15], v8, s[54:55] offset:16
	s_mov_b64 s[60:61], exec
	v_mbcnt_lo_u32_b32 v17, s60, 0
	v_mbcnt_hi_u32_b32 v17, s61, v17
	v_cmp_eq_u32_e32 vcc, 0, v17
	s_and_saveexec_b64 s[58:59], vcc
	s_cbranch_execz .LBB5_517
; %bb.516:                              ;   in Loop: Header=BB5_372 Depth=4
	s_bcnt1_i32_b64 s20, s[60:61]
	v_mov_b32_e32 v18, s20
	v_mov_b32_e32 v19, v8
	buffer_wbl2
	s_waitcnt vmcnt(0)
	global_atomic_add_x2 v[14:15], v[18:19], off offset:8
.LBB5_517:                              ;   in Loop: Header=BB5_372 Depth=4
	s_or_b64 exec, exec, s[58:59]
	s_waitcnt vmcnt(0)
	global_load_dwordx2 v[18:19], v[14:15], off offset:16
	s_waitcnt vmcnt(0)
	v_cmp_eq_u64_e32 vcc, 0, v[18:19]
	s_cbranch_vccnz .LBB5_519
; %bb.518:                              ;   in Loop: Header=BB5_372 Depth=4
	global_load_dword v14, v[14:15], off offset:24
	v_mov_b32_e32 v15, v8
	buffer_wbl2
	s_waitcnt vmcnt(0)
	global_store_dwordx2 v[18:19], v[14:15], off
	v_and_b32_e32 v14, 0xffffff, v14
	v_readfirstlane_b32 m0, v14
	s_sendmsg sendmsg(MSG_INTERRUPT)
.LBB5_519:                              ;   in Loop: Header=BB5_372 Depth=4
	s_or_b64 exec, exec, s[22:23]
	v_add_co_u32_e32 v10, vcc, v10, v11
	v_addc_co_u32_e32 v11, vcc, 0, v9, vcc
.LBB5_520:                              ;   Parent Loop BB5_3 Depth=1
                                        ;     Parent Loop BB5_6 Depth=2
                                        ;       Parent Loop BB5_340 Depth=3
                                        ;         Parent Loop BB5_372 Depth=4
                                        ; =>        This Inner Loop Header: Depth=5
	v_mov_b32_e32 v9, 1
	s_and_saveexec_b64 s[22:23], s[12:13]
	s_cbranch_execz .LBB5_522
; %bb.521:                              ;   in Loop: Header=BB5_520 Depth=5
	global_load_dword v9, v[6:7], off offset:20 glc
	s_waitcnt vmcnt(0)
	buffer_invl2
	buffer_wbinvl1_vol
	v_and_b32_e32 v9, 1, v9
.LBB5_522:                              ;   in Loop: Header=BB5_520 Depth=5
	s_or_b64 exec, exec, s[22:23]
	v_readfirstlane_b32 s20, v9
	s_cmp_eq_u32 s20, 0
	s_cbranch_scc1 .LBB5_524
; %bb.523:                              ;   in Loop: Header=BB5_520 Depth=5
	s_mov_b64 s[22:23], 0
	s_sleep 1
	s_branch .LBB5_525
.LBB5_524:                              ;   in Loop: Header=BB5_520 Depth=5
	s_mov_b64 s[22:23], -1
.LBB5_525:                              ;   in Loop: Header=BB5_520 Depth=5
	s_andn2_b64 vcc, exec, s[22:23]
	s_cbranch_vccnz .LBB5_520
; %bb.526:                              ;   in Loop: Header=BB5_372 Depth=4
	global_load_dwordx2 v[6:7], v[10:11], off
	s_and_saveexec_b64 s[22:23], s[12:13]
	s_cbranch_execz .LBB5_530
; %bb.527:                              ;   in Loop: Header=BB5_372 Depth=4
	global_load_dwordx2 v[10:11], v8, s[54:55] offset:40
	global_load_dwordx2 v[14:15], v8, s[54:55] offset:24 glc
	global_load_dwordx2 v[18:19], v8, s[54:55]
	v_mov_b32_e32 v9, s57
	s_waitcnt vmcnt(2)
	v_add_co_u32_e32 v17, vcc, 1, v10
	v_addc_co_u32_e32 v21, vcc, 0, v11, vcc
	v_add_co_u32_e32 v22, vcc, s56, v17
	v_addc_co_u32_e32 v23, vcc, v21, v9, vcc
	v_cmp_eq_u64_e32 vcc, 0, v[22:23]
	v_cndmask_b32_e32 v23, v23, v21, vcc
	v_cndmask_b32_e32 v22, v22, v17, vcc
	v_and_b32_e32 v9, v23, v11
	v_and_b32_e32 v10, v22, v10
	v_mul_lo_u32 v9, v9, 24
	v_mul_hi_u32 v11, v10, 24
	v_mul_lo_u32 v10, v10, 24
	v_add_u32_e32 v9, v11, v9
	s_waitcnt vmcnt(0)
	v_add_co_u32_e32 v10, vcc, v18, v10
	v_addc_co_u32_e32 v11, vcc, v19, v9, vcc
	v_mov_b32_e32 v24, v14
	global_store_dwordx2 v[10:11], v[14:15], off
	v_mov_b32_e32 v25, v15
	buffer_wbl2
	s_waitcnt vmcnt(0)
	global_atomic_cmpswap_x2 v[24:25], v8, v[22:25], s[54:55] offset:24 glc
	s_waitcnt vmcnt(0)
	v_cmp_ne_u64_e32 vcc, v[24:25], v[14:15]
	s_and_b64 exec, exec, vcc
	s_cbranch_execz .LBB5_530
; %bb.528:                              ;   in Loop: Header=BB5_372 Depth=4
	s_mov_b64 s[12:13], 0
.LBB5_529:                              ;   Parent Loop BB5_3 Depth=1
                                        ;     Parent Loop BB5_6 Depth=2
                                        ;       Parent Loop BB5_340 Depth=3
                                        ;         Parent Loop BB5_372 Depth=4
                                        ; =>        This Inner Loop Header: Depth=5
	s_sleep 1
	global_store_dwordx2 v[10:11], v[24:25], off
	buffer_wbl2
	s_waitcnt vmcnt(0)
	global_atomic_cmpswap_x2 v[14:15], v8, v[22:25], s[54:55] offset:24 glc
	s_waitcnt vmcnt(0)
	v_cmp_eq_u64_e32 vcc, v[14:15], v[24:25]
	s_or_b64 s[12:13], vcc, s[12:13]
	v_pk_mov_b32 v[24:25], v[14:15], v[14:15] op_sel:[0,1]
	s_andn2_b64 exec, exec, s[12:13]
	s_cbranch_execnz .LBB5_529
.LBB5_530:                              ;   in Loop: Header=BB5_372 Depth=4
	s_or_b64 exec, exec, s[22:23]
.LBB5_531:                              ;   in Loop: Header=BB5_372 Depth=4
	s_or_b64 exec, exec, s[18:19]
.LBB5_532:                              ;   in Loop: Header=BB5_372 Depth=4
	s_or_b64 exec, exec, s[14:15]
	s_waitcnt vmcnt(0)
	v_readfirstlane_b32 s14, v6
	v_readfirstlane_b32 s15, v7
	s_cmp_eq_u64 s[14:15], 0
	s_mov_b64 s[12:13], 0
	s_cbranch_scc1 .LBB5_493
; %bb.533:                              ;   in Loop: Header=BB5_372 Depth=4
	global_load_dword v10, v[34:35], off
	v_mbcnt_lo_u32_b32 v6, exec_lo, 0
	v_mbcnt_hi_u32_b32 v11, exec_hi, v6
	s_bcnt1_i32_b64 s20, exec
	s_waitcnt vmcnt(0)
	v_add_u32_e32 v6, 31, v10
	v_lshrrev_b32_e32 v9, 5, v6
	s_and_saveexec_b64 s[12:13], s[4:5]
	s_xor_b64 s[18:19], exec, s[12:13]
	s_cbranch_execz .LBB5_541
; %bb.534:                              ;   in Loop: Header=BB5_372 Depth=4
	global_load_dword v14, v[54:55], off
	v_cmp_lt_u32_e32 vcc, v11, v9
	s_and_saveexec_b64 s[22:23], vcc
	s_cbranch_execz .LBB5_537
; %bb.535:                              ;   in Loop: Header=BB5_372 Depth=4
	s_add_u32 s12, s14, 16
	s_addc_u32 s13, s15, 0
	v_lshlrev_b32_e32 v6, 2, v11
	v_mov_b32_e32 v7, s13
	v_add_co_u32_e32 v6, vcc, s12, v6
	v_addc_co_u32_e32 v7, vcc, 0, v7, vcc
	s_lshl_b32 s56, s20, 2
	s_mov_b64 s[54:55], 0
	v_mov_b32_e32 v15, v11
.LBB5_536:                              ;   Parent Loop BB5_3 Depth=1
                                        ;     Parent Loop BB5_6 Depth=2
                                        ;       Parent Loop BB5_340 Depth=3
                                        ;         Parent Loop BB5_372 Depth=4
                                        ; =>        This Inner Loop Header: Depth=5
	v_add_u32_e32 v15, s20, v15
	global_store_dword v[6:7], v8, off
	v_mov_b32_e32 v17, s21
	v_add_co_u32_e32 v6, vcc, s56, v6
	v_cmp_ge_u32_e64 s[12:13], v15, v9
	s_or_b64 s[54:55], s[12:13], s[54:55]
	v_addc_co_u32_e32 v7, vcc, v7, v17, vcc
	s_andn2_b64 exec, exec, s[54:55]
	s_cbranch_execnz .LBB5_536
.LBB5_537:                              ;   in Loop: Header=BB5_372 Depth=4
	s_or_b64 exec, exec, s[22:23]
	global_load_dword v6, v[42:43], off
	s_waitcnt vmcnt(0)
	v_mad_u64_u32 v[6:7], s[12:13], v14, v11, v[6:7]
	v_cmp_lt_u32_e32 vcc, v6, v10
	s_and_saveexec_b64 s[12:13], vcc
	s_cbranch_execz .LBB5_540
; %bb.538:                              ;   in Loop: Header=BB5_372 Depth=4
	s_add_u32 s22, s14, 16
	v_mul_lo_u32 v7, v14, s20
	s_addc_u32 s23, s15, 0
	s_mov_b64 s[54:55], 0
.LBB5_539:                              ;   Parent Loop BB5_3 Depth=1
                                        ;     Parent Loop BB5_6 Depth=2
                                        ;       Parent Loop BB5_340 Depth=3
                                        ;         Parent Loop BB5_372 Depth=4
                                        ; =>        This Inner Loop Header: Depth=5
	v_lshlrev_b32_e64 v14, v6, 1
	v_lshrrev_b32_e32 v15, 3, v6
	v_add_u32_e32 v6, v6, v7
	v_cmp_ge_u32_e32 vcc, v6, v10
	v_and_b32_e32 v15, 0x1ffffffc, v15
	s_or_b64 s[54:55], vcc, s[54:55]
	global_store_dword v15, v14, s[22:23]
	s_andn2_b64 exec, exec, s[54:55]
	s_cbranch_execnz .LBB5_539
.LBB5_540:                              ;   in Loop: Header=BB5_372 Depth=4
	s_or_b64 exec, exec, s[12:13]
.LBB5_541:                              ;   in Loop: Header=BB5_372 Depth=4
	s_andn2_saveexec_b64 s[18:19], s[18:19]
	s_cbranch_execz .LBB5_546
; %bb.542:                              ;   in Loop: Header=BB5_372 Depth=4
	v_cmp_lt_u32_e32 vcc, v11, v9
	s_and_saveexec_b64 s[22:23], vcc
	s_cbranch_execz .LBB5_545
; %bb.543:                              ;   in Loop: Header=BB5_372 Depth=4
	v_accvgpr_read_b32 v6, a12
	v_accvgpr_read_b32 v7, a13
	global_load_dword v14, v[6:7], off
	s_add_u32 s12, s14, 16
	s_addc_u32 s13, s15, 0
	v_lshlrev_b32_e32 v6, 2, v11
	v_mov_b32_e32 v7, s13
	v_add_co_u32_e32 v6, vcc, s12, v6
	v_addc_co_u32_e32 v7, vcc, 0, v7, vcc
	s_lshl_b32 s56, s20, 2
	s_mov_b64 s[54:55], 0
	v_mov_b32_e32 v15, v11
	s_waitcnt vmcnt(0)
.LBB5_544:                              ;   Parent Loop BB5_3 Depth=1
                                        ;     Parent Loop BB5_6 Depth=2
                                        ;       Parent Loop BB5_340 Depth=3
                                        ;         Parent Loop BB5_372 Depth=4
                                        ; =>        This Inner Loop Header: Depth=5
	v_add_u32_e32 v15, s20, v15
	global_store_dword v[6:7], v14, off
	v_mov_b32_e32 v17, s21
	v_add_co_u32_e32 v6, vcc, s56, v6
	v_cmp_ge_u32_e64 s[12:13], v15, v9
	s_or_b64 s[54:55], s[12:13], s[54:55]
	v_addc_co_u32_e32 v7, vcc, v7, v17, vcc
	s_andn2_b64 exec, exec, s[54:55]
	s_cbranch_execnz .LBB5_544
.LBB5_545:                              ;   in Loop: Header=BB5_372 Depth=4
	s_or_b64 exec, exec, s[22:23]
.LBB5_546:                              ;   in Loop: Header=BB5_372 Depth=4
	s_or_b64 exec, exec, s[18:19]
	v_cmp_eq_u32_e32 vcc, 0, v11
	s_and_saveexec_b64 s[12:13], vcc
	s_cbranch_execz .LBB5_550
; %bb.547:                              ;   in Loop: Header=BB5_372 Depth=4
	v_and_b32_e32 v6, 31, v10
	v_cmp_ne_u32_e32 vcc, 0, v6
	s_and_saveexec_b64 s[18:19], vcc
	s_cbranch_execz .LBB5_549
; %bb.548:                              ;   in Loop: Header=BB5_372 Depth=4
	v_add_u32_e32 v10, -1, v9
	v_mov_b32_e32 v11, v8
	v_lshlrev_b64 v[10:11], 2, v[10:11]
	v_mov_b32_e32 v7, s15
	v_add_co_u32_e32 v10, vcc, s14, v10
	v_addc_co_u32_e32 v11, vcc, v7, v11, vcc
	global_load_dword v7, v[10:11], off offset:16
	s_waitcnt vmcnt(0)
	v_lshl_or_b32 v6, -1, v6, v7
	global_store_dword v[10:11], v6, off offset:16
.LBB5_549:                              ;   in Loop: Header=BB5_372 Depth=4
	s_or_b64 exec, exec, s[18:19]
	global_store_dwordx4 v8, v[2:5], s[14:15]
.LBB5_550:                              ;   in Loop: Header=BB5_372 Depth=4
	s_or_b64 exec, exec, s[12:13]
.LBB5_551:                              ;   Parent Loop BB5_3 Depth=1
                                        ;     Parent Loop BB5_6 Depth=2
                                        ;       Parent Loop BB5_340 Depth=3
                                        ;         Parent Loop BB5_372 Depth=4
                                        ; =>        This Inner Loop Header: Depth=5
	v_mov_b32_e32 v6, s63
	s_and_saveexec_b64 s[12:13], s[10:11]
	s_cbranch_execz .LBB5_553
; %bb.552:                              ;   in Loop: Header=BB5_551 Depth=5
	global_load_dword v6, v[30:31], off offset:2048 glc
.LBB5_553:                              ;   in Loop: Header=BB5_551 Depth=5
	s_or_b64 exec, exec, s[12:13]
	s_waitcnt vmcnt(0)
	v_readfirstlane_b32 s63, v6
	s_cmp_eq_u32 s63, 0x10100
	s_cbranch_scc1 .LBB5_560
; %bb.554:                              ;   in Loop: Header=BB5_551 Depth=5
	v_mov_b32_e32 v6, s64
	s_and_saveexec_b64 s[12:13], s[10:11]
	s_cbranch_execz .LBB5_556
; %bb.555:                              ;   in Loop: Header=BB5_551 Depth=5
	global_load_dword v6, v[36:37], off glc
.LBB5_556:                              ;   in Loop: Header=BB5_551 Depth=5
	s_or_b64 exec, exec, s[12:13]
	s_waitcnt vmcnt(0)
	v_readfirstlane_b32 s64, v6
	s_mov_b64 s[18:19], -1
	s_cmp_lg_u32 s63, s64
	s_mov_b64 s[22:23], -1
                                        ; implicit-def: $sgpr12_sgpr13
	s_cbranch_scc0 .LBB5_570
; %bb.557:                              ;   in Loop: Header=BB5_551 Depth=5
	v_pk_mov_b32 v[6:7], 0, 0
	s_and_saveexec_b64 s[12:13], s[10:11]
	s_cbranch_execz .LBB5_567
; %bb.558:                              ;   in Loop: Header=BB5_551 Depth=5
	s_cmpk_lt_u32 s63, 0x100
	s_cbranch_scc0 .LBB5_561
; %bb.559:                              ;   in Loop: Header=BB5_551 Depth=5
	v_pk_mov_b32 v[6:7], s[30:31], s[30:31] op_sel:[0,1]
	v_mad_u64_u32 v[6:7], s[18:19], v2, s82, v[6:7]
	v_mad_u64_u32 v[10:11], s[18:19], s63, 24, v[6:7]
	s_mov_b64 s[18:19], 0
	s_branch .LBB5_562
.LBB5_560:                              ;   in Loop: Header=BB5_551 Depth=5
	s_mov_b64 s[12:13], 0
	s_mov_b64 s[54:55], -1
	s_mov_b64 s[18:19], 0
                                        ; implicit-def: $sgpr63
                                        ; implicit-def: $sgpr64
	s_mov_b64 s[22:23], -1
	s_branch .LBB5_571
.LBB5_561:                              ;   in Loop: Header=BB5_551 Depth=5
                                        ; implicit-def: $vgpr10_vgpr11
.LBB5_562:                              ;   in Loop: Header=BB5_551 Depth=5
	s_andn2_b64 vcc, exec, s[18:19]
	s_cbranch_vccnz .LBB5_564
; %bb.563:                              ;   in Loop: Header=BB5_551 Depth=5
	s_add_i32 s18, s63, 0xffffff00
	v_pk_mov_b32 v[6:7], s[30:31], s[30:31] op_sel:[0,1]
	s_lshr_b32 s20, s18, 8
	v_mad_u64_u32 v[6:7], s[18:19], v2, s82, v[6:7]
	v_mad_u64_u32 v[6:7], s[18:19], s20, 24, v[6:7]
	global_load_dwordx2 v[6:7], v[6:7], off glc
	s_and_b32 s18, s63, 0xff
	s_waitcnt vmcnt(0)
	v_mad_u64_u32 v[10:11], s[18:19], s18, 24, v[6:7]
.LBB5_564:                              ;   in Loop: Header=BB5_551 Depth=5
	v_mov_b32_e32 v6, s63
	global_store_dword v8, v6, s[14:15] offset:4
	v_mov_b32_e32 v6, s14
	v_mov_b32_e32 v7, s15
	v_mov_b32_e32 v9, v8
	global_atomic_cmpswap_x2 v[6:7], v[10:11], v[6:9], off offset:8 glc
	s_waitcnt vmcnt(0)
	v_cmp_eq_u64_e32 vcc, 0, v[6:7]
	v_pk_mov_b32 v[6:7], 0, 0
	s_and_saveexec_b64 s[18:19], vcc
	s_cbranch_execz .LBB5_566
; %bb.565:                              ;   in Loop: Header=BB5_551 Depth=5
	global_atomic_add v[30:31], v62, off offset:2048
	v_pk_mov_b32 v[6:7], v[10:11], v[10:11] op_sel:[0,1]
.LBB5_566:                              ;   in Loop: Header=BB5_551 Depth=5
	s_or_b64 exec, exec, s[18:19]
.LBB5_567:                              ;   in Loop: Header=BB5_551 Depth=5
	s_or_b64 exec, exec, s[12:13]
	v_readfirstlane_b32 s12, v6
	v_readfirstlane_b32 s13, v7
	s_cmp_lg_u64 s[12:13], 0
	s_cbranch_scc1 .LBB5_569
; %bb.568:                              ;   in Loop: Header=BB5_551 Depth=5
	s_mov_b64 s[22:23], 0
	s_sleep 2
.LBB5_569:                              ;   in Loop: Header=BB5_551 Depth=5
	s_mov_b64 s[18:19], 0
.LBB5_570:                              ;   in Loop: Header=BB5_551 Depth=5
	s_mov_b64 s[54:55], 0
.LBB5_571:                              ;   in Loop: Header=BB5_551 Depth=5
	s_and_b64 vcc, exec, s[22:23]
	s_cbranch_vccz .LBB5_551
; %bb.572:                              ;   in Loop: Header=BB5_372 Depth=4
	s_and_b64 vcc, exec, s[54:55]
	s_cbranch_vccnz .LBB5_494
; %bb.573:                              ;   in Loop: Header=BB5_372 Depth=4
	s_xor_b64 s[22:23], s[18:19], -1
	s_mov_b64 s[18:19], -1
	s_and_b64 vcc, exec, s[22:23]
	s_cbranch_vccz .LBB5_575
; %bb.574:                              ;   in Loop: Header=BB5_372 Depth=4
	s_mov_b64 s[18:19], 0
.LBB5_575:                              ;   in Loop: Header=BB5_372 Depth=4
	s_andn2_b64 vcc, exec, s[18:19]
	s_cbranch_vccnz .LBB5_494
; %bb.576:                              ;   in Loop: Header=BB5_372 Depth=4
	s_and_saveexec_b64 s[18:19], s[10:11]
	s_cbranch_execz .LBB5_604
; %bb.577:                              ;   in Loop: Header=BB5_372 Depth=4
	s_load_dwordx2 s[54:55], s[8:9], 0x50
	v_readfirstlane_b32 s12, v32
	v_cmp_eq_u32_e64 s[12:13], s12, v32
	v_pk_mov_b32 v[6:7], 0, 0
	s_and_saveexec_b64 s[22:23], s[12:13]
	s_cbranch_execz .LBB5_583
; %bb.578:                              ;   in Loop: Header=BB5_372 Depth=4
	s_waitcnt lgkmcnt(0)
	global_load_dwordx2 v[24:25], v8, s[54:55] offset:24 glc
	s_waitcnt vmcnt(0)
	buffer_invl2
	buffer_wbinvl1_vol
	global_load_dwordx2 v[6:7], v8, s[54:55] offset:40
	global_load_dwordx2 v[10:11], v8, s[54:55]
	s_waitcnt vmcnt(1)
	v_and_b32_e32 v6, v6, v24
	v_and_b32_e32 v7, v7, v25
	v_mul_lo_u32 v7, v7, 24
	v_mul_hi_u32 v9, v6, 24
	v_mul_lo_u32 v6, v6, 24
	v_add_u32_e32 v7, v9, v7
	s_waitcnt vmcnt(0)
	v_add_co_u32_e32 v6, vcc, v10, v6
	v_addc_co_u32_e32 v7, vcc, v11, v7, vcc
	global_load_dwordx2 v[22:23], v[6:7], off glc
	s_waitcnt vmcnt(0)
	global_atomic_cmpswap_x2 v[6:7], v8, v[22:25], s[54:55] offset:24 glc
	s_waitcnt vmcnt(0)
	buffer_invl2
	buffer_wbinvl1_vol
	v_cmp_ne_u64_e32 vcc, v[6:7], v[24:25]
	s_and_saveexec_b64 s[56:57], vcc
	s_cbranch_execz .LBB5_582
; %bb.579:                              ;   in Loop: Header=BB5_372 Depth=4
	s_mov_b64 s[58:59], 0
.LBB5_580:                              ;   Parent Loop BB5_3 Depth=1
                                        ;     Parent Loop BB5_6 Depth=2
                                        ;       Parent Loop BB5_340 Depth=3
                                        ;         Parent Loop BB5_372 Depth=4
                                        ; =>        This Inner Loop Header: Depth=5
	s_sleep 1
	global_load_dwordx2 v[10:11], v8, s[54:55] offset:40
	global_load_dwordx2 v[14:15], v8, s[54:55]
	v_pk_mov_b32 v[24:25], v[6:7], v[6:7] op_sel:[0,1]
	s_waitcnt vmcnt(1)
	v_and_b32_e32 v6, v10, v24
	s_waitcnt vmcnt(0)
	v_mad_u64_u32 v[6:7], vcc, v6, 24, v[14:15]
	v_and_b32_e32 v9, v11, v25
	v_mov_b32_e32 v10, v7
	v_mad_u64_u32 v[10:11], vcc, v9, 24, v[10:11]
	v_mov_b32_e32 v7, v10
	global_load_dwordx2 v[22:23], v[6:7], off glc
	s_waitcnt vmcnt(0)
	global_atomic_cmpswap_x2 v[6:7], v8, v[22:25], s[54:55] offset:24 glc
	s_waitcnt vmcnt(0)
	buffer_invl2
	buffer_wbinvl1_vol
	v_cmp_eq_u64_e32 vcc, v[6:7], v[24:25]
	s_or_b64 s[58:59], vcc, s[58:59]
	s_andn2_b64 exec, exec, s[58:59]
	s_cbranch_execnz .LBB5_580
; %bb.581:                              ;   in Loop: Header=BB5_372 Depth=4
	s_or_b64 exec, exec, s[58:59]
.LBB5_582:                              ;   in Loop: Header=BB5_372 Depth=4
	s_or_b64 exec, exec, s[56:57]
.LBB5_583:                              ;   in Loop: Header=BB5_372 Depth=4
	s_or_b64 exec, exec, s[22:23]
	s_waitcnt lgkmcnt(0)
	global_load_dwordx2 v[10:11], v8, s[54:55] offset:40
	global_load_dwordx4 v[22:25], v8, s[54:55]
	v_readfirstlane_b32 s56, v6
	v_readfirstlane_b32 s57, v7
	s_mov_b64 s[22:23], exec
	s_waitcnt vmcnt(1)
	v_readfirstlane_b32 vcc_lo, v10
	v_readfirstlane_b32 vcc_hi, v11
	s_and_b64 s[58:59], s[56:57], vcc
	s_mul_i32 s20, s59, 24
	s_mul_hi_u32 vcc_lo, s58, 24
	s_mul_i32 vcc_hi, s58, 24
	s_add_i32 s20, vcc_lo, s20
	v_mov_b32_e32 v7, s20
	s_waitcnt vmcnt(0)
	v_add_co_u32_e32 v6, vcc, vcc_hi, v22
	v_addc_co_u32_e32 v7, vcc, v23, v7, vcc
	s_and_saveexec_b64 vcc, s[12:13]
	s_cbranch_execz .LBB5_585
; %bb.584:                              ;   in Loop: Header=BB5_372 Depth=4
	v_pk_mov_b32 v[10:11], s[22:23], s[22:23] op_sel:[0,1]
	global_store_dwordx4 v[6:7], v[10:13], off offset:8
.LBB5_585:                              ;   in Loop: Header=BB5_372 Depth=4
	s_or_b64 exec, exec, vcc
	s_lshl_b64 s[22:23], s[58:59], 12
	v_mov_b32_e32 v9, s23
	v_add_co_u32_e32 v10, vcc, s22, v24
	s_mov_b32 s22, s21
	s_mov_b32 s23, s21
	v_addc_co_u32_e32 v9, vcc, v25, v9, vcc
	s_mov_b32 s20, s21
	v_pk_mov_b32 v[52:53], s[22:23], s[22:23] op_sel:[0,1]
	v_lshlrev_b32_e32 v11, 6, v32
	v_pk_mov_b32 v[14:15], s[14:15], s[14:15] op_sel:[0,1]
	v_readfirstlane_b32 s14, v10
	v_readfirstlane_b32 s15, v9
	v_pk_mov_b32 v[50:51], s[20:21], s[20:21] op_sel:[0,1]
	v_mov_b32_e32 v9, v8
	s_nop 2
	global_store_dwordx2 v11, v[14:15], s[14:15]
	global_store_dwordx4 v11, v[50:53], s[14:15] offset:8
	global_store_dwordx4 v11, v[50:53], s[14:15] offset:24
	;; [unrolled: 1-line block ×3, first 2 shown]
	global_store_dwordx2 v11, v[8:9], s[14:15] offset:56
	s_and_saveexec_b64 s[14:15], s[12:13]
	s_cbranch_execz .LBB5_593
; %bb.586:                              ;   in Loop: Header=BB5_372 Depth=4
	global_load_dwordx2 v[52:53], v8, s[54:55] offset:32 glc
	global_load_dwordx2 v[10:11], v8, s[54:55] offset:40
	v_mov_b32_e32 v50, s56
	v_mov_b32_e32 v51, s57
	s_waitcnt vmcnt(0)
	v_and_b32_e32 v9, s56, v10
	v_and_b32_e32 v10, s57, v11
	v_mul_lo_u32 v10, v10, 24
	v_mul_hi_u32 v11, v9, 24
	v_mul_lo_u32 v9, v9, 24
	v_add_u32_e32 v11, v11, v10
	v_add_co_u32_e32 v10, vcc, v22, v9
	v_addc_co_u32_e32 v11, vcc, v23, v11, vcc
	global_store_dwordx2 v[10:11], v[52:53], off
	buffer_wbl2
	s_waitcnt vmcnt(0)
	global_atomic_cmpswap_x2 v[24:25], v8, v[50:53], s[54:55] offset:32 glc
	s_waitcnt vmcnt(0)
	v_cmp_ne_u64_e32 vcc, v[24:25], v[52:53]
	s_and_saveexec_b64 s[22:23], vcc
	s_cbranch_execz .LBB5_589
; %bb.587:                              ;   in Loop: Header=BB5_372 Depth=4
	s_mov_b64 s[58:59], 0
.LBB5_588:                              ;   Parent Loop BB5_3 Depth=1
                                        ;     Parent Loop BB5_6 Depth=2
                                        ;       Parent Loop BB5_340 Depth=3
                                        ;         Parent Loop BB5_372 Depth=4
                                        ; =>        This Inner Loop Header: Depth=5
	s_sleep 1
	global_store_dwordx2 v[10:11], v[24:25], off
	v_mov_b32_e32 v22, s56
	v_mov_b32_e32 v23, s57
	buffer_wbl2
	s_waitcnt vmcnt(0)
	global_atomic_cmpswap_x2 v[14:15], v8, v[22:25], s[54:55] offset:32 glc
	s_waitcnt vmcnt(0)
	v_cmp_eq_u64_e32 vcc, v[14:15], v[24:25]
	s_or_b64 s[58:59], vcc, s[58:59]
	v_pk_mov_b32 v[24:25], v[14:15], v[14:15] op_sel:[0,1]
	s_andn2_b64 exec, exec, s[58:59]
	s_cbranch_execnz .LBB5_588
.LBB5_589:                              ;   in Loop: Header=BB5_372 Depth=4
	s_or_b64 exec, exec, s[22:23]
	global_load_dwordx2 v[10:11], v8, s[54:55] offset:16
	s_mov_b64 s[58:59], exec
	v_mbcnt_lo_u32_b32 v9, s58, 0
	v_mbcnt_hi_u32_b32 v9, s59, v9
	v_cmp_eq_u32_e32 vcc, 0, v9
	s_and_saveexec_b64 s[22:23], vcc
	s_cbranch_execz .LBB5_591
; %bb.590:                              ;   in Loop: Header=BB5_372 Depth=4
	s_bcnt1_i32_b64 s20, s[58:59]
	v_mov_b32_e32 v14, s20
	v_mov_b32_e32 v15, v8
	buffer_wbl2
	s_waitcnt vmcnt(0)
	global_atomic_add_x2 v[10:11], v[14:15], off offset:8
.LBB5_591:                              ;   in Loop: Header=BB5_372 Depth=4
	s_or_b64 exec, exec, s[22:23]
	s_waitcnt vmcnt(0)
	global_load_dwordx2 v[14:15], v[10:11], off offset:16
	s_waitcnt vmcnt(0)
	v_cmp_eq_u64_e32 vcc, 0, v[14:15]
	s_cbranch_vccnz .LBB5_593
; %bb.592:                              ;   in Loop: Header=BB5_372 Depth=4
	global_load_dword v10, v[10:11], off offset:24
	v_mov_b32_e32 v11, v8
	s_waitcnt vmcnt(0)
	v_and_b32_e32 v9, 0xffffff, v10
	v_readfirstlane_b32 m0, v9
	buffer_wbl2
	global_store_dwordx2 v[14:15], v[10:11], off
	s_sendmsg sendmsg(MSG_INTERRUPT)
.LBB5_593:                              ;   in Loop: Header=BB5_372 Depth=4
	s_or_b64 exec, exec, s[14:15]
.LBB5_594:                              ;   Parent Loop BB5_3 Depth=1
                                        ;     Parent Loop BB5_6 Depth=2
                                        ;       Parent Loop BB5_340 Depth=3
                                        ;         Parent Loop BB5_372 Depth=4
                                        ; =>        This Inner Loop Header: Depth=5
	v_mov_b32_e32 v9, 1
	s_and_saveexec_b64 s[14:15], s[12:13]
	s_cbranch_execz .LBB5_596
; %bb.595:                              ;   in Loop: Header=BB5_594 Depth=5
	global_load_dword v9, v[6:7], off offset:20 glc
	s_waitcnt vmcnt(0)
	buffer_invl2
	buffer_wbinvl1_vol
	v_and_b32_e32 v9, 1, v9
.LBB5_596:                              ;   in Loop: Header=BB5_594 Depth=5
	s_or_b64 exec, exec, s[14:15]
	v_readfirstlane_b32 s14, v9
	s_cmp_eq_u32 s14, 0
	s_cbranch_scc1 .LBB5_598
; %bb.597:                              ;   in Loop: Header=BB5_594 Depth=5
	s_mov_b64 s[14:15], 0
	s_sleep 1
	s_branch .LBB5_599
.LBB5_598:                              ;   in Loop: Header=BB5_594 Depth=5
	s_mov_b64 s[14:15], -1
.LBB5_599:                              ;   in Loop: Header=BB5_594 Depth=5
	s_andn2_b64 vcc, exec, s[14:15]
	s_cbranch_vccnz .LBB5_594
; %bb.600:                              ;   in Loop: Header=BB5_372 Depth=4
	s_and_b64 exec, exec, s[12:13]
	s_cbranch_execz .LBB5_604
; %bb.601:                              ;   in Loop: Header=BB5_372 Depth=4
	global_load_dwordx2 v[6:7], v8, s[54:55] offset:40
	global_load_dwordx2 v[10:11], v8, s[54:55] offset:24 glc
	global_load_dwordx2 v[14:15], v8, s[54:55]
	v_mov_b32_e32 v9, s57
	s_waitcnt vmcnt(2)
	v_add_co_u32_e32 v17, vcc, 1, v6
	v_addc_co_u32_e32 v21, vcc, 0, v7, vcc
	v_add_co_u32_e32 v18, vcc, s56, v17
	v_addc_co_u32_e32 v19, vcc, v21, v9, vcc
	v_cmp_eq_u64_e32 vcc, 0, v[18:19]
	v_cndmask_b32_e32 v23, v19, v21, vcc
	v_cndmask_b32_e32 v22, v18, v17, vcc
	v_and_b32_e32 v7, v23, v7
	v_and_b32_e32 v6, v22, v6
	v_mul_lo_u32 v7, v7, 24
	v_mul_hi_u32 v9, v6, 24
	v_mul_lo_u32 v6, v6, 24
	v_add_u32_e32 v7, v9, v7
	s_waitcnt vmcnt(0)
	v_add_co_u32_e32 v6, vcc, v14, v6
	v_addc_co_u32_e32 v7, vcc, v15, v7, vcc
	v_mov_b32_e32 v24, v10
	global_store_dwordx2 v[6:7], v[10:11], off
	v_mov_b32_e32 v25, v11
	buffer_wbl2
	s_waitcnt vmcnt(0)
	global_atomic_cmpswap_x2 v[24:25], v8, v[22:25], s[54:55] offset:24 glc
	s_waitcnt vmcnt(0)
	v_cmp_ne_u64_e32 vcc, v[24:25], v[10:11]
	s_and_b64 exec, exec, vcc
	s_cbranch_execz .LBB5_604
; %bb.602:                              ;   in Loop: Header=BB5_372 Depth=4
	s_mov_b64 s[12:13], 0
.LBB5_603:                              ;   Parent Loop BB5_3 Depth=1
                                        ;     Parent Loop BB5_6 Depth=2
                                        ;       Parent Loop BB5_340 Depth=3
                                        ;         Parent Loop BB5_372 Depth=4
                                        ; =>        This Inner Loop Header: Depth=5
	s_sleep 1
	global_store_dwordx2 v[6:7], v[24:25], off
	buffer_wbl2
	s_waitcnt vmcnt(0)
	global_atomic_cmpswap_x2 v[10:11], v8, v[22:25], s[54:55] offset:24 glc
	s_waitcnt vmcnt(0)
	v_cmp_eq_u64_e32 vcc, v[10:11], v[24:25]
	s_or_b64 s[12:13], vcc, s[12:13]
	v_pk_mov_b32 v[24:25], v[10:11], v[10:11] op_sel:[0,1]
	s_andn2_b64 exec, exec, s[12:13]
	s_cbranch_execnz .LBB5_603
.LBB5_604:                              ;   in Loop: Header=BB5_372 Depth=4
	s_or_b64 exec, exec, s[18:19]
	s_mov_b64 s[18:19], -1
	s_mov_b64 s[12:13], s[16:17]
	s_branch .LBB5_494
.LBB5_605:                              ;   in Loop: Header=BB5_340 Depth=3
	s_cmp_lg_u64 s[16:17], 1
	s_cselect_b64 s[10:11], -1, 0
	s_and_b64 vcc, exec, s[10:11]
	s_cbranch_vccz .LBB5_607
; %bb.606:                              ;   in Loop: Header=BB5_340 Depth=3
	v_pk_mov_b32 v[0:1], s[16:17], s[16:17] op_sel:[0,1]
	v_pk_mov_b32 v[6:7], s[16:17], s[16:17] op_sel:[0,1]
	s_branch .LBB5_627
.LBB5_607:                              ;   in Loop: Header=BB5_340 Depth=3
	v_mbcnt_lo_u32_b32 v6, exec_lo, 0
	v_mbcnt_hi_u32_b32 v6, exec_hi, v6
	v_cmp_eq_u32_e32 vcc, 0, v6
	s_and_saveexec_b64 s[12:13], vcc
	s_cbranch_execz .LBB5_624
; %bb.608:                              ;   in Loop: Header=BB5_340 Depth=3
	global_load_dwordx2 v[6:7], v[38:39], off glc
	s_memrealtime s[14:15]
	s_waitcnt lgkmcnt(0)
	v_mov_b32_e32 v9, s15
	s_waitcnt vmcnt(0)
	v_sub_co_u32_e32 v6, vcc, s14, v6
	v_subb_co_u32_e32 v7, vcc, v9, v7, vcc
	v_cmp_gt_u64_e32 vcc, s[46:47], v[6:7]
	s_and_b64 exec, exec, vcc
	s_cbranch_execz .LBB5_624
; %bb.609:                              ;   in Loop: Header=BB5_340 Depth=3
	s_memrealtime s[16:17]
	v_sub_u32_e32 v6, 0x4e20, v6
	v_readfirstlane_b32 s14, v6
	s_ashr_i32 s15, s14, 31
	s_waitcnt lgkmcnt(0)
	s_add_u32 s14, s16, s14
	s_addc_u32 s15, s17, s15
.LBB5_610:                              ;   Parent Loop BB5_3 Depth=1
                                        ;     Parent Loop BB5_6 Depth=2
                                        ;       Parent Loop BB5_340 Depth=3
                                        ; =>      This Inner Loop Header: Depth=4
	s_waitcnt lgkmcnt(0)
	s_add_u32 s18, s16, 0x659
	s_addc_u32 s19, s17, 0
	v_pk_mov_b32 v[6:7], s[18:19], s[18:19] op_sel:[0,1]
	v_cmp_le_u64_e32 vcc, s[14:15], v[6:7]
	s_cbranch_vccnz .LBB5_613
; %bb.611:                              ;   in Loop: Header=BB5_610 Depth=4
	s_sleep 0x7f
	s_memrealtime s[16:17]
	s_branch .LBB5_610
.LBB5_612:                              ;   in Loop: Header=BB5_613 Depth=4
	s_sleep 63
	s_memrealtime s[16:17]
.LBB5_613:                              ;   Parent Loop BB5_3 Depth=1
                                        ;     Parent Loop BB5_6 Depth=2
                                        ;       Parent Loop BB5_340 Depth=3
                                        ; =>      This Inner Loop Header: Depth=4
	s_waitcnt lgkmcnt(0)
	s_add_u32 s18, s16, 0x326
	s_addc_u32 s19, s17, 0
	v_pk_mov_b32 v[6:7], s[18:19], s[18:19] op_sel:[0,1]
	v_cmp_le_u64_e32 vcc, s[14:15], v[6:7]
	s_cbranch_vccz .LBB5_612
; %bb.614:                              ;   in Loop: Header=BB5_340 Depth=3
	s_add_u32 s18, s16, 0x18c
	s_addc_u32 s19, s17, 0
	v_pk_mov_b32 v[6:7], s[18:19], s[18:19] op_sel:[0,1]
	v_cmp_le_u64_e32 vcc, s[14:15], v[6:7]
	s_cbranch_vccnz .LBB5_617
.LBB5_615:                              ;   Parent Loop BB5_3 Depth=1
                                        ;     Parent Loop BB5_6 Depth=2
                                        ;       Parent Loop BB5_340 Depth=3
                                        ; =>      This Inner Loop Header: Depth=4
	s_sleep 31
	s_memrealtime s[16:17]
	s_waitcnt lgkmcnt(0)
	s_add_u32 s18, s16, 0x18c
	s_addc_u32 s19, s17, 0
	v_pk_mov_b32 v[6:7], s[18:19], s[18:19] op_sel:[0,1]
	v_cmp_gt_u64_e32 vcc, s[14:15], v[6:7]
	s_cbranch_vccnz .LBB5_615
	s_branch .LBB5_617
.LBB5_616:                              ;   in Loop: Header=BB5_617 Depth=4
	s_sleep 15
	s_memrealtime s[16:17]
.LBB5_617:                              ;   Parent Loop BB5_3 Depth=1
                                        ;     Parent Loop BB5_6 Depth=2
                                        ;       Parent Loop BB5_340 Depth=3
                                        ; =>      This Inner Loop Header: Depth=4
	s_waitcnt lgkmcnt(0)
	s_add_u32 s18, s16, 0xc0
	s_addc_u32 s19, s17, 0
	v_pk_mov_b32 v[6:7], s[18:19], s[18:19] op_sel:[0,1]
	v_cmp_le_u64_e32 vcc, s[14:15], v[6:7]
	s_cbranch_vccz .LBB5_616
	s_branch .LBB5_619
.LBB5_618:                              ;   in Loop: Header=BB5_619 Depth=4
	s_sleep 7
	s_memrealtime s[16:17]
.LBB5_619:                              ;   Parent Loop BB5_3 Depth=1
                                        ;     Parent Loop BB5_6 Depth=2
                                        ;       Parent Loop BB5_340 Depth=3
                                        ; =>      This Inner Loop Header: Depth=4
	s_waitcnt lgkmcnt(0)
	s_add_u32 s18, s16, 0x59
	s_addc_u32 s19, s17, 0
	v_pk_mov_b32 v[6:7], s[18:19], s[18:19] op_sel:[0,1]
	v_cmp_le_u64_e32 vcc, s[14:15], v[6:7]
	s_cbranch_vccz .LBB5_618
	;; [unrolled: 14-line block ×3, first 2 shown]
; %bb.622:                              ;   in Loop: Header=BB5_340 Depth=3
	v_pk_mov_b32 v[6:7], s[16:17], s[16:17] op_sel:[0,1]
	v_cmp_le_u64_e32 vcc, s[14:15], v[6:7]
	s_cbranch_vccnz .LBB5_624
.LBB5_623:                              ;   Parent Loop BB5_3 Depth=1
                                        ;     Parent Loop BB5_6 Depth=2
                                        ;       Parent Loop BB5_340 Depth=3
                                        ; =>      This Inner Loop Header: Depth=4
	s_sleep 1
	s_memrealtime s[16:17]
	s_waitcnt lgkmcnt(0)
	v_pk_mov_b32 v[6:7], s[16:17], s[16:17] op_sel:[0,1]
	v_cmp_gt_u64_e32 vcc, s[14:15], v[6:7]
	s_cbranch_vccnz .LBB5_623
.LBB5_624:                              ;   in Loop: Header=BB5_340 Depth=3
	s_or_b64 exec, exec, s[12:13]
	v_mov_b32_e32 v6, s87
	s_and_saveexec_b64 s[12:13], s[6:7]
	s_cbranch_execz .LBB5_626
; %bb.625:                              ;   in Loop: Header=BB5_340 Depth=3
	global_load_dword v6, v[30:31], off offset:2048 glc
.LBB5_626:                              ;   in Loop: Header=BB5_340 Depth=3
	s_or_b64 exec, exec, s[12:13]
	s_waitcnt vmcnt(0)
	v_readfirstlane_b32 s87, v6
.LBB5_627:                              ;   in Loop: Header=BB5_340 Depth=3
	v_pk_mov_b32 v[6:7], v[0:1], v[0:1] op_sel:[0,1]
.LBB5_628:                              ;   in Loop: Header=BB5_340 Depth=3
	s_and_b64 vcc, exec, s[10:11]
	s_cbranch_vccz .LBB5_340
.LBB5_629:                              ;   in Loop: Header=BB5_6 Depth=2
	v_readfirstlane_b32 s12, v6
	v_readfirstlane_b32 s13, v7
	s_cmp_eq_u64 s[12:13], 0
	v_mov_b32_e32 v9, 0
	v_mov_b32_e32 v1, 0
	s_cbranch_scc1 .LBB5_650
; %bb.630:                              ;   in Loop: Header=BB5_6 Depth=2
	s_nop 0
	global_load_dwordx2 v[0:1], v8, s[12:13] offset:8 glc
	s_mov_b64 s[6:7], exec
	v_mbcnt_lo_u32_b32 v9, exec_lo, 0
	v_mbcnt_hi_u32_b32 v9, s7, v9
	v_mov_b32_e32 v6, 0
	v_cmp_eq_u32_e32 vcc, 0, v9
	s_waitcnt vmcnt(0)
	global_load_dword v7, v[0:1], off
	s_waitcnt vmcnt(0)
	v_readfirstlane_b32 s20, v7
	s_and_saveexec_b64 s[10:11], vcc
	s_cbranch_execz .LBB5_634
; %bb.631:                              ;   in Loop: Header=BB5_6 Depth=2
	s_mov_b64 s[16:17], exec
	v_mbcnt_lo_u32_b32 v6, s16, 0
	v_mbcnt_hi_u32_b32 v6, s17, v6
	s_bcnt1_i32_b64 s18, s[6:7]
	v_cmp_eq_u32_e64 s[6:7], 0, v6
                                        ; implicit-def: $vgpr7
	s_and_saveexec_b64 s[14:15], s[6:7]
	s_cbranch_execz .LBB5_633
; %bb.632:                              ;   in Loop: Header=BB5_6 Depth=2
	s_bcnt1_i32_b64 s6, s[16:17]
	s_mul_i32 s6, s18, s6
	v_mov_b32_e32 v7, s6
	global_atomic_add v7, v[0:1], v7, off offset:8 glc
.LBB5_633:                              ;   in Loop: Header=BB5_6 Depth=2
	s_or_b64 exec, exec, s[14:15]
	s_waitcnt vmcnt(0)
	v_readfirstlane_b32 s6, v7
	v_mov_b32_e32 v7, s6
	v_mad_u32_u24 v6, s18, v6, v7
.LBB5_634:                              ;   in Loop: Header=BB5_6 Depth=2
	s_or_b64 exec, exec, s[10:11]
	s_lshl_b64 s[10:11], s[20:21], 5
	s_getpc_b64 s[6:7]
	s_add_u32 s6, s6, __unnamed_1@rel32@lo+4
	s_addc_u32 s7, s7, __unnamed_1@rel32@hi+12
	s_add_u32 s6, s10, s6
	s_addc_u32 s7, s11, s7
	s_load_dword s14, s[6:7], 0x0
	v_readfirstlane_b32 s6, v6
	v_pk_mov_b32 v[6:7], 0, 0
	s_waitcnt lgkmcnt(0)
	s_add_i32 s7, s14, 31
	s_cmp_lt_u32 s7, 32
	s_cbranch_scc1 .LBB5_644
; %bb.635:                              ;   in Loop: Header=BB5_6 Depth=2
	v_cvt_f32_u32_e32 v6, s14
	s_lshr_b32 s54, s7, 5
	s_getpc_b64 s[16:17]
	s_add_u32 s16, s16, __unnamed_1@rel32@lo+32
	s_addc_u32 s17, s17, __unnamed_1@rel32@hi+40
	s_add_u32 s16, s10, s16
	v_rcp_iflag_f32_e32 v6, v6
	s_addc_u32 s17, s11, s17
	s_load_dword s7, s[16:17], 0x0
	v_add_u32_e32 v7, s6, v9
	v_mul_f32_e32 v6, 0x4f7ffffe, v6
	v_cvt_u32_f32_e32 v6, v6
	s_sub_i32 s6, 0, s14
	s_waitcnt lgkmcnt(0)
	v_mul_lo_u32 v7, s7, v7
	s_mov_b64 s[16:17], 0
	v_mul_lo_u32 v9, s6, v6
	v_mul_hi_u32 v9, v6, v9
	v_add_u32_e32 v6, v6, v9
	v_mul_hi_u32 v6, v7, v6
	v_mul_lo_u32 v6, v6, s14
	v_sub_u32_e32 v6, v7, v6
	v_subrev_u32_e32 v7, s14, v6
	v_cmp_le_u32_e64 s[6:7], s14, v6
	v_cndmask_b32_e64 v6, v6, v7, s[6:7]
	v_subrev_u32_e32 v7, s14, v6
	v_cmp_le_u32_e64 s[6:7], s14, v6
	v_cndmask_b32_e64 v6, v6, v7, s[6:7]
	v_lshrrev_b32_e32 v10, 5, v6
	v_cvt_f32_u32_e32 v6, s54
	s_getpc_b64 s[6:7]
	s_add_u32 s6, s6, __unnamed_1@rel32@lo+16
	s_addc_u32 s7, s7, __unnamed_1@rel32@hi+24
	s_add_u32 s14, s10, s6
	s_addc_u32 s15, s11, s7
	v_rcp_iflag_f32_e32 v6, v6
	s_lshr_b32 s6, s20, 1
	s_add_i32 s6, s6, 4
	s_lshl_b32 s6, 1, s6
	s_bfe_i32 s7, s20, 0x10000
	s_lshr_b32 s10, s6, 1
	v_mul_f32_e32 v6, 0x4f7ffffe, v6
	s_and_b32 s20, s7, s10
	v_cvt_u32_f32_e32 v6, v6
	s_add_i32 s20, s20, s6
	v_add_co_u32_e64 v9, s[6:7], 16, v0
	v_addc_co_u32_e64 v17, s[6:7], 0, v1, s[6:7]
	s_sub_i32 s6, 0, s54
	v_mul_lo_u32 v7, s6, v6
	v_mul_hi_u32 v7, v6, v7
	v_add_u32_e32 v18, v6, v7
	s_add_i32 s55, s54, -1
	v_pk_mov_b32 v[6:7], 0, 0
.LBB5_636:                              ;   Parent Loop BB5_3 Depth=1
                                        ;     Parent Loop BB5_6 Depth=2
                                        ; =>    This Inner Loop Header: Depth=3
	v_mov_b32_e32 v11, v8
	v_lshlrev_b64 v[14:15], 2, v[10:11]
	v_add_co_u32_e64 v14, s[6:7], v9, v14
	v_addc_co_u32_e64 v15, s[6:7], v17, v15, s[6:7]
	global_load_dword v19, v[14:15], off glc
	s_mov_b64 s[10:11], -1
                                        ; implicit-def: $vgpr11
	s_waitcnt vmcnt(0)
	v_cmp_ne_u32_e64 s[6:7], -1, v19
	s_and_saveexec_b64 s[18:19], s[6:7]
	s_cbranch_execz .LBB5_640
; %bb.637:                              ;   in Loop: Header=BB5_636 Depth=3
	v_not_b32_e32 v11, v19
	v_ffbl_b32_e32 v11, v11
	v_min_u32_e32 v19, 32, v11
	v_lshlrev_b32_e64 v11, v19, 1
	global_atomic_or v14, v[14:15], v11, off glc
	s_waitcnt vmcnt(0)
	v_and_b32_e32 v11, v14, v11
	v_cmp_ne_u32_e64 s[6:7], 0, v11
	v_cmp_eq_u32_e64 s[10:11], 0, v11
	v_mov_b32_e32 v11, 0
	s_and_saveexec_b64 s[22:23], s[10:11]
	s_cbranch_execz .LBB5_639
; %bb.638:                              ;   in Loop: Header=BB5_636 Depth=3
	s_load_dword s10, s[14:15], 0x0
	v_lshl_add_u32 v6, v10, 5, v19
	v_mul_lo_u32 v6, v6, s20
	s_waitcnt lgkmcnt(0)
	v_add_co_u32_e64 v7, s[10:11], s10, v0
	v_addc_co_u32_e64 v11, s[10:11], 0, v1, s[10:11]
	v_add_co_u32_e64 v6, s[10:11], v7, v6
	v_addc_co_u32_e64 v7, s[10:11], 0, v11, s[10:11]
	v_mov_b32_e32 v11, 2
.LBB5_639:                              ;   in Loop: Header=BB5_636 Depth=3
	s_or_b64 exec, exec, s[22:23]
	s_orn2_b64 s[10:11], s[6:7], exec
.LBB5_640:                              ;   in Loop: Header=BB5_636 Depth=3
	s_or_b64 exec, exec, s[18:19]
	s_and_saveexec_b64 s[18:19], s[10:11]
; %bb.641:                              ;   in Loop: Header=BB5_636 Depth=3
	v_add_u32_e32 v10, 1, v10
	v_mul_hi_u32 v11, v10, v18
	v_mul_lo_u32 v11, v11, s54
	v_sub_u32_e32 v10, v10, v11
	v_subrev_u32_e32 v11, s54, v10
	v_cmp_le_u32_e64 s[6:7], s54, v10
	v_cndmask_b32_e64 v10, v10, v11, s[6:7]
	v_subrev_u32_e32 v11, s54, v10
	v_cmp_le_u32_e64 s[6:7], s54, v10
	v_cndmask_b32_e64 v10, v10, v11, s[6:7]
	v_mov_b32_e32 v11, 0
; %bb.642:                              ;   in Loop: Header=BB5_636 Depth=3
	s_or_b64 exec, exec, s[18:19]
	s_cmp_eq_u32 s55, 0
	v_cmp_ne_u32_e64 s[6:7], 0, v11
	s_cselect_b64 s[10:11], -1, 0
	s_or_b64 s[6:7], s[6:7], s[10:11]
	s_add_i32 s55, s55, -1
	s_and_b64 s[6:7], exec, s[6:7]
	s_or_b64 s[16:17], s[6:7], s[16:17]
	s_andn2_b64 exec, exec, s[16:17]
	s_cbranch_execnz .LBB5_636
; %bb.643:                              ;   in Loop: Header=BB5_6 Depth=2
	s_or_b64 exec, exec, s[16:17]
.LBB5_644:                              ;   in Loop: Header=BB5_6 Depth=2
	v_cmp_ne_u64_e64 s[6:7], 0, v[6:7]
	s_and_saveexec_b64 s[10:11], vcc
	s_cbranch_execz .LBB5_647
; %bb.645:                              ;   in Loop: Header=BB5_6 Depth=2
	s_mov_b64 s[14:15], exec
	v_mbcnt_lo_u32_b32 v0, s14, 0
	v_mbcnt_hi_u32_b32 v0, s15, v0
	v_cmp_eq_u32_e32 vcc, 0, v0
	s_and_b64 s[16:17], exec, vcc
	s_mov_b64 exec, s[16:17]
	s_cbranch_execz .LBB5_647
; %bb.646:                              ;   in Loop: Header=BB5_6 Depth=2
	s_bcnt1_i32_b64 s6, s[6:7]
	s_bcnt1_i32_b64 s7, s[14:15]
	s_mul_i32 s6, s6, s7
	v_mov_b32_e32 v0, s6
	global_atomic_add v8, v0, s[12:13] offset:16
.LBB5_647:                              ;   in Loop: Header=BB5_6 Depth=2
	s_or_b64 exec, exec, s[10:11]
	v_pk_mov_b32 v[0:1], 0, 0
	v_accvgpr_write_b32 a17, v1
	v_cmp_ne_u64_e32 vcc, 0, v[6:7]
	v_accvgpr_write_b32 a16, v0
	v_mov_b32_e32 v9, 1
	s_and_saveexec_b64 s[6:7], vcc
; %bb.648:                              ;   in Loop: Header=BB5_6 Depth=2
	v_accvgpr_write_b32 a17, v7
	v_mov_b32_e32 v9, 0
	v_accvgpr_write_b32 a16, v6
	v_mov_b32_e32 v27, 0
; %bb.649:                              ;   in Loop: Header=BB5_6 Depth=2
	s_or_b64 exec, exec, s[6:7]
	v_mov_b32_e32 v1, v27
.LBB5_650:                              ;   in Loop: Header=BB5_6 Depth=2
	v_mov_b32_e32 v27, v1
	v_accvgpr_read_b32 v0, a16
	v_accvgpr_read_b32 v1, a17
.LBB5_651:                              ;   in Loop: Header=BB5_6 Depth=2
	s_or_b64 exec, exec, s[52:53]
	v_mov_b32_e32 v6, v9
	;;#ASMSTART
	;;#ASMEND
	v_cmp_ne_u32_e32 vcc, 0, v6
	s_cbranch_vccnz .LBB5_6
.LBB5_652:                              ;   in Loop: Header=BB5_3 Depth=1
	s_or_b64 exec, exec, s[50:51]
.LBB5_653:                              ;   in Loop: Header=BB5_3 Depth=1
	s_or_b64 exec, exec, s[48:49]
	v_mov_b32_e32 v6, v27
	;;#ASMSTART
	;;#ASMEND
	v_cmp_ne_u32_e32 vcc, 0, v6
	s_cbranch_vccnz .LBB5_3
; %bb.654:
                                        ; implicit-def: $vgpr2_vgpr3
                                        ; implicit-def: $vgpr9
.LBB5_655:
	s_andn2_saveexec_b64 s[6:7], s[26:27]
	s_cbranch_execz .LBB5_687
; %bb.656:
	s_load_dwordx2 s[10:11], s[8:9], 0x50
	v_mbcnt_hi_u32_b32 v1, -1, v9
	v_readfirstlane_b32 s4, v1
	v_cmp_eq_u32_e64 s[4:5], s4, v1
	v_pk_mov_b32 v[8:9], 0, 0
	s_and_saveexec_b64 s[12:13], s[4:5]
	s_cbranch_execz .LBB5_662
; %bb.657:
	v_mov_b32_e32 v0, 0
	s_waitcnt lgkmcnt(0)
	global_load_dwordx2 v[6:7], v0, s[10:11] offset:24 glc
	s_waitcnt vmcnt(0)
	buffer_invl2
	buffer_wbinvl1_vol
	global_load_dwordx2 v[4:5], v0, s[10:11] offset:40
	global_load_dwordx2 v[8:9], v0, s[10:11]
	s_waitcnt vmcnt(1)
	v_and_b32_e32 v4, v4, v6
	v_and_b32_e32 v5, v5, v7
	v_mul_lo_u32 v5, v5, 24
	v_mul_hi_u32 v10, v4, 24
	v_mul_lo_u32 v4, v4, 24
	v_add_u32_e32 v5, v10, v5
	s_waitcnt vmcnt(0)
	v_add_co_u32_e32 v4, vcc, v8, v4
	v_addc_co_u32_e32 v5, vcc, v9, v5, vcc
	global_load_dwordx2 v[4:5], v[4:5], off glc
	s_waitcnt vmcnt(0)
	global_atomic_cmpswap_x2 v[8:9], v0, v[4:7], s[10:11] offset:24 glc
	s_waitcnt vmcnt(0)
	buffer_invl2
	buffer_wbinvl1_vol
	v_cmp_ne_u64_e32 vcc, v[8:9], v[6:7]
	s_and_saveexec_b64 s[14:15], vcc
	s_cbranch_execz .LBB5_661
; %bb.658:
	s_mov_b64 s[16:17], 0
.LBB5_659:                              ; =>This Inner Loop Header: Depth=1
	s_sleep 1
	global_load_dwordx2 v[4:5], v0, s[10:11] offset:40
	global_load_dwordx2 v[10:11], v0, s[10:11]
	v_pk_mov_b32 v[6:7], v[8:9], v[8:9] op_sel:[0,1]
	s_waitcnt vmcnt(1)
	v_and_b32_e32 v4, v4, v6
	v_and_b32_e32 v9, v5, v7
	s_waitcnt vmcnt(0)
	v_mad_u64_u32 v[4:5], s[18:19], v4, 24, v[10:11]
	v_mov_b32_e32 v8, v5
	v_mad_u64_u32 v[8:9], s[18:19], v9, 24, v[8:9]
	v_mov_b32_e32 v5, v8
	global_load_dwordx2 v[4:5], v[4:5], off glc
	s_waitcnt vmcnt(0)
	global_atomic_cmpswap_x2 v[8:9], v0, v[4:7], s[10:11] offset:24 glc
	s_waitcnt vmcnt(0)
	buffer_invl2
	buffer_wbinvl1_vol
	v_cmp_eq_u64_e32 vcc, v[8:9], v[6:7]
	s_or_b64 s[16:17], vcc, s[16:17]
	s_andn2_b64 exec, exec, s[16:17]
	s_cbranch_execnz .LBB5_659
; %bb.660:
	s_or_b64 exec, exec, s[16:17]
.LBB5_661:
	s_or_b64 exec, exec, s[14:15]
.LBB5_662:
	s_or_b64 exec, exec, s[12:13]
	v_mov_b32_e32 v0, 0
	s_waitcnt lgkmcnt(0)
	global_load_dwordx2 v[10:11], v0, s[10:11] offset:40
	global_load_dwordx4 v[4:7], v0, s[10:11]
	v_readfirstlane_b32 s12, v8
	v_readfirstlane_b32 s13, v9
	s_mov_b64 s[14:15], exec
	s_waitcnt vmcnt(1)
	v_readfirstlane_b32 s16, v10
	v_readfirstlane_b32 s17, v11
	s_and_b64 s[16:17], s[12:13], s[16:17]
	s_mul_i32 s18, s17, 24
	s_mul_hi_u32 s19, s16, 24
	s_mul_i32 s20, s16, 24
	s_add_i32 s18, s19, s18
	v_mov_b32_e32 v9, s18
	s_waitcnt vmcnt(0)
	v_add_co_u32_e32 v8, vcc, s20, v4
	v_addc_co_u32_e32 v9, vcc, v5, v9, vcc
	s_and_saveexec_b64 s[18:19], s[4:5]
	s_cbranch_execz .LBB5_664
; %bb.663:
	v_pk_mov_b32 v[10:11], s[14:15], s[14:15] op_sel:[0,1]
	v_mov_b32_e32 v12, 3
	v_mov_b32_e32 v13, 1
	global_store_dwordx4 v[8:9], v[10:13], off offset:8
.LBB5_664:
	s_or_b64 exec, exec, s[18:19]
	s_lshl_b64 s[14:15], s[16:17], 12
	v_mov_b32_e32 v11, s15
	v_add_co_u32_e32 v10, vcc, s14, v6
	v_addc_co_u32_e32 v11, vcc, v7, v11, vcc
	s_mov_b32 s16, 0
	v_lshlrev_b32_e32 v12, 6, v1
	v_mov_b32_e32 v1, v0
	v_readfirstlane_b32 s14, v10
	v_readfirstlane_b32 s15, v11
	s_mov_b32 s17, s16
	v_add_co_u32_e32 v6, vcc, v10, v12
	s_mov_b32 s18, s16
	s_mov_b32 s19, s16
	s_nop 0
	global_store_dwordx4 v12, v[0:3], s[14:15]
	v_addc_co_u32_e32 v7, vcc, 0, v11, vcc
	v_pk_mov_b32 v[0:1], s[16:17], s[16:17] op_sel:[0,1]
	v_pk_mov_b32 v[2:3], s[18:19], s[18:19] op_sel:[0,1]
	global_store_dwordx4 v12, v[0:3], s[14:15] offset:16
	global_store_dwordx4 v12, v[0:3], s[14:15] offset:32
	;; [unrolled: 1-line block ×3, first 2 shown]
	s_and_saveexec_b64 s[14:15], s[4:5]
	s_cbranch_execz .LBB5_672
; %bb.665:
	v_mov_b32_e32 v10, 0
	global_load_dwordx2 v[14:15], v10, s[10:11] offset:32 glc
	global_load_dwordx2 v[0:1], v10, s[10:11] offset:40
	v_mov_b32_e32 v12, s12
	v_mov_b32_e32 v13, s13
	s_waitcnt vmcnt(0)
	v_and_b32_e32 v0, s12, v0
	v_and_b32_e32 v1, s13, v1
	v_mul_lo_u32 v1, v1, 24
	v_mul_hi_u32 v2, v0, 24
	v_mul_lo_u32 v0, v0, 24
	v_add_u32_e32 v1, v2, v1
	v_add_co_u32_e32 v4, vcc, v4, v0
	v_addc_co_u32_e32 v5, vcc, v5, v1, vcc
	global_store_dwordx2 v[4:5], v[14:15], off
	buffer_wbl2
	s_waitcnt vmcnt(0)
	global_atomic_cmpswap_x2 v[2:3], v10, v[12:15], s[10:11] offset:32 glc
	s_waitcnt vmcnt(0)
	v_cmp_ne_u64_e32 vcc, v[2:3], v[14:15]
	s_and_saveexec_b64 s[16:17], vcc
	s_cbranch_execz .LBB5_668
; %bb.666:
	s_mov_b64 s[18:19], 0
.LBB5_667:                              ; =>This Inner Loop Header: Depth=1
	s_sleep 1
	global_store_dwordx2 v[4:5], v[2:3], off
	v_mov_b32_e32 v0, s12
	v_mov_b32_e32 v1, s13
	buffer_wbl2
	s_waitcnt vmcnt(0)
	global_atomic_cmpswap_x2 v[0:1], v10, v[0:3], s[10:11] offset:32 glc
	s_waitcnt vmcnt(0)
	v_cmp_eq_u64_e32 vcc, v[0:1], v[2:3]
	s_or_b64 s[18:19], vcc, s[18:19]
	v_pk_mov_b32 v[2:3], v[0:1], v[0:1] op_sel:[0,1]
	s_andn2_b64 exec, exec, s[18:19]
	s_cbranch_execnz .LBB5_667
.LBB5_668:
	s_or_b64 exec, exec, s[16:17]
	v_mov_b32_e32 v3, 0
	global_load_dwordx2 v[0:1], v3, s[10:11] offset:16
	s_mov_b64 s[16:17], exec
	v_mbcnt_lo_u32_b32 v2, s16, 0
	v_mbcnt_hi_u32_b32 v2, s17, v2
	v_cmp_eq_u32_e32 vcc, 0, v2
	s_and_saveexec_b64 s[18:19], vcc
	s_cbranch_execz .LBB5_670
; %bb.669:
	s_bcnt1_i32_b64 s16, s[16:17]
	v_mov_b32_e32 v2, s16
	buffer_wbl2
	s_waitcnt vmcnt(0)
	global_atomic_add_x2 v[0:1], v[2:3], off offset:8
.LBB5_670:
	s_or_b64 exec, exec, s[18:19]
	s_waitcnt vmcnt(0)
	global_load_dwordx2 v[2:3], v[0:1], off offset:16
	s_waitcnt vmcnt(0)
	v_cmp_eq_u64_e32 vcc, 0, v[2:3]
	s_cbranch_vccnz .LBB5_672
; %bb.671:
	global_load_dword v0, v[0:1], off offset:24
	v_mov_b32_e32 v1, 0
	buffer_wbl2
	s_waitcnt vmcnt(0)
	global_store_dwordx2 v[2:3], v[0:1], off
	v_and_b32_e32 v0, 0xffffff, v0
	v_readfirstlane_b32 m0, v0
	s_sendmsg sendmsg(MSG_INTERRUPT)
.LBB5_672:
	s_or_b64 exec, exec, s[14:15]
.LBB5_673:                              ; =>This Inner Loop Header: Depth=1
	v_mov_b32_e32 v0, 1
	s_and_saveexec_b64 s[14:15], s[4:5]
	s_cbranch_execz .LBB5_675
; %bb.674:                              ;   in Loop: Header=BB5_673 Depth=1
	global_load_dword v0, v[8:9], off offset:20 glc
	s_waitcnt vmcnt(0)
	buffer_invl2
	buffer_wbinvl1_vol
	v_and_b32_e32 v0, 1, v0
.LBB5_675:                              ;   in Loop: Header=BB5_673 Depth=1
	s_or_b64 exec, exec, s[14:15]
	v_readfirstlane_b32 s14, v0
	s_cmp_eq_u32 s14, 0
	s_cbranch_scc1 .LBB5_677
; %bb.676:                              ;   in Loop: Header=BB5_673 Depth=1
	s_mov_b64 s[14:15], 0
	s_sleep 1
	s_branch .LBB5_678
.LBB5_677:                              ;   in Loop: Header=BB5_673 Depth=1
	s_mov_b64 s[14:15], -1
.LBB5_678:                              ;   in Loop: Header=BB5_673 Depth=1
	s_andn2_b64 vcc, exec, s[14:15]
	s_cbranch_vccnz .LBB5_673
; %bb.679:
	global_load_dwordx2 v[12:13], v[6:7], off
	s_and_saveexec_b64 s[14:15], s[4:5]
	s_cbranch_execz .LBB5_682
; %bb.680:
	v_mov_b32_e32 v6, 0
	global_load_dwordx2 v[0:1], v6, s[10:11] offset:40
	global_load_dwordx2 v[8:9], v6, s[10:11] offset:24 glc
	global_load_dwordx2 v[10:11], v6, s[10:11]
	v_mov_b32_e32 v3, s13
	s_mov_b64 s[4:5], 0
	s_waitcnt vmcnt(2)
	v_add_co_u32_e32 v5, vcc, 1, v0
	v_addc_co_u32_e32 v7, vcc, 0, v1, vcc
	v_add_co_u32_e32 v2, vcc, s12, v5
	v_addc_co_u32_e32 v3, vcc, v7, v3, vcc
	v_cmp_eq_u64_e32 vcc, 0, v[2:3]
	v_cndmask_b32_e32 v3, v3, v7, vcc
	v_cndmask_b32_e32 v2, v2, v5, vcc
	v_and_b32_e32 v1, v3, v1
	v_and_b32_e32 v0, v2, v0
	v_mul_lo_u32 v1, v1, 24
	v_mul_hi_u32 v5, v0, 24
	v_mul_lo_u32 v0, v0, 24
	v_add_u32_e32 v1, v5, v1
	s_waitcnt vmcnt(0)
	v_add_co_u32_e32 v0, vcc, v10, v0
	v_addc_co_u32_e32 v1, vcc, v11, v1, vcc
	v_mov_b32_e32 v4, v8
	global_store_dwordx2 v[0:1], v[8:9], off
	v_mov_b32_e32 v5, v9
	buffer_wbl2
	s_waitcnt vmcnt(0)
	global_atomic_cmpswap_x2 v[4:5], v6, v[2:5], s[10:11] offset:24 glc
	s_waitcnt vmcnt(0)
	v_cmp_ne_u64_e32 vcc, v[4:5], v[8:9]
	s_and_b64 exec, exec, vcc
	s_cbranch_execz .LBB5_682
.LBB5_681:                              ; =>This Inner Loop Header: Depth=1
	s_sleep 1
	global_store_dwordx2 v[0:1], v[4:5], off
	buffer_wbl2
	s_waitcnt vmcnt(0)
	global_atomic_cmpswap_x2 v[8:9], v6, v[2:5], s[10:11] offset:24 glc
	s_waitcnt vmcnt(0)
	v_cmp_eq_u64_e32 vcc, v[8:9], v[4:5]
	s_or_b64 s[4:5], vcc, s[4:5]
	v_pk_mov_b32 v[4:5], v[8:9], v[8:9] op_sel:[0,1]
	s_andn2_b64 exec, exec, s[4:5]
	s_cbranch_execnz .LBB5_681
.LBB5_682:
	s_or_b64 exec, exec, s[14:15]
	s_waitcnt vmcnt(0)
	v_pk_mov_b32 v[0:1], v[12:13], v[12:13] op_sel:[0,1]
	v_cmp_ne_u64_e32 vcc, 0, v[0:1]
	s_and_saveexec_b64 s[4:5], vcc
	s_cbranch_execz .LBB5_686
; %bb.683:
	s_mov_b64 s[10:11], exec
	v_mbcnt_lo_u32_b32 v2, exec_lo, 0
	v_mbcnt_hi_u32_b32 v2, s11, v2
	v_cmp_eq_u32_e32 vcc, 0, v2
	s_and_b64 s[12:13], exec, vcc
	s_mov_b64 exec, s[12:13]
	s_cbranch_execz .LBB5_686
; %bb.684:
	s_mov_b64 s[12:13], exec
	v_mbcnt_lo_u32_b32 v2, s12, 0
	v_mbcnt_hi_u32_b32 v2, s13, v2
	v_cmp_eq_u32_e32 vcc, 0, v2
	s_and_b64 s[14:15], exec, vcc
	s_mov_b64 exec, s[14:15]
	s_cbranch_execz .LBB5_686
; %bb.685:
	s_load_dwordx2 s[8:9], s[8:9], 0x60
	s_bcnt1_i32_b64 s10, s[10:11]
	s_bcnt1_i32_b64 s11, s[12:13]
	s_mul_i32 s10, s10, s11
	v_mov_b32_e32 v4, s10
	v_mov_b32_e32 v5, 0
	;; [unrolled: 1-line block ×3, first 2 shown]
	s_waitcnt lgkmcnt(0)
	global_atomic_add_x2 v2, v[4:5], s[8:9] offset:2184
.LBB5_686:
	s_or_b64 exec, exec, s[4:5]
.LBB5_687:
	s_or_b64 exec, exec, s[6:7]
.LBB5_688:
	s_or_b64 exec, exec, s[24:25]
	buffer_load_dword v62, off, s[0:3], s32 ; 4-byte Folded Reload
	buffer_load_dword v61, off, s[0:3], s32 offset:4 ; 4-byte Folded Reload
	v_readlane_b32 s30, v63, 62
	v_readlane_b32 s31, v63, 63
	v_readlane_b32 s95, v63, 61
	v_readlane_b32 s94, v63, 60
	v_readlane_b32 s93, v63, 59
	v_readlane_b32 s92, v63, 58
	v_readlane_b32 s91, v63, 57
	v_readlane_b32 s90, v63, 56
	v_readlane_b32 s89, v63, 55
	v_readlane_b32 s88, v63, 54
	v_readlane_b32 s87, v63, 53
	v_readlane_b32 s86, v63, 52
	v_readlane_b32 s85, v63, 51
	v_readlane_b32 s84, v63, 50
	v_readlane_b32 s83, v63, 49
	v_readlane_b32 s82, v63, 48
	v_readlane_b32 s81, v63, 47
	v_readlane_b32 s80, v63, 46
	v_readlane_b32 s79, v63, 45
	v_readlane_b32 s78, v63, 44
	v_readlane_b32 s77, v63, 43
	v_readlane_b32 s76, v63, 42
	v_readlane_b32 s75, v63, 41
	v_readlane_b32 s74, v63, 40
	v_readlane_b32 s73, v63, 39
	v_readlane_b32 s72, v63, 38
	v_readlane_b32 s71, v63, 37
	v_readlane_b32 s70, v63, 36
	v_readlane_b32 s69, v63, 35
	v_readlane_b32 s68, v63, 34
	v_readlane_b32 s67, v63, 33
	v_readlane_b32 s66, v63, 32
	v_readlane_b32 s65, v63, 31
	v_readlane_b32 s64, v63, 30
	v_readlane_b32 s63, v63, 29
	v_readlane_b32 s62, v63, 28
	v_readlane_b32 s61, v63, 27
	v_readlane_b32 s60, v63, 26
	v_readlane_b32 s59, v63, 25
	v_readlane_b32 s58, v63, 24
	v_readlane_b32 s57, v63, 23
	v_readlane_b32 s56, v63, 22
	v_readlane_b32 s55, v63, 21
	v_readlane_b32 s54, v63, 20
	v_readlane_b32 s53, v63, 19
	v_readlane_b32 s52, v63, 18
	v_readlane_b32 s51, v63, 17
	v_readlane_b32 s50, v63, 16
	v_readlane_b32 s49, v63, 15
	v_readlane_b32 s48, v63, 14
	v_readlane_b32 s47, v63, 13
	v_readlane_b32 s46, v63, 12
	v_readlane_b32 s45, v63, 11
	v_readlane_b32 s44, v63, 10
	v_readlane_b32 s43, v63, 9
	v_readlane_b32 s42, v63, 8
	v_readlane_b32 s41, v63, 7
	v_readlane_b32 s40, v63, 6
	v_readlane_b32 s39, v63, 5
	v_readlane_b32 s38, v63, 4
	v_readlane_b32 s37, v63, 3
	v_readlane_b32 s36, v63, 2
	v_readlane_b32 s35, v63, 1
	v_readlane_b32 s34, v63, 0
	v_accvgpr_read_b32 v60, a31             ;  Reload Reuse
	v_accvgpr_read_b32 v59, a30             ;  Reload Reuse
	v_accvgpr_read_b32 v58, a29             ;  Reload Reuse
	v_accvgpr_read_b32 v57, a28             ;  Reload Reuse
	v_accvgpr_read_b32 v56, a27             ;  Reload Reuse
	v_accvgpr_read_b32 v47, a26             ;  Reload Reuse
	v_accvgpr_read_b32 v46, a25             ;  Reload Reuse
	v_accvgpr_read_b32 v45, a24             ;  Reload Reuse
	v_accvgpr_read_b32 v44, a23             ;  Reload Reuse
	v_accvgpr_read_b32 v43, a22             ;  Reload Reuse
	v_accvgpr_read_b32 v42, a21             ;  Reload Reuse
	v_accvgpr_read_b32 v41, a20             ;  Reload Reuse
	v_accvgpr_read_b32 v40, a15             ;  Reload Reuse
	s_or_saveexec_b64 s[4:5], -1
	buffer_load_dword v63, off, s[0:3], s32 offset:8 ; 4-byte Folded Reload
	s_mov_b64 exec, s[4:5]
	s_waitcnt vmcnt(0) lgkmcnt(0)
	s_setpc_b64 s[30:31]
.Lfunc_end5:
	.size	__ockl_dm_alloc, .Lfunc_end5-__ockl_dm_alloc
                                        ; -- End function
	.section	.AMDGPU.csdata,"",@progbits
; Function info:
; codeLenInByte = 23172
; NumSgprs: 100
; NumVgprs: 64
; NumAgprs: 32
; TotalNumVgprs: 96
; ScratchSize: 16
; MemoryBound: 1
	.section	.text.unlikely.,"ax",@progbits
	.p2align	2                               ; -- Begin function __ockl_dm_dealloc
	.type	__ockl_dm_dealloc,@function
__ockl_dm_dealloc:                      ; @__ockl_dm_dealloc
; %bb.0:
	s_waitcnt vmcnt(0) expcnt(0) lgkmcnt(0)
	v_and_b32_e32 v2, 0xfff, v0
	v_mov_b32_e32 v3, 0
	v_cmp_ne_u64_e32 vcc, 0, v[2:3]
	s_and_saveexec_b64 s[4:5], vcc
	s_xor_b64 s[10:11], exec, s[4:5]
	s_cbranch_execz .LBB6_12
; %bb.1:
	v_and_b32_e32 v6, 0xffe00000, v0
	v_mov_b32_e32 v7, v1
	global_load_dwordx2 v[4:5], v[6:7], off
	s_load_dwordx2 s[4:5], s[8:9], 0x60
	s_movk_i32 s12, 0x100
	s_movk_i32 s13, 0x1800
	v_and_b32_e32 v7, 0x1fffff, v0
	v_or_b32_e32 v0, 16, v6
	s_waitcnt lgkmcnt(0)
	s_add_u32 s4, s4, 0x2800
	s_addc_u32 s5, s5, 0
	v_pk_mov_b32 v[8:9], s[4:5], s[4:5] op_sel:[0,1]
	s_getpc_b64 s[6:7]
	s_add_u32 s6, s6, __unnamed_1@rel32@lo+16
	s_addc_u32 s7, s7, __unnamed_1@rel32@hi+24
	v_mov_b32_e32 v14, s7
	s_waitcnt vmcnt(0)
	v_cmp_gt_u32_e64 s[4:5], s12, v5
	v_mad_u64_u32 v[10:11], s[12:13], v4, s13, v[8:9]
	v_lshrrev_b32_e32 v8, 1, v4
	v_add_u32_e32 v8, 4, v8
	v_lshlrev_b32_e64 v8, v8, 1
	v_bfe_i32 v9, v4, 0, 1
	v_lshrrev_b32_e32 v13, 1, v8
	v_and_b32_e32 v9, v9, v13
	v_add_u32_e32 v16, v9, v8
	v_cvt_f32_u32_e32 v13, v16
	v_mov_b32_e32 v2, v4
	v_add_u32_e32 v12, 0xffffff00, v5
	v_lshrrev_b32_e32 v15, 8, v12
	v_rcp_iflag_f32_e32 v17, v13
	v_lshlrev_b64 v[12:13], 5, v[2:3]
	v_add_co_u32_e32 v12, vcc, s6, v12
	v_mul_f32_e32 v2, 0x4f7ffffe, v17
	v_cvt_u32_f32_e32 v2, v2
	v_addc_co_u32_e32 v13, vcc, v13, v14, vcc
	v_sub_u32_e32 v14, 0, v16
	v_mul_lo_u32 v14, v14, v2
	v_mul_hi_u32 v14, v2, v14
	v_and_b32_e32 v6, 0xff, v5
	v_mad_u64_u32 v[8:9], s[12:13], v5, 24, v[10:11]
	v_mad_u64_u32 v[10:11], s[12:13], v15, 24, v[10:11]
	v_add_u32_e32 v2, v2, v14
	v_mov_b32_e32 v14, 1
.LBB6_2:                                ; =>This Inner Loop Header: Depth=1
	v_cmp_ne_u32_e32 vcc, 0, v14
	v_mov_b32_e32 v14, 0
	s_and_saveexec_b64 s[12:13], vcc
	s_cbranch_execz .LBB6_11
; %bb.3:                                ;   in Loop: Header=BB6_2 Depth=1
	v_readfirstlane_b32 s6, v4
	v_readfirstlane_b32 s7, v5
	v_cmp_eq_u32_e32 vcc, s6, v4
	v_cmp_eq_u32_e64 s[6:7], s7, v5
	s_and_b64 s[6:7], vcc, s[6:7]
	v_mov_b32_e32 v14, 1
	s_and_saveexec_b64 s[14:15], s[6:7]
	s_cbranch_execz .LBB6_10
; %bb.4:                                ;   in Loop: Header=BB6_2 Depth=1
	s_mov_b64 s[16:17], exec
	v_mbcnt_lo_u32_b32 v14, exec_lo, 0
	v_mbcnt_hi_u32_b32 v14, s17, v14
	v_cmp_ne_u32_e64 s[6:7], 0, v14
	s_or_b64 s[18:19], s[6:7], s[4:5]
	v_cmp_eq_u32_e32 vcc, 0, v14
	v_cndmask_b32_e64 v15, v9, 0, s[6:7]
	s_xor_b64 s[18:19], s[18:19], -1
	v_cndmask_b32_e64 v14, v8, 0, s[6:7]
	s_and_saveexec_b64 s[6:7], s[18:19]
	s_cbranch_execz .LBB6_6
; %bb.5:                                ;   in Loop: Header=BB6_2 Depth=1
	global_load_dwordx2 v[14:15], v[10:11], off glc
	s_waitcnt vmcnt(0)
	v_mad_u64_u32 v[14:15], s[18:19], v6, 24, v[14:15]
.LBB6_6:                                ;   in Loop: Header=BB6_2 Depth=1
	s_or_b64 exec, exec, s[6:7]
	global_load_dword v17, v[12:13], off
	v_readfirstlane_b32 s18, v14
	v_readfirstlane_b32 s19, v15
	s_waitcnt vmcnt(0)
	v_sub_u32_e32 v17, v7, v17
	v_mul_hi_u32 v18, v17, v2
	v_mul_lo_u32 v19, v18, v16
	v_sub_u32_e32 v17, v17, v19
	v_add_u32_e32 v20, 1, v18
	v_cmp_ge_u32_e64 s[6:7], v17, v16
	v_sub_u32_e32 v19, v17, v16
	v_cndmask_b32_e64 v18, v18, v20, s[6:7]
	v_cndmask_b32_e64 v17, v17, v19, s[6:7]
	v_add_u32_e32 v19, 1, v18
	v_cmp_ge_u32_e64 s[6:7], v17, v16
	v_cndmask_b32_e64 v17, v18, v19, s[6:7]
	v_lshlrev_b32_e64 v18, v17, 1
	v_lshrrev_b32_e32 v17, 3, v17
	v_and_b32_e32 v17, 0x1ffffffc, v17
	v_not_b32_e32 v20, v18
	v_add_co_u32_e64 v18, s[6:7], v0, v17
	v_addc_co_u32_e64 v19, s[6:7], 0, v1, s[6:7]
	global_atomic_and v[18:19], v20, off
	s_and_saveexec_b64 s[6:7], vcc
	s_cbranch_execz .LBB6_9
; %bb.7:                                ;   in Loop: Header=BB6_2 Depth=1
	s_mov_b64 s[20:21], exec
	v_mbcnt_lo_u32_b32 v14, s20, 0
	v_mbcnt_hi_u32_b32 v14, s21, v14
	v_cmp_eq_u32_e32 vcc, 0, v14
	s_and_b64 s[22:23], exec, vcc
	s_mov_b64 exec, s[22:23]
	s_cbranch_execz .LBB6_9
; %bb.8:                                ;   in Loop: Header=BB6_2 Depth=1
	s_bcnt1_i32_b64 s16, s[16:17]
	s_bcnt1_i32_b64 s17, s[20:21]
	s_mul_i32 s16, s16, s17
	v_mov_b32_e32 v14, s16
	global_atomic_sub v3, v14, s[18:19] offset:16
.LBB6_9:                                ;   in Loop: Header=BB6_2 Depth=1
	s_or_b64 exec, exec, s[6:7]
	v_mov_b32_e32 v14, 0
.LBB6_10:                               ;   in Loop: Header=BB6_2 Depth=1
	s_or_b64 exec, exec, s[14:15]
.LBB6_11:                               ;   in Loop: Header=BB6_2 Depth=1
	s_or_b64 exec, exec, s[12:13]
	v_mov_b32_e32 v15, v14
	;;#ASMSTART
	;;#ASMEND
	v_cmp_ne_u32_e32 vcc, 0, v15
	s_cbranch_vccnz .LBB6_2
.LBB6_12:
	s_andn2_saveexec_b64 s[6:7], s[10:11]
	s_cbranch_execz .LBB6_44
; %bb.13:
	v_cmp_ne_u64_e32 vcc, 0, v[0:1]
	s_and_saveexec_b64 s[10:11], vcc
	s_cbranch_execz .LBB6_43
; %bb.14:
	s_load_dwordx2 s[12:13], s[8:9], 0x50
	v_mbcnt_lo_u32_b32 v2, -1, 0
	v_mbcnt_hi_u32_b32 v3, -1, v2
	v_readfirstlane_b32 s4, v3
	v_cmp_eq_u32_e64 s[4:5], s4, v3
	v_pk_mov_b32 v[8:9], 0, 0
	s_and_saveexec_b64 s[14:15], s[4:5]
	s_cbranch_execz .LBB6_20
; %bb.15:
	v_mov_b32_e32 v2, 0
	s_waitcnt lgkmcnt(0)
	global_load_dwordx2 v[6:7], v2, s[12:13] offset:24 glc
	s_waitcnt vmcnt(0)
	buffer_invl2
	buffer_wbinvl1_vol
	global_load_dwordx2 v[4:5], v2, s[12:13] offset:40
	global_load_dwordx2 v[8:9], v2, s[12:13]
	s_waitcnt vmcnt(1)
	v_and_b32_e32 v4, v4, v6
	v_and_b32_e32 v5, v5, v7
	v_mul_lo_u32 v5, v5, 24
	v_mul_hi_u32 v10, v4, 24
	v_mul_lo_u32 v4, v4, 24
	v_add_u32_e32 v5, v10, v5
	s_waitcnt vmcnt(0)
	v_add_co_u32_e32 v4, vcc, v8, v4
	v_addc_co_u32_e32 v5, vcc, v9, v5, vcc
	global_load_dwordx2 v[4:5], v[4:5], off glc
	s_waitcnt vmcnt(0)
	global_atomic_cmpswap_x2 v[8:9], v2, v[4:7], s[12:13] offset:24 glc
	s_waitcnt vmcnt(0)
	buffer_invl2
	buffer_wbinvl1_vol
	v_cmp_ne_u64_e32 vcc, v[8:9], v[6:7]
	s_and_saveexec_b64 s[16:17], vcc
	s_cbranch_execz .LBB6_19
; %bb.16:
	s_mov_b64 s[18:19], 0
.LBB6_17:                               ; =>This Inner Loop Header: Depth=1
	s_sleep 1
	global_load_dwordx2 v[4:5], v2, s[12:13] offset:40
	global_load_dwordx2 v[10:11], v2, s[12:13]
	v_pk_mov_b32 v[6:7], v[8:9], v[8:9] op_sel:[0,1]
	s_waitcnt vmcnt(1)
	v_and_b32_e32 v4, v4, v6
	v_and_b32_e32 v9, v5, v7
	s_waitcnt vmcnt(0)
	v_mad_u64_u32 v[4:5], s[20:21], v4, 24, v[10:11]
	v_mov_b32_e32 v8, v5
	v_mad_u64_u32 v[8:9], s[20:21], v9, 24, v[8:9]
	v_mov_b32_e32 v5, v8
	global_load_dwordx2 v[4:5], v[4:5], off glc
	s_waitcnt vmcnt(0)
	global_atomic_cmpswap_x2 v[8:9], v2, v[4:7], s[12:13] offset:24 glc
	s_waitcnt vmcnt(0)
	buffer_invl2
	buffer_wbinvl1_vol
	v_cmp_eq_u64_e32 vcc, v[8:9], v[6:7]
	s_or_b64 s[18:19], vcc, s[18:19]
	s_andn2_b64 exec, exec, s[18:19]
	s_cbranch_execnz .LBB6_17
; %bb.18:
	s_or_b64 exec, exec, s[18:19]
.LBB6_19:
	s_or_b64 exec, exec, s[16:17]
.LBB6_20:
	s_or_b64 exec, exec, s[14:15]
	v_mov_b32_e32 v2, 0
	s_waitcnt lgkmcnt(0)
	global_load_dwordx2 v[10:11], v2, s[12:13] offset:40
	global_load_dwordx4 v[4:7], v2, s[12:13]
	v_readfirstlane_b32 s14, v8
	v_readfirstlane_b32 s15, v9
	s_mov_b64 s[16:17], exec
	s_waitcnt vmcnt(1)
	v_readfirstlane_b32 s18, v10
	v_readfirstlane_b32 s19, v11
	s_and_b64 s[18:19], s[14:15], s[18:19]
	s_mul_i32 s20, s19, 24
	s_mul_hi_u32 s21, s18, 24
	s_mul_i32 s22, s18, 24
	s_add_i32 s20, s21, s20
	v_mov_b32_e32 v9, s20
	s_waitcnt vmcnt(0)
	v_add_co_u32_e32 v8, vcc, s22, v4
	v_addc_co_u32_e32 v9, vcc, v5, v9, vcc
	s_and_saveexec_b64 s[20:21], s[4:5]
	s_cbranch_execz .LBB6_22
; %bb.21:
	v_pk_mov_b32 v[10:11], s[16:17], s[16:17] op_sel:[0,1]
	v_mov_b32_e32 v12, 3
	v_mov_b32_e32 v13, 1
	global_store_dwordx4 v[8:9], v[10:13], off offset:8
.LBB6_22:
	s_or_b64 exec, exec, s[20:21]
	s_lshl_b64 s[16:17], s[18:19], 12
	v_mov_b32_e32 v10, s17
	v_add_co_u32_e32 v6, vcc, s16, v6
	v_addc_co_u32_e32 v7, vcc, v7, v10, vcc
	s_mov_b32 s16, 0
	v_lshlrev_b32_e32 v10, 6, v3
	v_mov_b32_e32 v3, v2
	v_readfirstlane_b32 s20, v6
	v_readfirstlane_b32 s21, v7
	s_mov_b32 s17, s16
	s_mov_b32 s18, s16
	;; [unrolled: 1-line block ×3, first 2 shown]
	s_nop 1
	global_store_dwordx4 v10, v[0:3], s[20:21]
	s_nop 0
	v_pk_mov_b32 v[0:1], s[16:17], s[16:17] op_sel:[0,1]
	v_pk_mov_b32 v[2:3], s[18:19], s[18:19] op_sel:[0,1]
	global_store_dwordx4 v10, v[0:3], s[20:21] offset:16
	global_store_dwordx4 v10, v[0:3], s[20:21] offset:32
	;; [unrolled: 1-line block ×3, first 2 shown]
	s_and_saveexec_b64 s[16:17], s[4:5]
	s_cbranch_execz .LBB6_30
; %bb.23:
	v_mov_b32_e32 v6, 0
	global_load_dwordx2 v[12:13], v6, s[12:13] offset:32 glc
	global_load_dwordx2 v[0:1], v6, s[12:13] offset:40
	v_mov_b32_e32 v10, s14
	v_mov_b32_e32 v11, s15
	s_waitcnt vmcnt(0)
	v_and_b32_e32 v0, s14, v0
	v_and_b32_e32 v1, s15, v1
	v_mul_lo_u32 v1, v1, 24
	v_mul_hi_u32 v2, v0, 24
	v_mul_lo_u32 v0, v0, 24
	v_add_u32_e32 v1, v2, v1
	v_add_co_u32_e32 v4, vcc, v4, v0
	v_addc_co_u32_e32 v5, vcc, v5, v1, vcc
	global_store_dwordx2 v[4:5], v[12:13], off
	buffer_wbl2
	s_waitcnt vmcnt(0)
	global_atomic_cmpswap_x2 v[2:3], v6, v[10:13], s[12:13] offset:32 glc
	s_waitcnt vmcnt(0)
	v_cmp_ne_u64_e32 vcc, v[2:3], v[12:13]
	s_and_saveexec_b64 s[18:19], vcc
	s_cbranch_execz .LBB6_26
; %bb.24:
	s_mov_b64 s[20:21], 0
.LBB6_25:                               ; =>This Inner Loop Header: Depth=1
	s_sleep 1
	global_store_dwordx2 v[4:5], v[2:3], off
	v_mov_b32_e32 v0, s14
	v_mov_b32_e32 v1, s15
	buffer_wbl2
	s_waitcnt vmcnt(0)
	global_atomic_cmpswap_x2 v[0:1], v6, v[0:3], s[12:13] offset:32 glc
	s_waitcnt vmcnt(0)
	v_cmp_eq_u64_e32 vcc, v[0:1], v[2:3]
	s_or_b64 s[20:21], vcc, s[20:21]
	v_pk_mov_b32 v[2:3], v[0:1], v[0:1] op_sel:[0,1]
	s_andn2_b64 exec, exec, s[20:21]
	s_cbranch_execnz .LBB6_25
.LBB6_26:
	s_or_b64 exec, exec, s[18:19]
	v_mov_b32_e32 v3, 0
	global_load_dwordx2 v[0:1], v3, s[12:13] offset:16
	s_mov_b64 s[18:19], exec
	v_mbcnt_lo_u32_b32 v2, s18, 0
	v_mbcnt_hi_u32_b32 v2, s19, v2
	v_cmp_eq_u32_e32 vcc, 0, v2
	s_and_saveexec_b64 s[20:21], vcc
	s_cbranch_execz .LBB6_28
; %bb.27:
	s_bcnt1_i32_b64 s18, s[18:19]
	v_mov_b32_e32 v2, s18
	buffer_wbl2
	s_waitcnt vmcnt(0)
	global_atomic_add_x2 v[0:1], v[2:3], off offset:8
.LBB6_28:
	s_or_b64 exec, exec, s[20:21]
	s_waitcnt vmcnt(0)
	global_load_dwordx2 v[2:3], v[0:1], off offset:16
	s_waitcnt vmcnt(0)
	v_cmp_eq_u64_e32 vcc, 0, v[2:3]
	s_cbranch_vccnz .LBB6_30
; %bb.29:
	global_load_dword v0, v[0:1], off offset:24
	v_mov_b32_e32 v1, 0
	buffer_wbl2
	s_waitcnt vmcnt(0)
	global_store_dwordx2 v[2:3], v[0:1], off
	v_and_b32_e32 v0, 0xffffff, v0
	v_readfirstlane_b32 m0, v0
	s_sendmsg sendmsg(MSG_INTERRUPT)
.LBB6_30:
	s_or_b64 exec, exec, s[16:17]
.LBB6_31:                               ; =>This Inner Loop Header: Depth=1
	v_mov_b32_e32 v0, 1
	s_and_saveexec_b64 s[16:17], s[4:5]
	s_cbranch_execz .LBB6_33
; %bb.32:                               ;   in Loop: Header=BB6_31 Depth=1
	global_load_dword v0, v[8:9], off offset:20 glc
	s_waitcnt vmcnt(0)
	buffer_invl2
	buffer_wbinvl1_vol
	v_and_b32_e32 v0, 1, v0
.LBB6_33:                               ;   in Loop: Header=BB6_31 Depth=1
	s_or_b64 exec, exec, s[16:17]
	v_readfirstlane_b32 s16, v0
	s_cmp_eq_u32 s16, 0
	s_cbranch_scc1 .LBB6_35
; %bb.34:                               ;   in Loop: Header=BB6_31 Depth=1
	s_mov_b64 s[16:17], 0
	s_sleep 1
	s_branch .LBB6_36
.LBB6_35:                               ;   in Loop: Header=BB6_31 Depth=1
	s_mov_b64 s[16:17], -1
.LBB6_36:                               ;   in Loop: Header=BB6_31 Depth=1
	s_andn2_b64 vcc, exec, s[16:17]
	s_cbranch_vccnz .LBB6_31
; %bb.37:
	s_and_saveexec_b64 s[16:17], s[4:5]
	s_cbranch_execz .LBB6_40
; %bb.38:
	v_mov_b32_e32 v6, 0
	global_load_dwordx2 v[4:5], v6, s[12:13] offset:40
	global_load_dwordx2 v[8:9], v6, s[12:13] offset:24 glc
	global_load_dwordx2 v[10:11], v6, s[12:13]
	v_mov_b32_e32 v1, s15
	s_mov_b64 s[4:5], 0
	s_waitcnt vmcnt(2)
	v_add_co_u32_e32 v3, vcc, 1, v4
	v_addc_co_u32_e32 v7, vcc, 0, v5, vcc
	v_add_co_u32_e32 v0, vcc, s14, v3
	v_addc_co_u32_e32 v1, vcc, v7, v1, vcc
	v_cmp_eq_u64_e32 vcc, 0, v[0:1]
	v_cndmask_b32_e32 v1, v1, v7, vcc
	v_cndmask_b32_e32 v0, v0, v3, vcc
	v_and_b32_e32 v3, v1, v5
	v_and_b32_e32 v4, v0, v4
	v_mul_lo_u32 v3, v3, 24
	v_mul_hi_u32 v5, v4, 24
	v_mul_lo_u32 v4, v4, 24
	v_add_u32_e32 v3, v5, v3
	s_waitcnt vmcnt(0)
	v_add_co_u32_e32 v4, vcc, v10, v4
	v_addc_co_u32_e32 v5, vcc, v11, v3, vcc
	v_mov_b32_e32 v2, v8
	global_store_dwordx2 v[4:5], v[8:9], off
	v_mov_b32_e32 v3, v9
	buffer_wbl2
	s_waitcnt vmcnt(0)
	global_atomic_cmpswap_x2 v[2:3], v6, v[0:3], s[12:13] offset:24 glc
	s_waitcnt vmcnt(0)
	v_cmp_ne_u64_e32 vcc, v[2:3], v[8:9]
	s_and_b64 exec, exec, vcc
	s_cbranch_execz .LBB6_40
.LBB6_39:                               ; =>This Inner Loop Header: Depth=1
	s_sleep 1
	global_store_dwordx2 v[4:5], v[2:3], off
	buffer_wbl2
	s_waitcnt vmcnt(0)
	global_atomic_cmpswap_x2 v[8:9], v6, v[0:3], s[12:13] offset:24 glc
	s_waitcnt vmcnt(0)
	v_cmp_eq_u64_e32 vcc, v[8:9], v[2:3]
	s_or_b64 s[4:5], vcc, s[4:5]
	v_pk_mov_b32 v[2:3], v[8:9], v[8:9] op_sel:[0,1]
	s_andn2_b64 exec, exec, s[4:5]
	s_cbranch_execnz .LBB6_39
.LBB6_40:
	s_or_b64 exec, exec, s[16:17]
	s_mov_b64 s[4:5], exec
	v_mbcnt_lo_u32_b32 v0, exec_lo, 0
	v_mbcnt_hi_u32_b32 v0, s5, v0
	v_cmp_eq_u32_e32 vcc, 0, v0
	s_and_b64 s[12:13], exec, vcc
	s_mov_b64 exec, s[12:13]
	s_cbranch_execz .LBB6_43
; %bb.41:
	s_mov_b64 s[12:13], exec
	v_mbcnt_lo_u32_b32 v0, s12, 0
	v_mbcnt_hi_u32_b32 v0, s13, v0
	v_cmp_eq_u32_e32 vcc, 0, v0
	s_and_b64 s[14:15], exec, vcc
	s_mov_b64 exec, s[14:15]
	s_cbranch_execz .LBB6_43
; %bb.42:
	s_bcnt1_i32_b64 s14, s[4:5]
	s_load_dwordx2 s[4:5], s[8:9], 0x60
	s_bcnt1_i32_b64 s8, s[12:13]
	s_mul_i32 s14, s14, s8
	v_mov_b32_e32 v0, s14
	v_mov_b32_e32 v1, 0
	;; [unrolled: 1-line block ×3, first 2 shown]
	s_waitcnt lgkmcnt(0)
	global_atomic_sub_x2 v2, v[0:1], s[4:5] offset:2184
.LBB6_43:
	s_or_b64 exec, exec, s[10:11]
.LBB6_44:
	s_or_b64 exec, exec, s[6:7]
	s_waitcnt vmcnt(0) lgkmcnt(0)
	s_setpc_b64 s[30:31]
.Lfunc_end6:
	.size	__ockl_dm_dealloc, .Lfunc_end6-__ockl_dm_dealloc
                                        ; -- End function
	.section	.AMDGPU.csdata,"",@progbits
; Function info:
; codeLenInByte = 2076
; NumSgprs: 36
; NumVgprs: 21
; NumAgprs: 0
; TotalNumVgprs: 21
; ScratchSize: 0
; MemoryBound: 0
	.text
	.protected	_Z24prepareReconstructArraysPKiS0_S0_S0_S0_S0_S0_PKjS2_iPiS3_S3_iiii ; -- Begin function _Z24prepareReconstructArraysPKiS0_S0_S0_S0_S0_S0_PKjS2_iPiS3_S3_iiii
	.globl	_Z24prepareReconstructArraysPKiS0_S0_S0_S0_S0_S0_PKjS2_iPiS3_S3_iiii
	.p2align	8
	.type	_Z24prepareReconstructArraysPKiS0_S0_S0_S0_S0_S0_PKjS2_iPiS3_S3_iiii,@function
_Z24prepareReconstructArraysPKiS0_S0_S0_S0_S0_S0_PKjS2_iPiS3_S3_iiii: ; @_Z24prepareReconstructArraysPKiS0_S0_S0_S0_S0_S0_PKjS2_iPiS3_S3_iiii
; %bb.0:
	s_add_u32 flat_scratch_lo, s6, s9
	s_addc_u32 flat_scratch_hi, s7, 0
	s_load_dword s6, s[4:5], 0x84
	s_load_dwordx4 s[16:19], s[4:5], 0x68
	s_add_u32 s0, s0, s9
	s_addc_u32 s1, s1, 0
	s_add_u32 s98, s4, 0x78
	s_addc_u32 s99, s5, 0
	s_waitcnt lgkmcnt(0)
	s_and_b32 s6, s6, 0xffff
	s_mul_i32 s8, s8, s6
	v_add_u32_e32 v68, s8, v0
	v_cmp_gt_i32_e32 vcc, s16, v68
	s_mov_b32 s32, 0
	s_and_saveexec_b64 s[6:7], vcc
	s_cbranch_execz .LBB7_57
; %bb.1:
	s_load_dwordx4 s[20:23], s[4:5], 0x0
	v_ashrrev_i32_e32 v69, 31, v68
	v_lshlrev_b64 v[2:3], 2, v[68:69]
	s_load_dwordx8 s[8:15], s[4:5], 0x18
	s_mov_b64 s[26:27], 0
	s_waitcnt lgkmcnt(0)
	v_mov_b32_e32 v1, s21
	v_add_co_u32_e32 v0, vcc, s20, v2
	v_addc_co_u32_e32 v1, vcc, v1, v3, vcc
	global_load_dword v4, v[0:1], off
	v_mov_b32_e32 v6, s15
	s_waitcnt vmcnt(0)
	v_ashrrev_i32_e32 v5, 31, v4
	v_lshlrev_b64 v[0:1], 2, v[4:5]
	v_add_co_u32_e32 v0, vcc, s14, v0
	v_addc_co_u32_e32 v1, vcc, v6, v1, vcc
	global_load_dword v0, v[0:1], off
	s_waitcnt vmcnt(0)
	v_cmp_ge_i32_e32 vcc, s18, v0
	s_and_saveexec_b64 s[6:7], vcc
	s_xor_b64 s[96:97], exec, s[6:7]
	s_cbranch_execz .LBB7_24
; %bb.2:
	s_load_dwordx2 s[6:7], s[4:5], 0x60
	v_cmp_ne_u32_e32 vcc, 0, v0
	s_waitcnt lgkmcnt(0)
	v_mov_b32_e32 v1, s7
	v_add_co_u32_e64 v2, s[6:7], s6, v2
	v_addc_co_u32_e64 v3, s[6:7], v1, v3, s[6:7]
	s_mov_b64 s[6:7], 0
	global_store_dword v[2:3], v0, off
	s_and_saveexec_b64 s[58:59], vcc
	s_cbranch_execz .LBB7_54
; %bb.3:
	s_load_dwordx4 s[24:27], s[4:5], 0x50
                                        ; implicit-def: $vgpr70 : SGPR spill to VGPR lane
	v_mul_lo_u32 v2, v68, s18
	v_cmp_lt_i32_e32 vcc, 0, v0
	s_mov_b64 s[14:15], -1
	s_mov_b64 s[34:35], 0
	v_writelane_b32 v70, s6, 0
	v_writelane_b32 v70, s7, 1
	s_and_saveexec_b64 s[6:7], vcc
	s_cbranch_execz .LBB7_27
; %bb.4:
	s_load_dword s16, s[4:5], 0x48
	s_load_dwordx4 s[28:31], s[4:5], 0x38
	s_mov_b32 s33, 0
	v_mov_b32_e32 v7, 0
	s_mov_b64 s[14:15], 0
	s_waitcnt lgkmcnt(0)
	v_cvt_f32_u32_e32 v1, s16
	s_sub_i32 s36, 0, s16
	s_mov_b32 s18, 0xc2b2ae35
	s_mov_b32 s54, 0
	v_rcp_iflag_f32_e32 v3, v1
	v_mov_b32_e32 v1, s11
	s_mov_b32 s11, 0x85ebca6b
                                        ; implicit-def: $sgpr20_sgpr21
	v_mul_f32_e32 v3, 0x4f7ffffe, v3
	v_cvt_u32_f32_e32 v3, v3
	v_mul_lo_u32 v5, s36, v3
	v_mul_hi_u32 v5, v3, v5
	v_add_u32_e32 v3, v3, v5
	s_branch .LBB7_6
.LBB7_5:                                ;   in Loop: Header=BB7_6 Depth=1
	s_or_b64 exec, exec, s[38:39]
	s_xor_b64 s[36:37], s[42:43], -1
	s_and_b64 s[38:39], exec, s[40:41]
	s_or_b64 s[14:15], s[38:39], s[14:15]
	s_andn2_b64 s[20:21], s[20:21], exec
	s_and_b64 s[36:37], s[36:37], exec
	s_or_b64 s[20:21], s[20:21], s[36:37]
	s_andn2_b64 exec, exec, s[14:15]
	s_cbranch_execz .LBB7_26
.LBB7_6:                                ; =>This Loop Header: Depth=1
                                        ;     Child Loop BB7_15 Depth 2
	s_cmp_lg_u32 s33, 4
	s_cbranch_scc1 .LBB7_8
; %bb.7:                                ;   in Loop: Header=BB7_6 Depth=1
	v_ashrrev_i32_e32 v5, 31, v4
	v_lshlrev_b64 v[4:5], 2, v[4:5]
	v_mov_b32_e32 v6, s13
	v_add_co_u32_e32 v4, vcc, s12, v4
	v_addc_co_u32_e32 v5, vcc, v6, v5, vcc
	global_load_dword v4, v[4:5], off
	s_mov_b32 s33, 0
.LBB7_8:                                ;   in Loop: Header=BB7_6 Depth=1
	s_waitcnt vmcnt(0)
	v_lshl_add_u32 v8, v4, 2, s33
	v_ashrrev_i32_e32 v9, 31, v8
	v_lshlrev_b64 v[8:9], 2, v[8:9]
	v_add_co_u32_e32 v8, vcc, s10, v8
	v_addc_co_u32_e32 v9, vcc, v1, v9, vcc
	global_load_dword v5, v[8:9], off
	s_mov_b64 s[36:37], 0
                                        ; implicit-def: $sgpr40
                                        ; implicit-def: $vgpr8_vgpr9
	s_waitcnt vmcnt(0)
	v_ashrrev_i32_e32 v10, 1, v5
	v_cmp_ge_i32_e32 vcc, s17, v10
	s_and_saveexec_b64 s[38:39], vcc
	s_xor_b64 s[38:39], exec, s[38:39]
	s_cbranch_execz .LBB7_10
; %bb.9:                                ;   in Loop: Header=BB7_6 Depth=1
	v_add_u32_e32 v8, s54, v2
	v_ashrrev_i32_e32 v9, 31, v8
	v_lshlrev_b64 v[10:11], 2, v[8:9]
	v_mov_b32_e32 v6, s25
	v_add_co_u32_e32 v10, vcc, s24, v10
	s_mov_b64 s[36:37], exec
	v_addc_co_u32_e32 v11, vcc, v6, v11, vcc
	s_mov_b32 s40, 0
	global_store_dword v[10:11], v5, off
                                        ; implicit-def: $vgpr10
                                        ; implicit-def: $vgpr5
.LBB7_10:                               ;   in Loop: Header=BB7_6 Depth=1
	s_or_saveexec_b64 s[38:39], s[38:39]
	v_mov_b32_e32 v11, s40
                                        ; implicit-def: $sgpr42_sgpr43
	s_xor_b64 exec, exec, s[38:39]
	s_cbranch_execz .LBB7_17
; %bb.11:                               ;   in Loop: Header=BB7_6 Depth=1
	v_ashrrev_i32_e32 v11, 31, v10
	v_lshlrev_b64 v[8:9], 2, v[10:11]
	v_mov_b32_e32 v6, s23
	v_add_co_u32_e32 v8, vcc, s22, v8
	v_addc_co_u32_e32 v9, vcc, v6, v9, vcc
	global_load_dword v8, v[8:9], off
	v_mov_b32_e32 v6, s9
	v_and_b32_e32 v5, 1, v5
	v_mov_b32_e32 v12, s25
	s_mov_b64 s[44:45], -1
                                        ; implicit-def: $sgpr42_sgpr43
	s_waitcnt vmcnt(0)
	v_ashrrev_i32_e32 v9, 31, v8
	v_lshlrev_b64 v[8:9], 2, v[8:9]
	v_add_co_u32_e32 v8, vcc, s8, v8
	v_addc_co_u32_e32 v9, vcc, v6, v9, vcc
	global_load_dword v6, v[8:9], off
	v_add_u32_e32 v8, s54, v2
	v_ashrrev_i32_e32 v9, 31, v8
	v_lshlrev_b64 v[10:11], 2, v[8:9]
	v_add_co_u32_e32 v10, vcc, s24, v10
	v_addc_co_u32_e32 v11, vcc, v12, v11, vcc
	s_waitcnt vmcnt(0)
	v_xor_b32_e32 v12, v6, v5
	v_ashrrev_i32_e32 v5, 1, v6
	global_store_dword v[10:11], v12, off
	v_cmp_lt_i32_e32 vcc, s17, v5
	v_mov_b32_e32 v11, 0
	s_and_saveexec_b64 s[40:41], vcc
	s_cbranch_execz .LBB7_22
; %bb.12:                               ;   in Loop: Header=BB7_6 Depth=1
	v_xor_b32_sdwa v6, v5, v5 dst_sel:DWORD dst_unused:UNUSED_PAD src0_sel:WORD_1 src1_sel:DWORD
	v_mul_lo_u32 v6, v6, s11
	v_lshrrev_b32_e32 v10, 13, v6
	v_xor_b32_e32 v6, v10, v6
	v_mul_lo_u32 v6, v6, s18
	v_xor_b32_sdwa v6, v6, v6 dst_sel:DWORD dst_unused:UNUSED_PAD src0_sel:WORD_1 src1_sel:DWORD
	v_mul_hi_u32 v10, v6, v3
	v_mul_lo_u32 v10, v10, s16
	v_sub_u32_e32 v6, v6, v10
	v_subrev_u32_e32 v10, s16, v6
	v_cmp_le_u32_e32 vcc, s16, v6
	v_cndmask_b32_e32 v6, v6, v10, vcc
	v_subrev_u32_e32 v10, s16, v6
	v_cmp_le_u32_e32 vcc, s16, v6
	v_cndmask_b32_e32 v6, v6, v10, vcc
	v_lshlrev_b64 v[10:11], 2, v[6:7]
	v_mov_b32_e32 v12, s29
	v_add_co_u32_e32 v10, vcc, s28, v10
	v_addc_co_u32_e32 v11, vcc, v12, v11, vcc
	global_load_dword v10, v[10:11], off
                                        ; implicit-def: $sgpr48
	s_waitcnt vmcnt(0)
	v_cmp_ne_u32_e32 vcc, v10, v5
	s_and_saveexec_b64 s[42:43], vcc
	s_cbranch_execz .LBB7_19
; %bb.13:                               ;   in Loop: Header=BB7_6 Depth=1
	s_mov_b64 s[44:45], 0
                                        ; implicit-def: $sgpr46_sgpr47
                                        ; implicit-def: $sgpr50_sgpr51
                                        ; implicit-def: $sgpr48_sgpr49
	s_branch .LBB7_15
.LBB7_14:                               ;   in Loop: Header=BB7_15 Depth=2
	s_or_b64 exec, exec, s[52:53]
	s_xor_b64 s[52:53], s[48:49], -1
	s_and_b64 s[56:57], exec, s[50:51]
	s_or_b64 s[44:45], s[56:57], s[44:45]
	s_andn2_b64 s[46:47], s[46:47], exec
	s_and_b64 s[52:53], s[52:53], exec
	s_or_b64 s[46:47], s[46:47], s[52:53]
	s_andn2_b64 exec, exec, s[44:45]
	s_cbranch_execz .LBB7_18
.LBB7_15:                               ;   Parent Loop BB7_6 Depth=1
                                        ; =>  This Inner Loop Header: Depth=2
	v_cmp_ne_u32_e32 vcc, -1, v10
	s_or_b64 s[48:49], s[48:49], exec
	s_or_b64 s[50:51], s[50:51], exec
                                        ; implicit-def: $vgpr10
	s_and_saveexec_b64 s[52:53], vcc
	s_cbranch_execz .LBB7_14
; %bb.16:                               ;   in Loop: Header=BB7_15 Depth=2
	v_add_u32_e32 v6, 1, v6
	v_cmp_ne_u32_e32 vcc, s16, v6
	v_cndmask_b32_e32 v6, 0, v6, vcc
	v_lshlrev_b64 v[10:11], 2, v[6:7]
	v_mov_b32_e32 v12, s29
	v_add_co_u32_e32 v10, vcc, s28, v10
	v_addc_co_u32_e32 v11, vcc, v12, v11, vcc
	global_load_dword v10, v[10:11], off
	s_andn2_b64 s[50:51], s[50:51], exec
	s_andn2_b64 s[48:49], s[48:49], exec
	s_waitcnt vmcnt(0)
	v_cmp_eq_u32_e32 vcc, v10, v5
	s_and_b64 s[56:57], vcc, exec
	s_or_b64 s[50:51], s[50:51], s[56:57]
	s_branch .LBB7_14
.LBB7_17:                               ;   in Loop: Header=BB7_6 Depth=1
	s_or_b64 exec, exec, s[38:39]
	s_mov_b64 s[40:41], -1
	s_and_saveexec_b64 s[38:39], s[36:37]
	s_cbranch_execz .LBB7_5
	s_branch .LBB7_23
.LBB7_18:                               ;   in Loop: Header=BB7_6 Depth=1
	s_or_b64 exec, exec, s[44:45]
	s_mov_b32 s48, -1
	s_orn2_b64 s[44:45], s[46:47], exec
.LBB7_19:                               ;   in Loop: Header=BB7_6 Depth=1
	s_or_b64 exec, exec, s[42:43]
	v_mov_b32_e32 v11, s48
	s_and_saveexec_b64 s[42:43], s[44:45]
	s_cbranch_execz .LBB7_21
; %bb.20:                               ;   in Loop: Header=BB7_6 Depth=1
	v_lshlrev_b64 v[10:11], 2, v[6:7]
	v_mov_b32_e32 v5, s31
	v_add_co_u32_e32 v10, vcc, s30, v10
	v_addc_co_u32_e32 v11, vcc, v5, v11, vcc
	global_load_dword v11, v[10:11], off
.LBB7_21:                               ;   in Loop: Header=BB7_6 Depth=1
	s_or_b64 exec, exec, s[42:43]
	s_waitcnt vmcnt(0)
	v_cmp_ne_u32_e32 vcc, -1, v11
	s_mov_b64 s[42:43], -1
	s_orn2_b64 s[44:45], vcc, exec
.LBB7_22:                               ;   in Loop: Header=BB7_6 Depth=1
	s_or_b64 exec, exec, s[40:41]
	s_andn2_b64 s[36:37], s[36:37], exec
	s_and_b64 s[40:41], s[44:45], exec
	s_or_b64 s[36:37], s[36:37], s[40:41]
	s_or_b64 exec, exec, s[38:39]
	s_mov_b64 s[40:41], -1
	s_and_saveexec_b64 s[38:39], s[36:37]
	s_cbranch_execz .LBB7_5
.LBB7_23:                               ;   in Loop: Header=BB7_6 Depth=1
	v_lshlrev_b64 v[8:9], 2, v[8:9]
	v_mov_b32_e32 v5, s27
	v_add_co_u32_e32 v8, vcc, s26, v8
	v_addc_co_u32_e32 v9, vcc, v5, v9, vcc
	s_add_i32 s54, s54, 1
	v_cmp_eq_u32_e32 vcc, s54, v0
	s_add_i32 s33, s33, 1
	s_andn2_b64 s[42:43], s[42:43], exec
	s_orn2_b64 s[40:41], vcc, exec
	global_store_dword v[8:9], v11, off
	s_branch .LBB7_5
.LBB7_24:
	s_andn2_saveexec_b64 s[28:29], s[96:97]
	s_cbranch_execz .LBB7_55
.LBB7_25:
	s_add_u32 s8, s4, 0x78
	s_addc_u32 s9, s5, 0
	s_getpc_b64 s[4:5]
	s_add_u32 s4, s4, .str.5@rel32@lo+4
	s_addc_u32 s5, s5, .str.5@rel32@hi+12
	s_getpc_b64 s[6:7]
	s_add_u32 s6, s6, .str.1@rel32@lo+4
	s_addc_u32 s7, s7, .str.1@rel32@hi+12
	s_getpc_b64 s[10:11]
	s_add_u32 s10, s10, __PRETTY_FUNCTION__._Z24prepareReconstructArraysPKiS0_S0_S0_S0_S0_S0_PKjS2_iPiS3_S3_iiii@rel32@lo+4
	s_addc_u32 s11, s11, __PRETTY_FUNCTION__._Z24prepareReconstructArraysPKiS0_S0_S0_S0_S0_S0_PKjS2_iPiS3_S3_iiii@rel32@hi+12
	s_waitcnt vmcnt(0)
	v_mov_b32_e32 v0, s4
	v_mov_b32_e32 v1, s5
	v_mov_b32_e32 v2, s6
	v_mov_b32_e32 v3, s7
	v_mov_b32_e32 v4, 0x124
	v_mov_b32_e32 v5, s10
	v_mov_b32_e32 v6, s11
	s_getpc_b64 s[12:13]
	s_add_u32 s12, s12, __assert_fail@rel32@lo+4
	s_addc_u32 s13, s13, __assert_fail@rel32@hi+12
	s_swappc_b64 s[30:31], s[12:13]
	s_or_b64 s[26:27], s[26:27], exec
	s_or_b64 exec, exec, s[28:29]
	s_and_b64 exec, exec, s[26:27]
	s_cbranch_execnz .LBB7_56
	s_branch .LBB7_57
.LBB7_26:
	s_or_b64 exec, exec, s[14:15]
	s_mov_b64 s[8:9], exec
	v_writelane_b32 v70, s8, 0
	s_orn2_b64 s[14:15], s[20:21], exec
	v_writelane_b32 v70, s9, 1
.LBB7_27:
	s_or_b64 exec, exec, s[6:7]
	s_mov_b64 s[6:7], exec
	v_writelane_b32 v70, s6, 4
	v_writelane_b32 v70, s7, 5
	s_and_b64 s[6:7], s[6:7], s[14:15]
	s_mov_b64 exec, s[6:7]
	s_cbranch_execz .LBB7_51
; %bb.28:
	v_ashrrev_i32_e32 v3, 31, v2
	v_lshlrev_b64 v[60:61], 2, v[2:3]
	s_waitcnt lgkmcnt(0)
	v_mov_b32_e32 v1, s25
	v_add_co_u32_e32 v46, vcc, s24, v60
	v_addc_co_u32_e32 v47, vcc, v1, v61, vcc
	v_add_u32_e32 v2, v0, v2
	v_mov_b32_e32 v1, s27
	v_add_co_u32_e32 v44, vcc, s26, v60
	v_ashrrev_i32_e32 v3, 31, v2
	v_addc_co_u32_e32 v45, vcc, v1, v61, vcc
	v_lshlrev_b64 v[64:65], 2, v[2:3]
	v_mov_b32_e32 v1, s25
	v_add_co_u32_e32 v42, vcc, s24, v64
	v_addc_co_u32_e32 v43, vcc, v1, v65, vcc
	v_ashrrev_i32_e32 v1, 31, v0
	v_lshlrev_b64 v[0:1], 2, v[0:1]
	v_add_co_u32_e32 v62, vcc, v44, v0
	v_addc_co_u32_e32 v69, vcc, v45, v1, vcc
	v_sub_co_u32_e32 v58, vcc, v60, v64
	v_subb_co_u32_e32 v59, vcc, v61, v65, vcc
	v_ashrrev_i64 v[66:67], 2, v[58:59]
	v_sub_co_u32_e32 v56, vcc, 0, v66
	s_cmp_lg_u32 s19, 0
	v_subb_co_u32_e32 v57, vcc, 0, v67, vcc
	s_cbranch_scc0 .LBB7_46
; %bb.29:
	s_movk_i32 s6, 0xffe0
	s_mov_b32 s7, -1
	v_cmp_gt_i64_e32 vcc, s[6:7], v[66:67]
	s_mov_b64 s[6:7], 0
	v_writelane_b32 v70, s6, 2
	v_writelane_b32 v70, s7, 3
	s_and_saveexec_b64 s[6:7], vcc
	s_xor_b64 s[6:7], exec, s[6:7]
	s_cbranch_execnz .LBB7_61
; %bb.30:
	s_andn2_saveexec_b64 s[10:11], s[6:7]
	s_cbranch_execz .LBB7_48
.LBB7_31:
	v_cmp_lt_i64_e32 vcc, v[60:61], v[64:65]
	s_and_saveexec_b64 s[12:13], vcc
	s_cbranch_execz .LBB7_47
; %bb.32:
	s_mov_b64 s[14:15], 0
	s_waitcnt vmcnt(0)
	v_pk_mov_b32 v[0:1], v[44:45], v[44:45] op_sel:[0,1]
	v_pk_mov_b32 v[4:5], v[46:47], v[46:47] op_sel:[0,1]
	s_branch .LBB7_34
.LBB7_33:                               ;   in Loop: Header=BB7_34 Depth=1
	s_or_b64 exec, exec, s[16:17]
	s_and_b64 s[6:7], exec, vcc
	v_add_co_u32_e32 v0, vcc, 0x80, v0
	s_or_b64 s[14:15], s[6:7], s[14:15]
	v_addc_co_u32_e32 v1, vcc, 0, v1, vcc
	v_pk_mov_b32 v[4:5], v[2:3], v[2:3] op_sel:[0,1]
	s_andn2_b64 exec, exec, s[14:15]
	s_cbranch_execz .LBB7_47
.LBB7_34:                               ; =>This Loop Header: Depth=1
                                        ;     Child Loop BB7_37 Depth 2
                                        ;       Child Loop BB7_40 Depth 3
                                        ;       Child Loop BB7_45 Depth 3
	v_add_co_u32_e32 v2, vcc, 0x80, v4
	v_addc_co_u32_e32 v3, vcc, 0, v5, vcc
	v_sub_co_u32_e32 v6, vcc, v42, v2
	v_subb_co_u32_e32 v7, vcc, v43, v3, vcc
	v_cmp_lt_i64_e64 s[6:7], 0, v[6:7]
	v_add_co_u32_e64 v8, s[8:9], 4, v4
	v_cmp_gt_i64_e32 vcc, 1, v[6:7]
	v_cndmask_b32_e64 v7, v43, v3, s[6:7]
	v_cndmask_b32_e64 v6, v42, v2, s[6:7]
	v_addc_co_u32_e64 v9, s[8:9], 0, v5, s[8:9]
	v_cmp_ne_u64_e64 s[6:7], v[4:5], v[6:7]
	v_cmp_ne_u64_e64 s[8:9], v[8:9], v[6:7]
	s_and_b64 s[6:7], s[6:7], s[8:9]
	s_and_saveexec_b64 s[16:17], s[6:7]
	s_cbranch_execz .LBB7_33
; %bb.35:                               ;   in Loop: Header=BB7_34 Depth=1
	s_mov_b64 s[18:19], -4
	s_mov_b64 s[20:21], 0
	v_pk_mov_b32 v[10:11], v[4:5], v[4:5] op_sel:[0,1]
	v_pk_mov_b32 v[14:15], v[0:1], v[0:1] op_sel:[0,1]
	s_branch .LBB7_37
.LBB7_36:                               ;   in Loop: Header=BB7_37 Depth=2
	s_or_b64 exec, exec, s[8:9]
	v_add_co_u32_e64 v8, s[6:7], 4, v8
	v_addc_co_u32_e64 v9, s[6:7], 0, v9, s[6:7]
	v_add_co_u32_e64 v10, s[6:7], 4, v10
	v_addc_co_u32_e64 v11, s[6:7], 0, v11, s[6:7]
	s_add_u32 s18, s18, -4
	s_addc_u32 s19, s19, -1
	v_cmp_eq_u64_e64 s[6:7], v[8:9], v[6:7]
	s_or_b64 s[20:21], s[6:7], s[20:21]
	v_pk_mov_b32 v[14:15], v[12:13], v[12:13] op_sel:[0,1]
	global_store_dword v[18:19], v20, off
	global_store_dword v[16:17], v21, off
	s_andn2_b64 exec, exec, s[20:21]
	s_cbranch_execz .LBB7_33
.LBB7_37:                               ;   Parent Loop BB7_34 Depth=1
                                        ; =>  This Loop Header: Depth=2
                                        ;       Child Loop BB7_40 Depth 3
                                        ;       Child Loop BB7_45 Depth 3
	global_load_dword v20, v[8:9], off
	global_load_dword v16, v[4:5], off
	global_load_dword v21, v[14:15], off offset:4
	global_load_dword v17, v[0:1], off
	v_add_co_u32_e64 v12, s[6:7], 4, v14
	v_addc_co_u32_e64 v13, s[6:7], 0, v15, s[6:7]
	s_waitcnt vmcnt(2)
	v_cmp_gt_i32_e64 s[6:7], v20, v16
	v_cndmask_b32_e64 v16, 0, 1, s[6:7]
	s_waitcnt vmcnt(0)
	v_cmp_gt_i32_e64 s[6:7], v21, v17
	v_cndmask_b32_e64 v18, 0, 1, s[6:7]
	v_cmp_eq_u32_e64 s[6:7], v21, v17
	v_cndmask_b32_e64 v16, v18, v16, s[6:7]
	v_and_b32_e32 v16, 1, v16
	v_cmp_eq_u32_e64 s[6:7], 1, v16
	s_xor_b64 s[6:7], s[6:7], -1
                                        ; implicit-def: $vgpr16_vgpr17
                                        ; implicit-def: $vgpr18_vgpr19
	s_and_saveexec_b64 s[8:9], s[6:7]
	s_xor_b64 s[22:23], exec, s[8:9]
	s_cbranch_execz .LBB7_43
; %bb.38:                               ;   in Loop: Header=BB7_37 Depth=2
	global_load_dword v22, v[10:11], off
	global_load_dword v18, v[14:15], off
	v_pk_mov_b32 v[16:17], v[12:13], v[12:13] op_sel:[0,1]
	s_waitcnt vmcnt(1)
	v_cmp_gt_i32_e64 s[6:7], v20, v22
	v_cndmask_b32_e64 v19, 0, 1, s[6:7]
	s_waitcnt vmcnt(0)
	v_cmp_gt_i32_e64 s[6:7], v21, v18
	v_cndmask_b32_e64 v23, 0, 1, s[6:7]
	v_cmp_eq_u32_e64 s[6:7], v21, v18
	v_cndmask_b32_e64 v18, v23, v19, s[6:7]
	v_and_b32_e32 v18, 1, v18
	v_cmp_eq_u32_e64 s[6:7], 1, v18
	v_pk_mov_b32 v[18:19], v[8:9], v[8:9] op_sel:[0,1]
	s_and_saveexec_b64 s[24:25], s[6:7]
	s_cbranch_execz .LBB7_42
; %bb.39:                               ;   in Loop: Header=BB7_37 Depth=2
	s_mov_b64 s[26:27], 0
	s_mov_b64 s[28:29], 0
.LBB7_40:                               ;   Parent Loop BB7_34 Depth=1
                                        ;     Parent Loop BB7_37 Depth=2
                                        ; =>    This Inner Loop Header: Depth=3
	v_mov_b32_e32 v17, s29
	v_add_co_u32_e64 v18, s[8:9], s28, v8
	v_add_co_u32_e64 v16, s[6:7], s28, v14
	v_addc_co_u32_e64 v19, s[8:9], v9, v17, s[8:9]
	v_addc_co_u32_e64 v17, s[6:7], v15, v17, s[6:7]
	global_store_dword v[18:19], v22, off
	global_load_dwordx2 v[24:25], v[16:17], off offset:-4
	s_waitcnt vmcnt(0)
	v_cmp_gt_i32_e64 s[6:7], v21, v24
	global_store_dword v[16:17], v25, off offset:4
	global_load_dword v22, v[18:19], off offset:-8
	v_cndmask_b32_e64 v16, 0, 1, s[6:7]
	s_waitcnt vmcnt(0)
	v_cmp_gt_i32_e64 s[6:7], v20, v22
	v_cndmask_b32_e64 v17, 0, 1, s[6:7]
	v_cmp_eq_u32_e64 s[6:7], v21, v24
	v_cndmask_b32_e64 v16, v16, v17, s[6:7]
	v_and_b32_e32 v16, 1, v16
	v_cmp_eq_u32_e64 s[6:7], 1, v16
	s_xor_b64 s[8:9], s[6:7], -1
	s_add_u32 s28, s28, -4
	s_addc_u32 s29, s29, -1
	v_mov_b32_e32 v17, s29
	v_add_co_u32_e64 v23, s[6:7], s28, v14
	v_mov_b32_e32 v16, s29
	s_and_b64 s[30:31], exec, s[8:9]
	v_add_co_u32_e64 v18, s[8:9], s28, v8
	v_addc_co_u32_e64 v17, s[6:7], v15, v17, s[6:7]
	v_addc_co_u32_e64 v19, s[8:9], v9, v16, s[8:9]
	v_add_co_u32_e64 v16, s[6:7], 4, v23
	s_or_b64 s[26:27], s[30:31], s[26:27]
	v_addc_co_u32_e64 v17, s[6:7], 0, v17, s[6:7]
	s_andn2_b64 exec, exec, s[26:27]
	s_cbranch_execnz .LBB7_40
; %bb.41:                               ;   in Loop: Header=BB7_37 Depth=2
	s_or_b64 exec, exec, s[26:27]
.LBB7_42:                               ;   in Loop: Header=BB7_37 Depth=2
	s_or_b64 exec, exec, s[24:25]
                                        ; implicit-def: $vgpr14_vgpr15
.LBB7_43:                               ;   in Loop: Header=BB7_37 Depth=2
	s_andn2_saveexec_b64 s[8:9], s[22:23]
	s_cbranch_execz .LBB7_36
; %bb.44:                               ;   in Loop: Header=BB7_37 Depth=2
	s_mov_b64 s[22:23], 0
.LBB7_45:                               ;   Parent Loop BB7_34 Depth=1
                                        ;     Parent Loop BB7_37 Depth=2
                                        ; =>    This Inner Loop Header: Depth=3
	v_mov_b32_e32 v18, s23
	v_add_co_u32_e64 v16, s[6:7], s22, v10
	v_addc_co_u32_e64 v17, s[6:7], v11, v18, s[6:7]
	global_load_dword v19, v[16:17], off
	v_add_co_u32_e64 v22, s[6:7], s22, v14
	v_addc_co_u32_e64 v23, s[6:7], v15, v18, s[6:7]
	s_add_u32 s22, s22, -4
	s_addc_u32 s23, s23, -1
	s_cmp_eq_u64 s[18:19], s[22:23]
	s_waitcnt vmcnt(0)
	global_store_dword v[16:17], v19, off offset:4
	global_load_dword v24, v[22:23], off
	v_pk_mov_b32 v[16:17], v[0:1], v[0:1] op_sel:[0,1]
	v_pk_mov_b32 v[18:19], v[4:5], v[4:5] op_sel:[0,1]
	s_waitcnt vmcnt(0)
	global_store_dword v[22:23], v24, off offset:4
	s_cbranch_scc0 .LBB7_45
	s_branch .LBB7_36
.LBB7_46:
	s_mov_b64 s[6:7], 0
	v_writelane_b32 v70, s6, 2
	v_writelane_b32 v70, s7, 3
	s_mov_b64 s[6:7], -1
	s_branch .LBB7_49
.LBB7_47:
	s_or_b64 exec, exec, s[12:13]
.LBB7_48:
	s_or_b64 exec, exec, s[10:11]
	s_mov_b64 s[6:7], 0
.LBB7_49:
	s_and_b64 vcc, exec, s[6:7]
	s_cbranch_vccnz .LBB7_58
.LBB7_50:
	v_readlane_b32 s6, v70, 2
	v_readlane_b32 s7, v70, 3
	s_and_b64 s[34:35], s[6:7], exec
	v_readlane_b32 s6, v70, 0
	v_readlane_b32 s7, v70, 1
	s_andn2_b64 s[6:7], s[6:7], exec
	v_writelane_b32 v70, s6, 0
	v_writelane_b32 v70, s7, 1
.LBB7_51:
	v_readlane_b32 s6, v70, 4
	v_readlane_b32 s7, v70, 5
	s_or_b64 exec, exec, s[6:7]
	s_mov_b64 s[6:7], exec
	v_readlane_b32 s8, v70, 0
	v_readlane_b32 s9, v70, 1
	s_and_b64 s[8:9], s[6:7], s[8:9]
	s_waitcnt lgkmcnt(0)
	s_xor_b64 s[26:27], s[8:9], s[6:7]
	s_mov_b64 exec, s[8:9]
	s_cbranch_execz .LBB7_53
; %bb.52:
	s_add_u32 s8, s4, 0x78
	s_addc_u32 s9, s5, 0
	s_getpc_b64 s[6:7]
	s_add_u32 s6, s6, .str.2@rel32@lo+4
	s_addc_u32 s7, s7, .str.2@rel32@hi+12
	s_getpc_b64 s[10:11]
	s_add_u32 s10, s10, .str.1@rel32@lo+4
	s_addc_u32 s11, s11, .str.1@rel32@hi+12
	s_getpc_b64 s[12:13]
	s_add_u32 s12, s12, __PRETTY_FUNCTION__._Z24prepareReconstructArraysPKiS0_S0_S0_S0_S0_S0_PKjS2_iPiS3_S3_iiii@rel32@lo+4
	s_addc_u32 s13, s13, __PRETTY_FUNCTION__._Z24prepareReconstructArraysPKiS0_S0_S0_S0_S0_S0_PKjS2_iPiS3_S3_iiii@rel32@hi+12
	s_waitcnt vmcnt(0)
	v_mov_b32_e32 v0, s6
	v_mov_b32_e32 v1, s7
	;; [unrolled: 1-line block ×7, first 2 shown]
	s_getpc_b64 s[14:15]
	s_add_u32 s14, s14, __assert_fail@rel32@lo+4
	s_addc_u32 s15, s15, __assert_fail@rel32@hi+12
	s_mov_b64 s[28:29], s[4:5]
	s_swappc_b64 s[30:31], s[14:15]
	s_mov_b64 s[4:5], s[28:29]
	s_or_b64 s[34:35], s[34:35], exec
.LBB7_53:
	s_or_b64 exec, exec, s[26:27]
	s_and_b64 s[6:7], s[34:35], exec
.LBB7_54:
	s_or_b64 exec, exec, s[58:59]
	s_and_b64 s[26:27], s[6:7], exec
	s_andn2_saveexec_b64 s[28:29], s[96:97]
	s_cbranch_execnz .LBB7_25
.LBB7_55:
	s_or_b64 exec, exec, s[28:29]
	s_and_b64 exec, exec, s[26:27]
.LBB7_56:
	; divergent unreachable
.LBB7_57:
	s_endpgm
.LBB7_58:
	v_writelane_b32 v70, s58, 8
	v_writelane_b32 v70, s59, 9
	v_lshlrev_b64 v[40:41], 3, v[56:57]
	s_add_u32 s8, s4, 0x78
	s_waitcnt vmcnt(0)
	v_alignbit_b32 v1, v57, v56, 29
	s_addc_u32 s9, s5, 0
	v_mov_b32_e32 v0, v40
	v_writelane_b32 v70, s4, 10
	s_getpc_b64 s[6:7]
	s_add_u32 s6, s6, __ockl_dm_alloc@rel32@lo+4
	s_addc_u32 s7, s7, __ockl_dm_alloc@rel32@hi+12
	v_writelane_b32 v70, s5, 11
	s_swappc_b64 s[30:31], s[6:7]
	v_readlane_b32 s4, v70, 10
	v_readlane_b32 s5, v70, 11
	s_mov_b64 s[6:7], 0
	v_cmp_ne_u64_e32 vcc, 0, v[0:1]
	s_and_saveexec_b64 s[8:9], vcc
	s_xor_b64 s[8:9], exec, s[8:9]
	s_cbranch_execnz .LBB7_64
.LBB7_59:
	s_or_saveexec_b64 s[24:25], s[8:9]
	v_readlane_b32 s58, v70, 8
	v_readlane_b32 s59, v70, 9
	s_xor_b64 exec, exec, s[24:25]
	s_cbranch_execnz .LBB7_72
.LBB7_60:
	s_or_b64 exec, exec, s[24:25]
	s_branch .LBB7_50
.LBB7_61:
	v_writelane_b32 v70, s6, 6
	v_writelane_b32 v70, s7, 7
	;; [unrolled: 1-line block ×4, first 2 shown]
	v_lshlrev_b64 v[40:41], 3, v[56:57]
	s_add_u32 s8, s4, 0x78
	v_alignbit_b32 v1, v57, v56, 29
	v_writelane_b32 v70, s4, 10
	s_addc_u32 s9, s5, 0
	v_mov_b32_e32 v0, v40
	v_writelane_b32 v70, s5, 11
	s_getpc_b64 s[4:5]
	s_add_u32 s4, s4, __ockl_dm_alloc@rel32@lo+4
	s_addc_u32 s5, s5, __ockl_dm_alloc@rel32@hi+12
	s_swappc_b64 s[30:31], s[4:5]
	s_mov_b64 s[26:27], 0
	v_cmp_ne_u64_e32 vcc, 0, v[0:1]
	s_and_saveexec_b64 s[4:5], vcc
	s_xor_b64 s[24:25], exec, s[4:5]
	s_cbranch_execnz .LBB7_205
.LBB7_62:
	s_or_saveexec_b64 s[24:25], s[24:25]
	v_readlane_b32 s4, v70, 10
	v_readlane_b32 s58, v70, 8
	;; [unrolled: 1-line block ×4, first 2 shown]
	s_xor_b64 exec, exec, s[24:25]
	s_cbranch_execnz .LBB7_222
.LBB7_63:
	s_or_b64 exec, exec, s[24:25]
	s_and_b64 s[6:7], s[26:27], exec
	v_writelane_b32 v70, s6, 2
	v_writelane_b32 v70, s7, 3
	v_readlane_b32 s6, v70, 6
	v_readlane_b32 s7, v70, 7
	s_andn2_saveexec_b64 s[10:11], s[6:7]
	s_cbranch_execnz .LBB7_31
	s_branch .LBB7_48
.LBB7_64:
	v_lshlrev_b64 v[2:3], 2, v[66:67]
	v_sub_co_u32_e32 v2, vcc, 0, v2
	v_writelane_b32 v70, s8, 12
	v_subb_co_u32_e32 v3, vcc, 0, v3, vcc
	v_pk_mov_b32 v[4:5], v[0:1], v[0:1] op_sel:[0,1]
	v_pk_mov_b32 v[6:7], v[44:45], v[44:45] op_sel:[0,1]
	;; [unrolled: 1-line block ×3, first 2 shown]
	v_writelane_b32 v70, s9, 13
.LBB7_65:                               ; =>This Inner Loop Header: Depth=1
	global_load_dword v10, v[8:9], off
	global_load_dword v11, v[6:7], off
	v_add_co_u32_e32 v8, vcc, 4, v8
	v_addc_co_u32_e32 v9, vcc, 0, v9, vcc
	v_add_co_u32_e32 v6, vcc, 4, v6
	v_addc_co_u32_e32 v7, vcc, 0, v7, vcc
	v_add_co_u32_e32 v2, vcc, -4, v2
	v_addc_co_u32_e32 v3, vcc, -1, v3, vcc
	v_cmp_eq_u64_e32 vcc, 0, v[2:3]
	s_or_b64 s[6:7], vcc, s[6:7]
	s_waitcnt vmcnt(0)
	global_store_dwordx2 v[4:5], v[10:11], off
	v_add_co_u32_e32 v4, vcc, 8, v4
	v_addc_co_u32_e32 v5, vcc, 0, v5, vcc
	s_andn2_b64 exec, exec, s[6:7]
	s_cbranch_execnz .LBB7_65
; %bb.66:
	s_or_b64 exec, exec, s[6:7]
	v_mul_hi_u32 v2, v68, 3
	v_sub_u32_e32 v3, v68, v2
	v_lshrrev_b32_e32 v3, 1, v3
	v_add_u32_e32 v2, v3, v2
	v_lshrrev_b32_e32 v2, 30, v2
	s_brev_b32 s6, -2
	v_mul_lo_u32 v2, v2, s6
	v_sub_u32_e32 v2, v68, v2
	v_not_b32_e32 v3, v66
	v_max_u32_e32 v7, 1, v2
	v_not_b32_e32 v2, v67
	v_ffbh_u32_e32 v3, v3
	v_add_u32_e32 v3, 32, v3
	v_ffbh_u32_e32 v2, v2
	v_min_u32_e32 v2, v3, v2
	v_sub_co_u32_e32 v2, vcc, 64, v2
	v_cmp_lt_u64_e32 vcc, 16, v[56:57]
	v_cndmask_b32_e32 v6, 4, v2, vcc
	v_lshrrev_b32_e32 v3, 1, v6
	v_lshlrev_b64 v[4:5], v3, -1
	v_sub_co_u32_e32 v5, vcc, v6, v3
	v_lshlrev_b64 v[8:9], v5, -1
	s_mov_b32 s6, 0xbc8f1391
	v_not_b32_e32 v2, v4
	v_not_b32_e32 v4, v8
	v_mul_hi_u32 v8, v7, s6
	v_lshrrev_b32_e32 v8, 15, v8
	v_mul_u32_u24_e32 v9, 0xadc8, v8
	v_sub_u32_e32 v7, v7, v9
	s_mov_b32 s7, 0xbc8f
	v_mul_lo_u32 v7, v7, s7
	v_mul_u32_u24_e32 v8, 0xd47, v8
	v_xor_b32_e32 v9, 0x7fffffff, v8
	v_sub_u32_e32 v10, 0, v8
	v_cmp_lt_u32_e32 vcc, v7, v8
	v_cndmask_b32_e32 v8, v10, v9, vcc
	v_add_u32_e32 v14, v8, v7
	v_mul_hi_u32 v7, v14, s6
	v_lshrrev_b32_e32 v7, 15, v7
	v_mul_u32_u24_e32 v8, 0xadc8, v7
	v_sub_u32_e32 v8, v14, v8
	v_mul_lo_u32 v8, v8, s7
	v_mul_u32_u24_e32 v7, 0xd47, v7
	v_xor_b32_e32 v9, 0x7fffffff, v7
	v_sub_u32_e32 v10, 0, v7
	v_cmp_lt_u32_e32 vcc, v8, v7
	v_cndmask_b32_e32 v7, v10, v9, vcc
	v_add_u32_e32 v15, v7, v8
	v_mul_hi_u32 v7, v15, s6
	v_lshrrev_b32_e32 v7, 15, v7
	v_mul_u32_u24_e32 v8, 0xadc8, v7
	v_sub_u32_e32 v8, v15, v8
	;; [unrolled: 11-line block ×23, first 2 shown]
	v_mul_lo_u32 v8, v8, s7
	v_mul_u32_u24_e32 v7, 0xd47, v7
	v_xor_b32_e32 v9, 0x7fffffff, v7
	v_sub_u32_e32 v10, 0, v7
	v_cmp_lt_u32_e32 vcc, v8, v7
	v_cndmask_b32_e32 v7, v10, v9, vcc
	v_add_u32_e32 v37, v7, v8
	v_and_b32_e32 v7, v2, v14
	s_mov_b32 s12, 0xb1ce6e93
	v_mad_u64_u32 v[8:9], s[6:7], v7, s12, 0
	v_mov_b32_e32 v10, v9
	s_mov_b32 s13, 0xd2b74407
	v_sub_u32_e32 v38, v5, v3
	v_mad_u64_u32 v[10:11], s[6:7], v7, s13, v[10:11]
	v_lshlrev_b32_e32 v7, v38, v8
	v_xor_b32_e32 v8, v15, v10
	v_and_b32_e32 v11, v8, v2
	v_mad_u64_u32 v[8:9], s[6:7], v11, s12, 0
	v_mov_b32_e32 v10, v9
	v_and_b32_e32 v7, v7, v4
	v_mad_u64_u32 v[10:11], s[6:7], v11, s13, v[10:11]
	v_lshrrev_b32_e32 v9, v3, v7
	v_xor_b32_e32 v7, v10, v7
	v_xor_b32_e32 v7, v16, v7
	v_lshl_or_b32 v8, v8, v38, v9
	v_and_b32_e32 v7, v7, v2
	v_and_b32_e32 v12, v8, v4
	v_mad_u64_u32 v[8:9], s[6:7], v7, s12, 0
	v_mov_b32_e32 v10, v9
	v_mad_u64_u32 v[10:11], s[6:7], v7, s13, v[10:11]
	v_lshrrev_b32_e32 v7, v3, v12
	v_lshl_or_b32 v7, v8, v38, v7
	v_xor_b32_e32 v8, v10, v12
	v_xor_b32_e32 v8, v17, v8
	v_and_b32_e32 v11, v8, v2
	v_mad_u64_u32 v[8:9], s[6:7], v11, s12, 0
	v_mov_b32_e32 v10, v9
	v_and_b32_e32 v7, v7, v4
	v_mad_u64_u32 v[10:11], s[6:7], v11, s13, v[10:11]
	v_lshrrev_b32_e32 v9, v3, v7
	v_xor_b32_e32 v7, v10, v7
	v_xor_b32_e32 v7, v18, v7
	v_lshl_or_b32 v8, v8, v38, v9
	v_and_b32_e32 v7, v7, v2
	v_and_b32_e32 v12, v8, v4
	v_mad_u64_u32 v[8:9], s[6:7], v7, s12, 0
	v_mov_b32_e32 v10, v9
	v_mad_u64_u32 v[10:11], s[6:7], v7, s13, v[10:11]
	v_lshrrev_b32_e32 v7, v3, v12
	v_lshl_or_b32 v7, v8, v38, v7
	v_xor_b32_e32 v8, v10, v12
	;; [unrolled: 18-line block ×11, first 2 shown]
	v_xor_b32_e32 v8, v37, v8
	v_mov_b32_e32 v9, 0
	v_and_b32_e32 v8, v8, v2
	v_and_b32_e32 v7, v7, v4
	v_lshlrev_b64 v[10:11], v5, v[8:9]
	v_or_b32_e32 v10, v10, v7
	s_mov_b32 s10, 0
	v_cmp_lt_u64_e32 vcc, v[10:11], v[56:57]
	s_and_saveexec_b64 s[8:9], vcc
	s_cbranch_execz .LBB7_68
; %bb.67:
	v_lshlrev_b64 v[10:11], 3, v[10:11]
	v_add_co_u32_e64 v10, s[6:7], v0, v10
	v_addc_co_u32_e64 v11, s[6:7], v1, v11, s[6:7]
	global_load_dwordx2 v[10:11], v[10:11], off
	s_waitcnt vmcnt(0)
	global_store_dword v[46:47], v10, off
	global_store_dword v[44:45], v11, off
.LBB7_68:
	s_or_b64 exec, exec, s[8:9]
	v_cndmask_b32_e64 v10, 0, 1, vcc
	v_add_co_u32_e32 v39, vcc, -4, v44
	v_addc_co_u32_e32 v48, vcc, -1, v45, vcc
	v_add_co_u32_e32 v49, vcc, -4, v46
	s_mov_b64 s[8:9], 1
	v_lshlrev_b64 v[6:7], v6, 1
	v_mov_b32_e32 v11, s10
	v_addc_co_u32_e32 v50, vcc, -1, v47, vcc
	s_mov_b64 s[10:11], 0
	s_branch .LBB7_70
.LBB7_69:                               ;   in Loop: Header=BB7_70 Depth=1
	s_or_b64 exec, exec, s[6:7]
	s_add_u32 s8, s8, 1
	s_addc_u32 s9, s9, 0
	v_cmp_eq_u64_e32 vcc, s[8:9], v[6:7]
	s_or_b64 s[10:11], vcc, s[10:11]
	s_andn2_b64 exec, exec, s[10:11]
	s_cbranch_execz .LBB7_188
.LBB7_70:                               ; =>This Inner Loop Header: Depth=1
	v_lshrrev_b64 v[12:13], v5, s[8:9]
	v_mad_u64_u32 v[52:53], s[6:7], v12, s12, 0
	v_mov_b32_e32 v8, v53
	v_and_b32_e32 v51, s8, v4
	v_mad_u64_u32 v[12:13], s[6:7], v12, s13, v[8:9]
	v_xor_b32_e32 v12, v12, v51
	v_xor_b32_e32 v12, v14, v12
	v_lshrrev_b32_e32 v8, v3, v51
	v_and_b32_e32 v51, v12, v2
	v_lshl_or_b32 v8, v52, v38, v8
	v_mad_u64_u32 v[12:13], s[6:7], v51, s12, 0
	v_and_b32_e32 v54, v8, v4
	v_mov_b32_e32 v8, v13
	v_mad_u64_u32 v[52:53], s[6:7], v51, s13, v[8:9]
	v_lshrrev_b32_e32 v8, v3, v54
	v_lshl_or_b32 v8, v12, v38, v8
	v_xor_b32_e32 v12, v52, v54
	v_xor_b32_e32 v12, v15, v12
	v_and_b32_e32 v51, v12, v2
	v_mad_u64_u32 v[12:13], s[6:7], v51, s12, 0
	v_and_b32_e32 v54, v8, v4
	v_mov_b32_e32 v8, v13
	v_mad_u64_u32 v[52:53], s[6:7], v51, s13, v[8:9]
	v_lshrrev_b32_e32 v8, v3, v54
	v_lshl_or_b32 v8, v12, v38, v8
	v_xor_b32_e32 v12, v52, v54
	v_xor_b32_e32 v12, v16, v12
	v_and_b32_e32 v51, v12, v2
	;; [unrolled: 9-line block ×23, first 2 shown]
	v_and_b32_e32 v51, v12, v4
	v_lshlrev_b64 v[12:13], v5, v[8:9]
	v_or_b32_e32 v12, v12, v51
	v_cmp_lt_u64_e32 vcc, v[12:13], v[56:57]
	v_cndmask_b32_e64 v8, 0, 1, vcc
	v_add_co_u32_e64 v10, s[6:7], v10, v8
	v_addc_co_u32_e64 v11, s[6:7], 0, v11, s[6:7]
	s_and_saveexec_b64 s[6:7], vcc
	s_cbranch_execz .LBB7_69
; %bb.71:                               ;   in Loop: Header=BB7_70 Depth=1
	v_lshlrev_b64 v[12:13], 3, v[12:13]
	v_add_co_u32_e32 v12, vcc, v0, v12
	v_addc_co_u32_e32 v13, vcc, v1, v13, vcc
	global_load_dwordx2 v[12:13], v[12:13], off
	v_lshlrev_b64 v[52:53], 2, v[10:11]
	v_add_co_u32_e32 v54, vcc, v39, v52
	v_addc_co_u32_e32 v55, vcc, v48, v53, vcc
	v_add_co_u32_e32 v52, vcc, v49, v52
	v_addc_co_u32_e32 v53, vcc, v50, v53, vcc
	s_waitcnt vmcnt(0)
	global_store_dword v[52:53], v12, off
	global_store_dword v[54:55], v13, off
	s_branch .LBB7_69
.LBB7_72:
	s_add_u32 s8, s4, 0x78
	s_addc_u32 s9, s5, 0
	s_getpc_b64 s[4:5]
	s_add_u32 s4, s4, __ockl_dm_dealloc@rel32@lo+4
	s_addc_u32 s5, s5, __ockl_dm_dealloc@rel32@hi+12
	s_swappc_b64 s[30:31], s[4:5]
	s_load_dwordx2 s[8:9], s[98:99], 0x50
	v_mbcnt_lo_u32_b32 v0, -1, 0
	v_mbcnt_hi_u32_b32 v33, -1, v0
	v_readfirstlane_b32 s4, v33
	v_cmp_eq_u32_e64 s[4:5], s4, v33
	v_pk_mov_b32 v[6:7], 0, 0
	s_and_saveexec_b64 s[6:7], s[4:5]
	s_cbranch_execz .LBB7_78
; %bb.73:
	v_mov_b32_e32 v0, 0
	s_waitcnt lgkmcnt(0)
	global_load_dwordx2 v[4:5], v0, s[8:9] offset:24 glc
	s_waitcnt vmcnt(0)
	buffer_invl2
	buffer_wbinvl1_vol
	global_load_dwordx2 v[2:3], v0, s[8:9] offset:40
	global_load_dwordx2 v[6:7], v0, s[8:9]
	s_waitcnt vmcnt(1)
	v_and_b32_e32 v1, v2, v4
	v_and_b32_e32 v2, v3, v5
	v_mul_lo_u32 v2, v2, 24
	v_mul_hi_u32 v3, v1, 24
	v_mul_lo_u32 v1, v1, 24
	v_add_u32_e32 v3, v3, v2
	s_waitcnt vmcnt(0)
	v_add_co_u32_e32 v2, vcc, v6, v1
	v_addc_co_u32_e32 v3, vcc, v7, v3, vcc
	global_load_dwordx2 v[2:3], v[2:3], off glc
	s_waitcnt vmcnt(0)
	global_atomic_cmpswap_x2 v[6:7], v0, v[2:5], s[8:9] offset:24 glc
	s_waitcnt vmcnt(0)
	buffer_invl2
	buffer_wbinvl1_vol
	v_cmp_ne_u64_e32 vcc, v[6:7], v[4:5]
	s_and_saveexec_b64 s[10:11], vcc
	s_cbranch_execz .LBB7_77
; %bb.74:
	s_mov_b64 s[12:13], 0
.LBB7_75:                               ; =>This Inner Loop Header: Depth=1
	s_sleep 1
	global_load_dwordx2 v[2:3], v0, s[8:9] offset:40
	global_load_dwordx2 v[8:9], v0, s[8:9]
	v_pk_mov_b32 v[4:5], v[6:7], v[6:7] op_sel:[0,1]
	s_waitcnt vmcnt(1)
	v_and_b32_e32 v2, v2, v4
	v_and_b32_e32 v1, v3, v5
	s_waitcnt vmcnt(0)
	v_mad_u64_u32 v[2:3], s[14:15], v2, 24, v[8:9]
	v_mov_b32_e32 v6, v3
	v_mad_u64_u32 v[6:7], s[14:15], v1, 24, v[6:7]
	v_mov_b32_e32 v3, v6
	global_load_dwordx2 v[2:3], v[2:3], off glc
	s_waitcnt vmcnt(0)
	global_atomic_cmpswap_x2 v[6:7], v0, v[2:5], s[8:9] offset:24 glc
	s_waitcnt vmcnt(0)
	buffer_invl2
	buffer_wbinvl1_vol
	v_cmp_eq_u64_e32 vcc, v[6:7], v[4:5]
	s_or_b64 s[12:13], vcc, s[12:13]
	s_andn2_b64 exec, exec, s[12:13]
	s_cbranch_execnz .LBB7_75
; %bb.76:
	s_or_b64 exec, exec, s[12:13]
	v_readlane_b32 s58, v70, 8
	v_readlane_b32 s59, v70, 9
.LBB7_77:
	s_or_b64 exec, exec, s[10:11]
.LBB7_78:
	s_or_b64 exec, exec, s[6:7]
	v_mov_b32_e32 v5, 0
	s_waitcnt lgkmcnt(0)
	global_load_dwordx2 v[8:9], v5, s[8:9] offset:40
	global_load_dwordx4 v[0:3], v5, s[8:9]
	v_readfirstlane_b32 s6, v6
	v_readfirstlane_b32 s7, v7
	s_mov_b64 s[10:11], exec
	s_waitcnt vmcnt(1)
	v_readfirstlane_b32 s12, v8
	v_readfirstlane_b32 s13, v9
	s_and_b64 s[12:13], s[6:7], s[12:13]
	s_mul_i32 s14, s13, 24
	s_mul_hi_u32 s15, s12, 24
	s_mul_i32 s16, s12, 24
	s_add_i32 s14, s15, s14
	v_mov_b32_e32 v4, s14
	s_waitcnt vmcnt(0)
	v_add_co_u32_e32 v8, vcc, s16, v0
	v_addc_co_u32_e32 v9, vcc, v1, v4, vcc
	s_and_saveexec_b64 s[14:15], s[4:5]
	s_cbranch_execz .LBB7_80
; %bb.79:
	v_pk_mov_b32 v[10:11], s[10:11], s[10:11] op_sel:[0,1]
	v_mov_b32_e32 v12, 2
	v_mov_b32_e32 v13, 1
	global_store_dwordx4 v[8:9], v[10:13], off offset:8
.LBB7_80:
	s_or_b64 exec, exec, s[14:15]
	s_lshl_b64 s[10:11], s[12:13], 12
	v_mov_b32_e32 v4, s11
	v_add_co_u32_e32 v2, vcc, s10, v2
	v_addc_co_u32_e32 v3, vcc, v3, v4, vcc
	s_mov_b32 s12, 0
	v_lshlrev_b32_e32 v32, 6, v33
	v_add_co_u32_e32 v10, vcc, v2, v32
	v_mov_b32_e32 v4, 33
	v_mov_b32_e32 v6, v5
	;; [unrolled: 1-line block ×3, first 2 shown]
	v_readfirstlane_b32 s10, v2
	v_readfirstlane_b32 s11, v3
	s_mov_b32 s13, s12
	v_addc_co_u32_e32 v11, vcc, 0, v3, vcc
	s_mov_b32 s14, s12
	s_mov_b32 s15, s12
	s_nop 0
	global_store_dwordx4 v32, v[4:7], s[10:11]
	v_pk_mov_b32 v[2:3], s[12:13], s[12:13] op_sel:[0,1]
	v_pk_mov_b32 v[4:5], s[14:15], s[14:15] op_sel:[0,1]
	global_store_dwordx4 v32, v[2:5], s[10:11] offset:16
	global_store_dwordx4 v32, v[2:5], s[10:11] offset:32
	global_store_dwordx4 v32, v[2:5], s[10:11] offset:48
	s_and_saveexec_b64 s[10:11], s[4:5]
	s_cbranch_execz .LBB7_88
; %bb.81:
	v_mov_b32_e32 v6, 0
	global_load_dwordx2 v[14:15], v6, s[8:9] offset:32 glc
	global_load_dwordx2 v[2:3], v6, s[8:9] offset:40
	v_mov_b32_e32 v12, s6
	v_mov_b32_e32 v13, s7
	s_waitcnt vmcnt(0)
	v_and_b32_e32 v2, s6, v2
	v_and_b32_e32 v3, s7, v3
	v_mul_lo_u32 v3, v3, 24
	v_mul_hi_u32 v4, v2, 24
	v_mul_lo_u32 v2, v2, 24
	v_add_u32_e32 v3, v4, v3
	v_add_co_u32_e32 v4, vcc, v0, v2
	v_addc_co_u32_e32 v5, vcc, v1, v3, vcc
	global_store_dwordx2 v[4:5], v[14:15], off
	buffer_wbl2
	s_waitcnt vmcnt(0)
	global_atomic_cmpswap_x2 v[2:3], v6, v[12:15], s[8:9] offset:32 glc
	s_waitcnt vmcnt(0)
	v_cmp_ne_u64_e32 vcc, v[2:3], v[14:15]
	s_and_saveexec_b64 s[12:13], vcc
	s_cbranch_execz .LBB7_84
; %bb.82:
	s_mov_b64 s[14:15], 0
.LBB7_83:                               ; =>This Inner Loop Header: Depth=1
	s_sleep 1
	global_store_dwordx2 v[4:5], v[2:3], off
	v_mov_b32_e32 v0, s6
	v_mov_b32_e32 v1, s7
	buffer_wbl2
	s_waitcnt vmcnt(0)
	global_atomic_cmpswap_x2 v[0:1], v6, v[0:3], s[8:9] offset:32 glc
	s_waitcnt vmcnt(0)
	v_cmp_eq_u64_e32 vcc, v[0:1], v[2:3]
	s_or_b64 s[14:15], vcc, s[14:15]
	v_pk_mov_b32 v[2:3], v[0:1], v[0:1] op_sel:[0,1]
	s_andn2_b64 exec, exec, s[14:15]
	s_cbranch_execnz .LBB7_83
.LBB7_84:
	s_or_b64 exec, exec, s[12:13]
	v_mov_b32_e32 v3, 0
	global_load_dwordx2 v[0:1], v3, s[8:9] offset:16
	s_mov_b64 s[12:13], exec
	v_mbcnt_lo_u32_b32 v2, s12, 0
	v_mbcnt_hi_u32_b32 v2, s13, v2
	v_cmp_eq_u32_e32 vcc, 0, v2
	s_and_saveexec_b64 s[14:15], vcc
	s_cbranch_execz .LBB7_86
; %bb.85:
	s_bcnt1_i32_b64 s12, s[12:13]
	v_mov_b32_e32 v2, s12
	buffer_wbl2
	s_waitcnt vmcnt(0)
	global_atomic_add_x2 v[0:1], v[2:3], off offset:8
.LBB7_86:
	s_or_b64 exec, exec, s[14:15]
	s_waitcnt vmcnt(0)
	global_load_dwordx2 v[2:3], v[0:1], off offset:16
	v_readlane_b32 s58, v70, 8
	v_readlane_b32 s59, v70, 9
	s_waitcnt vmcnt(0)
	v_cmp_eq_u64_e32 vcc, 0, v[2:3]
	s_cbranch_vccnz .LBB7_88
; %bb.87:
	global_load_dword v0, v[0:1], off offset:24
	v_mov_b32_e32 v1, 0
	buffer_wbl2
	s_waitcnt vmcnt(0)
	global_store_dwordx2 v[2:3], v[0:1], off
	v_and_b32_e32 v0, 0xffffff, v0
	v_readfirstlane_b32 m0, v0
	s_sendmsg sendmsg(MSG_INTERRUPT)
.LBB7_88:
	s_or_b64 exec, exec, s[10:11]
	s_branch .LBB7_90
.LBB7_89:
	s_branch .LBB7_94
.LBB7_90:                               ; =>This Inner Loop Header: Depth=1
	v_mov_b32_e32 v0, 1
	s_and_saveexec_b64 s[10:11], s[4:5]
	s_cbranch_execz .LBB7_92
; %bb.91:                               ;   in Loop: Header=BB7_90 Depth=1
	global_load_dword v0, v[8:9], off offset:20 glc
	s_waitcnt vmcnt(0)
	buffer_invl2
	buffer_wbinvl1_vol
	v_and_b32_e32 v0, 1, v0
.LBB7_92:                               ;   in Loop: Header=BB7_90 Depth=1
	s_or_b64 exec, exec, s[10:11]
	v_readfirstlane_b32 s10, v0
	s_cmp_eq_u32 s10, 0
	s_cbranch_scc1 .LBB7_89
; %bb.93:                               ;   in Loop: Header=BB7_90 Depth=1
	s_sleep 1
	s_cbranch_execnz .LBB7_90
.LBB7_94:
	global_load_dwordx2 v[4:5], v[10:11], off
	s_and_saveexec_b64 s[10:11], s[4:5]
	s_cbranch_execz .LBB7_97
; %bb.95:
	v_mov_b32_e32 v8, 0
	global_load_dwordx2 v[6:7], v8, s[8:9] offset:40
	global_load_dwordx2 v[10:11], v8, s[8:9] offset:24 glc
	global_load_dwordx2 v[12:13], v8, s[8:9]
	v_mov_b32_e32 v1, s7
	s_mov_b64 s[4:5], 0
	s_waitcnt vmcnt(2)
	v_add_co_u32_e32 v3, vcc, 1, v6
	v_addc_co_u32_e32 v9, vcc, 0, v7, vcc
	v_add_co_u32_e32 v0, vcc, s6, v3
	v_addc_co_u32_e32 v1, vcc, v9, v1, vcc
	v_cmp_eq_u64_e32 vcc, 0, v[0:1]
	v_cndmask_b32_e32 v1, v1, v9, vcc
	v_cndmask_b32_e32 v0, v0, v3, vcc
	v_and_b32_e32 v3, v1, v7
	v_and_b32_e32 v6, v0, v6
	v_mul_lo_u32 v3, v3, 24
	v_mul_hi_u32 v7, v6, 24
	v_mul_lo_u32 v6, v6, 24
	v_add_u32_e32 v3, v7, v3
	s_waitcnt vmcnt(0)
	v_add_co_u32_e32 v6, vcc, v12, v6
	v_addc_co_u32_e32 v7, vcc, v13, v3, vcc
	v_mov_b32_e32 v2, v10
	global_store_dwordx2 v[6:7], v[10:11], off
	v_mov_b32_e32 v3, v11
	buffer_wbl2
	s_waitcnt vmcnt(0)
	global_atomic_cmpswap_x2 v[2:3], v8, v[0:3], s[8:9] offset:24 glc
	s_waitcnt vmcnt(0)
	v_cmp_ne_u64_e32 vcc, v[2:3], v[10:11]
	s_and_b64 exec, exec, vcc
	s_cbranch_execz .LBB7_97
.LBB7_96:                               ; =>This Inner Loop Header: Depth=1
	s_sleep 1
	global_store_dwordx2 v[6:7], v[2:3], off
	buffer_wbl2
	s_waitcnt vmcnt(0)
	global_atomic_cmpswap_x2 v[10:11], v8, v[0:3], s[8:9] offset:24 glc
	s_waitcnt vmcnt(0)
	v_cmp_eq_u64_e32 vcc, v[10:11], v[2:3]
	s_or_b64 s[4:5], vcc, s[4:5]
	v_pk_mov_b32 v[2:3], v[10:11], v[10:11] op_sel:[0,1]
	s_andn2_b64 exec, exec, s[4:5]
	s_cbranch_execnz .LBB7_96
.LBB7_97:
	s_or_b64 exec, exec, s[10:11]
	s_getpc_b64 s[6:7]
	s_add_u32 s6, s6, .str.19@rel32@lo+4
	s_addc_u32 s7, s7, .str.19@rel32@hi+12
	s_cmp_lg_u64 s[6:7], 0
	s_cbranch_scc0 .LBB7_380
; %bb.98:
	s_waitcnt vmcnt(0)
	v_and_b32_e32 v26, 2, v4
	v_mov_b32_e32 v29, 0
	v_and_b32_e32 v0, -3, v4
	v_mov_b32_e32 v1, v5
	s_mov_b64 s[10:11], 4
	v_mov_b32_e32 v8, 2
	v_mov_b32_e32 v9, 1
	s_branch .LBB7_100
.LBB7_99:                               ;   in Loop: Header=BB7_100 Depth=1
	s_or_b64 exec, exec, s[16:17]
	s_sub_u32 s10, s10, s12
	s_subb_u32 s11, s11, s13
	s_add_u32 s6, s6, s12
	s_addc_u32 s7, s7, s13
	s_cmp_lg_u64 s[10:11], 0
	s_cbranch_scc0 .LBB7_381
.LBB7_100:                              ; =>This Loop Header: Depth=1
                                        ;     Child Loop BB7_103 Depth 2
                                        ;     Child Loop BB7_111 Depth 2
	;; [unrolled: 1-line block ×11, first 2 shown]
	v_cmp_lt_u64_e64 s[4:5], s[10:11], 56
	s_and_b64 s[4:5], s[4:5], exec
	v_cmp_gt_u64_e64 s[4:5], s[10:11], 7
	s_cselect_b32 s13, s11, 0
	s_cselect_b32 s12, s10, 56
	s_and_b64 vcc, exec, s[4:5]
	s_cbranch_vccnz .LBB7_105
; %bb.101:                              ;   in Loop: Header=BB7_100 Depth=1
	s_mov_b64 s[4:5], 0
	s_cmp_eq_u64 s[10:11], 0
	s_waitcnt vmcnt(0)
	v_pk_mov_b32 v[2:3], 0, 0
	s_cbranch_scc1 .LBB7_104
; %bb.102:                              ;   in Loop: Header=BB7_100 Depth=1
	s_lshl_b64 s[14:15], s[12:13], 3
	s_mov_b64 s[16:17], 0
	v_pk_mov_b32 v[2:3], 0, 0
	s_mov_b64 s[18:19], s[6:7]
.LBB7_103:                              ;   Parent Loop BB7_100 Depth=1
                                        ; =>  This Inner Loop Header: Depth=2
	global_load_ubyte v6, v29, s[18:19]
	s_waitcnt vmcnt(0)
	v_and_b32_e32 v28, 0xffff, v6
	v_lshlrev_b64 v[6:7], s16, v[28:29]
	s_add_u32 s16, s16, 8
	s_addc_u32 s17, s17, 0
	s_add_u32 s18, s18, 1
	s_addc_u32 s19, s19, 0
	v_or_b32_e32 v2, v6, v2
	s_cmp_lg_u32 s14, s16
	v_or_b32_e32 v3, v7, v3
	s_cbranch_scc1 .LBB7_103
.LBB7_104:                              ;   in Loop: Header=BB7_100 Depth=1
	s_mov_b32 s18, 0
	s_branch .LBB7_106
.LBB7_105:                              ;   in Loop: Header=BB7_100 Depth=1
	s_mov_b64 s[4:5], -1
                                        ; implicit-def: $vgpr2_vgpr3
                                        ; implicit-def: $sgpr18
.LBB7_106:                              ;   in Loop: Header=BB7_100 Depth=1
	s_andn2_b64 vcc, exec, s[4:5]
	s_mov_b64 s[4:5], s[6:7]
	s_cbranch_vccnz .LBB7_108
; %bb.107:                              ;   in Loop: Header=BB7_100 Depth=1
	global_load_dwordx2 v[2:3], v29, s[6:7]
	s_add_i32 s18, s12, -8
	s_add_u32 s4, s6, 8
	s_addc_u32 s5, s7, 0
.LBB7_108:                              ;   in Loop: Header=BB7_100 Depth=1
	s_cmp_gt_u32 s18, 7
	s_cbranch_scc1 .LBB7_112
; %bb.109:                              ;   in Loop: Header=BB7_100 Depth=1
	s_cmp_eq_u32 s18, 0
	s_cbranch_scc1 .LBB7_113
; %bb.110:                              ;   in Loop: Header=BB7_100 Depth=1
	s_mov_b64 s[14:15], 0
	v_pk_mov_b32 v[10:11], 0, 0
	s_mov_b64 s[16:17], 0
.LBB7_111:                              ;   Parent Loop BB7_100 Depth=1
                                        ; =>  This Inner Loop Header: Depth=2
	s_add_u32 s20, s4, s16
	s_addc_u32 s21, s5, s17
	global_load_ubyte v6, v29, s[20:21]
	s_add_u32 s16, s16, 1
	s_addc_u32 s17, s17, 0
	s_waitcnt vmcnt(0)
	v_and_b32_e32 v28, 0xffff, v6
	v_lshlrev_b64 v[6:7], s14, v[28:29]
	s_add_u32 s14, s14, 8
	s_addc_u32 s15, s15, 0
	v_or_b32_e32 v10, v6, v10
	s_cmp_lg_u32 s18, s16
	v_or_b32_e32 v11, v7, v11
	s_cbranch_scc1 .LBB7_111
	s_branch .LBB7_114
.LBB7_112:                              ;   in Loop: Header=BB7_100 Depth=1
	s_mov_b64 s[14:15], -1
                                        ; implicit-def: $vgpr10_vgpr11
                                        ; implicit-def: $sgpr19
	s_branch .LBB7_115
.LBB7_113:                              ;   in Loop: Header=BB7_100 Depth=1
	v_pk_mov_b32 v[10:11], 0, 0
.LBB7_114:                              ;   in Loop: Header=BB7_100 Depth=1
	s_mov_b64 s[14:15], 0
	s_mov_b32 s19, 0
.LBB7_115:                              ;   in Loop: Header=BB7_100 Depth=1
	s_andn2_b64 vcc, exec, s[14:15]
	s_cbranch_vccnz .LBB7_117
; %bb.116:                              ;   in Loop: Header=BB7_100 Depth=1
	global_load_dwordx2 v[10:11], v29, s[4:5]
	s_add_i32 s19, s18, -8
	s_add_u32 s4, s4, 8
	s_addc_u32 s5, s5, 0
.LBB7_117:                              ;   in Loop: Header=BB7_100 Depth=1
	s_cmp_gt_u32 s19, 7
	s_cbranch_scc1 .LBB7_121
; %bb.118:                              ;   in Loop: Header=BB7_100 Depth=1
	s_cmp_eq_u32 s19, 0
	s_cbranch_scc1 .LBB7_122
; %bb.119:                              ;   in Loop: Header=BB7_100 Depth=1
	s_mov_b64 s[14:15], 0
	v_pk_mov_b32 v[12:13], 0, 0
	s_mov_b64 s[16:17], 0
.LBB7_120:                              ;   Parent Loop BB7_100 Depth=1
                                        ; =>  This Inner Loop Header: Depth=2
	s_add_u32 s20, s4, s16
	s_addc_u32 s21, s5, s17
	global_load_ubyte v6, v29, s[20:21]
	s_add_u32 s16, s16, 1
	s_addc_u32 s17, s17, 0
	s_waitcnt vmcnt(0)
	v_and_b32_e32 v28, 0xffff, v6
	v_lshlrev_b64 v[6:7], s14, v[28:29]
	s_add_u32 s14, s14, 8
	s_addc_u32 s15, s15, 0
	v_or_b32_e32 v12, v6, v12
	s_cmp_lg_u32 s19, s16
	v_or_b32_e32 v13, v7, v13
	s_cbranch_scc1 .LBB7_120
	s_branch .LBB7_123
.LBB7_121:                              ;   in Loop: Header=BB7_100 Depth=1
	s_mov_b64 s[14:15], -1
                                        ; implicit-def: $sgpr18
	s_branch .LBB7_124
.LBB7_122:                              ;   in Loop: Header=BB7_100 Depth=1
	v_pk_mov_b32 v[12:13], 0, 0
.LBB7_123:                              ;   in Loop: Header=BB7_100 Depth=1
	s_mov_b64 s[14:15], 0
	s_mov_b32 s18, 0
.LBB7_124:                              ;   in Loop: Header=BB7_100 Depth=1
	s_andn2_b64 vcc, exec, s[14:15]
	s_cbranch_vccnz .LBB7_126
; %bb.125:                              ;   in Loop: Header=BB7_100 Depth=1
	global_load_dwordx2 v[12:13], v29, s[4:5]
	s_add_i32 s18, s19, -8
	s_add_u32 s4, s4, 8
	s_addc_u32 s5, s5, 0
.LBB7_126:                              ;   in Loop: Header=BB7_100 Depth=1
	s_cmp_gt_u32 s18, 7
	s_cbranch_scc1 .LBB7_130
; %bb.127:                              ;   in Loop: Header=BB7_100 Depth=1
	s_cmp_eq_u32 s18, 0
	s_cbranch_scc1 .LBB7_131
; %bb.128:                              ;   in Loop: Header=BB7_100 Depth=1
	s_mov_b64 s[14:15], 0
	v_pk_mov_b32 v[14:15], 0, 0
	s_mov_b64 s[16:17], 0
.LBB7_129:                              ;   Parent Loop BB7_100 Depth=1
                                        ; =>  This Inner Loop Header: Depth=2
	s_add_u32 s20, s4, s16
	s_addc_u32 s21, s5, s17
	global_load_ubyte v6, v29, s[20:21]
	s_add_u32 s16, s16, 1
	s_addc_u32 s17, s17, 0
	s_waitcnt vmcnt(0)
	v_and_b32_e32 v28, 0xffff, v6
	v_lshlrev_b64 v[6:7], s14, v[28:29]
	s_add_u32 s14, s14, 8
	s_addc_u32 s15, s15, 0
	v_or_b32_e32 v14, v6, v14
	s_cmp_lg_u32 s18, s16
	v_or_b32_e32 v15, v7, v15
	s_cbranch_scc1 .LBB7_129
	s_branch .LBB7_132
.LBB7_130:                              ;   in Loop: Header=BB7_100 Depth=1
	s_mov_b64 s[14:15], -1
                                        ; implicit-def: $vgpr14_vgpr15
                                        ; implicit-def: $sgpr19
	s_branch .LBB7_133
.LBB7_131:                              ;   in Loop: Header=BB7_100 Depth=1
	v_pk_mov_b32 v[14:15], 0, 0
.LBB7_132:                              ;   in Loop: Header=BB7_100 Depth=1
	s_mov_b64 s[14:15], 0
	s_mov_b32 s19, 0
.LBB7_133:                              ;   in Loop: Header=BB7_100 Depth=1
	s_andn2_b64 vcc, exec, s[14:15]
	s_cbranch_vccnz .LBB7_135
; %bb.134:                              ;   in Loop: Header=BB7_100 Depth=1
	global_load_dwordx2 v[14:15], v29, s[4:5]
	s_add_i32 s19, s18, -8
	s_add_u32 s4, s4, 8
	s_addc_u32 s5, s5, 0
.LBB7_135:                              ;   in Loop: Header=BB7_100 Depth=1
	s_cmp_gt_u32 s19, 7
	s_cbranch_scc1 .LBB7_139
; %bb.136:                              ;   in Loop: Header=BB7_100 Depth=1
	s_cmp_eq_u32 s19, 0
	s_cbranch_scc1 .LBB7_140
; %bb.137:                              ;   in Loop: Header=BB7_100 Depth=1
	s_mov_b64 s[14:15], 0
	v_pk_mov_b32 v[16:17], 0, 0
	s_mov_b64 s[16:17], 0
.LBB7_138:                              ;   Parent Loop BB7_100 Depth=1
                                        ; =>  This Inner Loop Header: Depth=2
	s_add_u32 s20, s4, s16
	s_addc_u32 s21, s5, s17
	global_load_ubyte v6, v29, s[20:21]
	s_add_u32 s16, s16, 1
	s_addc_u32 s17, s17, 0
	s_waitcnt vmcnt(0)
	v_and_b32_e32 v28, 0xffff, v6
	v_lshlrev_b64 v[6:7], s14, v[28:29]
	s_add_u32 s14, s14, 8
	s_addc_u32 s15, s15, 0
	v_or_b32_e32 v16, v6, v16
	s_cmp_lg_u32 s19, s16
	v_or_b32_e32 v17, v7, v17
	s_cbranch_scc1 .LBB7_138
	s_branch .LBB7_141
.LBB7_139:                              ;   in Loop: Header=BB7_100 Depth=1
	s_mov_b64 s[14:15], -1
                                        ; implicit-def: $sgpr18
	s_branch .LBB7_142
.LBB7_140:                              ;   in Loop: Header=BB7_100 Depth=1
	v_pk_mov_b32 v[16:17], 0, 0
.LBB7_141:                              ;   in Loop: Header=BB7_100 Depth=1
	s_mov_b64 s[14:15], 0
	s_mov_b32 s18, 0
.LBB7_142:                              ;   in Loop: Header=BB7_100 Depth=1
	s_andn2_b64 vcc, exec, s[14:15]
	s_cbranch_vccnz .LBB7_144
; %bb.143:                              ;   in Loop: Header=BB7_100 Depth=1
	global_load_dwordx2 v[16:17], v29, s[4:5]
	s_add_i32 s18, s19, -8
	s_add_u32 s4, s4, 8
	s_addc_u32 s5, s5, 0
.LBB7_144:                              ;   in Loop: Header=BB7_100 Depth=1
	s_cmp_gt_u32 s18, 7
	s_cbranch_scc1 .LBB7_148
; %bb.145:                              ;   in Loop: Header=BB7_100 Depth=1
	s_cmp_eq_u32 s18, 0
	s_cbranch_scc1 .LBB7_149
; %bb.146:                              ;   in Loop: Header=BB7_100 Depth=1
	s_mov_b64 s[14:15], 0
	v_pk_mov_b32 v[18:19], 0, 0
	s_mov_b64 s[16:17], 0
.LBB7_147:                              ;   Parent Loop BB7_100 Depth=1
                                        ; =>  This Inner Loop Header: Depth=2
	s_add_u32 s20, s4, s16
	s_addc_u32 s21, s5, s17
	global_load_ubyte v6, v29, s[20:21]
	s_add_u32 s16, s16, 1
	s_addc_u32 s17, s17, 0
	s_waitcnt vmcnt(0)
	v_and_b32_e32 v28, 0xffff, v6
	v_lshlrev_b64 v[6:7], s14, v[28:29]
	s_add_u32 s14, s14, 8
	s_addc_u32 s15, s15, 0
	v_or_b32_e32 v18, v6, v18
	s_cmp_lg_u32 s18, s16
	v_or_b32_e32 v19, v7, v19
	s_cbranch_scc1 .LBB7_147
	s_branch .LBB7_150
.LBB7_148:                              ;   in Loop: Header=BB7_100 Depth=1
	s_mov_b64 s[14:15], -1
                                        ; implicit-def: $vgpr18_vgpr19
                                        ; implicit-def: $sgpr19
	s_branch .LBB7_151
.LBB7_149:                              ;   in Loop: Header=BB7_100 Depth=1
	v_pk_mov_b32 v[18:19], 0, 0
.LBB7_150:                              ;   in Loop: Header=BB7_100 Depth=1
	s_mov_b64 s[14:15], 0
	s_mov_b32 s19, 0
.LBB7_151:                              ;   in Loop: Header=BB7_100 Depth=1
	s_andn2_b64 vcc, exec, s[14:15]
	s_cbranch_vccnz .LBB7_153
; %bb.152:                              ;   in Loop: Header=BB7_100 Depth=1
	global_load_dwordx2 v[18:19], v29, s[4:5]
	s_add_i32 s19, s18, -8
	s_add_u32 s4, s4, 8
	s_addc_u32 s5, s5, 0
.LBB7_153:                              ;   in Loop: Header=BB7_100 Depth=1
	s_cmp_gt_u32 s19, 7
	s_cbranch_scc1 .LBB7_157
; %bb.154:                              ;   in Loop: Header=BB7_100 Depth=1
	s_cmp_eq_u32 s19, 0
	s_cbranch_scc1 .LBB7_158
; %bb.155:                              ;   in Loop: Header=BB7_100 Depth=1
	s_mov_b64 s[14:15], 0
	v_pk_mov_b32 v[20:21], 0, 0
	s_mov_b64 s[16:17], s[4:5]
.LBB7_156:                              ;   Parent Loop BB7_100 Depth=1
                                        ; =>  This Inner Loop Header: Depth=2
	global_load_ubyte v6, v29, s[16:17]
	s_add_i32 s19, s19, -1
	s_waitcnt vmcnt(0)
	v_and_b32_e32 v28, 0xffff, v6
	v_lshlrev_b64 v[6:7], s14, v[28:29]
	s_add_u32 s14, s14, 8
	s_addc_u32 s15, s15, 0
	s_add_u32 s16, s16, 1
	s_addc_u32 s17, s17, 0
	v_or_b32_e32 v20, v6, v20
	s_cmp_lg_u32 s19, 0
	v_or_b32_e32 v21, v7, v21
	s_cbranch_scc1 .LBB7_156
	s_branch .LBB7_159
.LBB7_157:                              ;   in Loop: Header=BB7_100 Depth=1
	s_mov_b64 s[14:15], -1
	s_branch .LBB7_160
.LBB7_158:                              ;   in Loop: Header=BB7_100 Depth=1
	v_pk_mov_b32 v[20:21], 0, 0
.LBB7_159:                              ;   in Loop: Header=BB7_100 Depth=1
	s_mov_b64 s[14:15], 0
.LBB7_160:                              ;   in Loop: Header=BB7_100 Depth=1
	s_andn2_b64 vcc, exec, s[14:15]
	s_cbranch_vccnz .LBB7_162
; %bb.161:                              ;   in Loop: Header=BB7_100 Depth=1
	global_load_dwordx2 v[20:21], v29, s[4:5]
.LBB7_162:                              ;   in Loop: Header=BB7_100 Depth=1
	v_readfirstlane_b32 s4, v33
	v_cmp_eq_u32_e64 s[4:5], s4, v33
	v_pk_mov_b32 v[6:7], 0, 0
	s_and_saveexec_b64 s[14:15], s[4:5]
	s_cbranch_execz .LBB7_168
; %bb.163:                              ;   in Loop: Header=BB7_100 Depth=1
	global_load_dwordx2 v[24:25], v29, s[8:9] offset:24 glc
	s_waitcnt vmcnt(0)
	buffer_invl2
	buffer_wbinvl1_vol
	global_load_dwordx2 v[6:7], v29, s[8:9] offset:40
	global_load_dwordx2 v[22:23], v29, s[8:9]
	s_waitcnt vmcnt(1)
	v_and_b32_e32 v6, v6, v24
	v_and_b32_e32 v7, v7, v25
	v_mul_lo_u32 v7, v7, 24
	v_mul_hi_u32 v27, v6, 24
	v_mul_lo_u32 v6, v6, 24
	v_add_u32_e32 v7, v27, v7
	s_waitcnt vmcnt(0)
	v_add_co_u32_e32 v6, vcc, v22, v6
	v_addc_co_u32_e32 v7, vcc, v23, v7, vcc
	global_load_dwordx2 v[22:23], v[6:7], off glc
	s_waitcnt vmcnt(0)
	global_atomic_cmpswap_x2 v[6:7], v29, v[22:25], s[8:9] offset:24 glc
	s_waitcnt vmcnt(0)
	buffer_invl2
	buffer_wbinvl1_vol
	v_cmp_ne_u64_e32 vcc, v[6:7], v[24:25]
	s_and_saveexec_b64 s[16:17], vcc
	s_cbranch_execz .LBB7_167
; %bb.164:                              ;   in Loop: Header=BB7_100 Depth=1
	s_mov_b64 s[18:19], 0
.LBB7_165:                              ;   Parent Loop BB7_100 Depth=1
                                        ; =>  This Inner Loop Header: Depth=2
	s_sleep 1
	global_load_dwordx2 v[22:23], v29, s[8:9] offset:40
	global_load_dwordx2 v[30:31], v29, s[8:9]
	v_pk_mov_b32 v[24:25], v[6:7], v[6:7] op_sel:[0,1]
	s_waitcnt vmcnt(1)
	v_and_b32_e32 v6, v22, v24
	s_waitcnt vmcnt(0)
	v_mad_u64_u32 v[6:7], s[20:21], v6, 24, v[30:31]
	v_and_b32_e32 v23, v23, v25
	v_mov_b32_e32 v22, v7
	v_mad_u64_u32 v[22:23], s[20:21], v23, 24, v[22:23]
	v_mov_b32_e32 v7, v22
	global_load_dwordx2 v[22:23], v[6:7], off glc
	s_waitcnt vmcnt(0)
	global_atomic_cmpswap_x2 v[6:7], v29, v[22:25], s[8:9] offset:24 glc
	s_waitcnt vmcnt(0)
	buffer_invl2
	buffer_wbinvl1_vol
	v_cmp_eq_u64_e32 vcc, v[6:7], v[24:25]
	s_or_b64 s[18:19], vcc, s[18:19]
	s_andn2_b64 exec, exec, s[18:19]
	s_cbranch_execnz .LBB7_165
; %bb.166:                              ;   in Loop: Header=BB7_100 Depth=1
	s_or_b64 exec, exec, s[18:19]
.LBB7_167:                              ;   in Loop: Header=BB7_100 Depth=1
	s_or_b64 exec, exec, s[16:17]
.LBB7_168:                              ;   in Loop: Header=BB7_100 Depth=1
	s_or_b64 exec, exec, s[14:15]
	global_load_dwordx2 v[30:31], v29, s[8:9] offset:40
	global_load_dwordx4 v[22:25], v29, s[8:9]
	v_readfirstlane_b32 s14, v6
	v_readfirstlane_b32 s15, v7
	s_mov_b64 s[16:17], exec
	s_waitcnt vmcnt(1)
	v_readfirstlane_b32 s18, v30
	v_readfirstlane_b32 s19, v31
	s_and_b64 s[18:19], s[14:15], s[18:19]
	s_mul_i32 s20, s19, 24
	s_mul_hi_u32 s21, s18, 24
	s_mul_i32 s22, s18, 24
	s_add_i32 s20, s21, s20
	v_mov_b32_e32 v6, s20
	s_waitcnt vmcnt(0)
	v_add_co_u32_e32 v30, vcc, s22, v22
	v_addc_co_u32_e32 v31, vcc, v23, v6, vcc
	s_and_saveexec_b64 s[20:21], s[4:5]
	s_cbranch_execz .LBB7_170
; %bb.169:                              ;   in Loop: Header=BB7_100 Depth=1
	v_pk_mov_b32 v[6:7], s[16:17], s[16:17] op_sel:[0,1]
	global_store_dwordx4 v[30:31], v[6:9], off offset:8
.LBB7_170:                              ;   in Loop: Header=BB7_100 Depth=1
	s_or_b64 exec, exec, s[20:21]
	s_lshl_b64 s[16:17], s[18:19], 12
	v_mov_b32_e32 v7, s17
	v_add_co_u32_e32 v6, vcc, s16, v24
	v_addc_co_u32_e32 v7, vcc, v25, v7, vcc
	v_or_b32_e32 v25, v0, v26
	v_cmp_gt_u64_e64 vcc, s[10:11], 56
	s_lshl_b32 s16, s12, 2
	v_cndmask_b32_e32 v0, v25, v0, vcc
	s_add_i32 s16, s16, 28
	v_or_b32_e32 v24, 0, v1
	s_and_b32 s16, s16, 0x1e0
	v_and_b32_e32 v0, 0xffffff1f, v0
	v_cndmask_b32_e32 v1, v24, v1, vcc
	v_or_b32_e32 v0, s16, v0
	v_readfirstlane_b32 s16, v6
	v_readfirstlane_b32 s17, v7
	s_nop 4
	global_store_dwordx4 v32, v[0:3], s[16:17]
	global_store_dwordx4 v32, v[10:13], s[16:17] offset:16
	global_store_dwordx4 v32, v[14:17], s[16:17] offset:32
	;; [unrolled: 1-line block ×3, first 2 shown]
	s_and_saveexec_b64 s[16:17], s[4:5]
	s_cbranch_execz .LBB7_178
; %bb.171:                              ;   in Loop: Header=BB7_100 Depth=1
	global_load_dwordx2 v[14:15], v29, s[8:9] offset:32 glc
	global_load_dwordx2 v[0:1], v29, s[8:9] offset:40
	v_mov_b32_e32 v12, s14
	v_mov_b32_e32 v13, s15
	s_waitcnt vmcnt(0)
	v_readfirstlane_b32 s18, v0
	v_readfirstlane_b32 s19, v1
	s_and_b64 s[18:19], s[18:19], s[14:15]
	s_mul_i32 s19, s19, 24
	s_mul_hi_u32 s20, s18, 24
	s_mul_i32 s18, s18, 24
	s_add_i32 s19, s20, s19
	v_mov_b32_e32 v0, s19
	v_add_co_u32_e32 v10, vcc, s18, v22
	v_addc_co_u32_e32 v11, vcc, v23, v0, vcc
	global_store_dwordx2 v[10:11], v[14:15], off
	buffer_wbl2
	s_waitcnt vmcnt(0)
	global_atomic_cmpswap_x2 v[2:3], v29, v[12:15], s[8:9] offset:32 glc
	s_waitcnt vmcnt(0)
	v_cmp_ne_u64_e32 vcc, v[2:3], v[14:15]
	s_and_saveexec_b64 s[18:19], vcc
	s_cbranch_execz .LBB7_174
; %bb.172:                              ;   in Loop: Header=BB7_100 Depth=1
	s_mov_b64 s[20:21], 0
.LBB7_173:                              ;   Parent Loop BB7_100 Depth=1
                                        ; =>  This Inner Loop Header: Depth=2
	s_sleep 1
	global_store_dwordx2 v[10:11], v[2:3], off
	v_mov_b32_e32 v0, s14
	v_mov_b32_e32 v1, s15
	buffer_wbl2
	s_waitcnt vmcnt(0)
	global_atomic_cmpswap_x2 v[0:1], v29, v[0:3], s[8:9] offset:32 glc
	s_waitcnt vmcnt(0)
	v_cmp_eq_u64_e32 vcc, v[0:1], v[2:3]
	s_or_b64 s[20:21], vcc, s[20:21]
	v_pk_mov_b32 v[2:3], v[0:1], v[0:1] op_sel:[0,1]
	s_andn2_b64 exec, exec, s[20:21]
	s_cbranch_execnz .LBB7_173
.LBB7_174:                              ;   in Loop: Header=BB7_100 Depth=1
	s_or_b64 exec, exec, s[18:19]
	global_load_dwordx2 v[0:1], v29, s[8:9] offset:16
	s_mov_b64 s[20:21], exec
	v_mbcnt_lo_u32_b32 v2, s20, 0
	v_mbcnt_hi_u32_b32 v2, s21, v2
	v_cmp_eq_u32_e32 vcc, 0, v2
	s_and_saveexec_b64 s[18:19], vcc
	s_cbranch_execz .LBB7_176
; %bb.175:                              ;   in Loop: Header=BB7_100 Depth=1
	s_bcnt1_i32_b64 s20, s[20:21]
	v_mov_b32_e32 v28, s20
	buffer_wbl2
	s_waitcnt vmcnt(0)
	global_atomic_add_x2 v[0:1], v[28:29], off offset:8
.LBB7_176:                              ;   in Loop: Header=BB7_100 Depth=1
	s_or_b64 exec, exec, s[18:19]
	s_waitcnt vmcnt(0)
	global_load_dwordx2 v[2:3], v[0:1], off offset:16
	s_waitcnt vmcnt(0)
	v_cmp_eq_u64_e32 vcc, 0, v[2:3]
	s_cbranch_vccnz .LBB7_178
; %bb.177:                              ;   in Loop: Header=BB7_100 Depth=1
	global_load_dword v28, v[0:1], off offset:24
	s_waitcnt vmcnt(0)
	v_and_b32_e32 v0, 0xffffff, v28
	v_readfirstlane_b32 m0, v0
	buffer_wbl2
	global_store_dwordx2 v[2:3], v[28:29], off
	s_sendmsg sendmsg(MSG_INTERRUPT)
.LBB7_178:                              ;   in Loop: Header=BB7_100 Depth=1
	s_or_b64 exec, exec, s[16:17]
	v_add_co_u32_e32 v0, vcc, v6, v32
	v_addc_co_u32_e32 v1, vcc, 0, v7, vcc
	s_branch .LBB7_180
.LBB7_179:                              ;   in Loop: Header=BB7_100 Depth=1
	s_branch .LBB7_184
.LBB7_180:                              ;   Parent Loop BB7_100 Depth=1
                                        ; =>  This Inner Loop Header: Depth=2
	v_mov_b32_e32 v2, 1
	s_and_saveexec_b64 s[16:17], s[4:5]
	s_cbranch_execz .LBB7_182
; %bb.181:                              ;   in Loop: Header=BB7_180 Depth=2
	global_load_dword v2, v[30:31], off offset:20 glc
	s_waitcnt vmcnt(0)
	buffer_invl2
	buffer_wbinvl1_vol
	v_and_b32_e32 v2, 1, v2
.LBB7_182:                              ;   in Loop: Header=BB7_180 Depth=2
	s_or_b64 exec, exec, s[16:17]
	v_readfirstlane_b32 s16, v2
	s_cmp_eq_u32 s16, 0
	s_cbranch_scc1 .LBB7_179
; %bb.183:                              ;   in Loop: Header=BB7_180 Depth=2
	s_sleep 1
	s_cbranch_execnz .LBB7_180
.LBB7_184:                              ;   in Loop: Header=BB7_100 Depth=1
	global_load_dwordx4 v[0:3], v[0:1], off
	s_and_saveexec_b64 s[16:17], s[4:5]
	s_cbranch_execz .LBB7_99
; %bb.185:                              ;   in Loop: Header=BB7_100 Depth=1
	global_load_dwordx2 v[2:3], v29, s[8:9] offset:40
	global_load_dwordx2 v[6:7], v29, s[8:9] offset:24 glc
	global_load_dwordx2 v[14:15], v29, s[8:9]
	v_mov_b32_e32 v11, s15
	s_waitcnt vmcnt(2)
	v_add_co_u32_e32 v13, vcc, 1, v2
	v_addc_co_u32_e32 v16, vcc, 0, v3, vcc
	v_add_co_u32_e32 v10, vcc, s14, v13
	v_addc_co_u32_e32 v11, vcc, v16, v11, vcc
	v_cmp_eq_u64_e32 vcc, 0, v[10:11]
	v_cndmask_b32_e32 v11, v11, v16, vcc
	v_cndmask_b32_e32 v10, v10, v13, vcc
	v_and_b32_e32 v3, v11, v3
	v_and_b32_e32 v2, v10, v2
	v_mul_lo_u32 v3, v3, 24
	v_mul_hi_u32 v13, v2, 24
	v_mul_lo_u32 v2, v2, 24
	v_add_u32_e32 v3, v13, v3
	s_waitcnt vmcnt(0)
	v_add_co_u32_e32 v2, vcc, v14, v2
	v_addc_co_u32_e32 v3, vcc, v15, v3, vcc
	v_mov_b32_e32 v12, v6
	global_store_dwordx2 v[2:3], v[6:7], off
	v_mov_b32_e32 v13, v7
	buffer_wbl2
	s_waitcnt vmcnt(0)
	global_atomic_cmpswap_x2 v[12:13], v29, v[10:13], s[8:9] offset:24 glc
	s_waitcnt vmcnt(0)
	v_cmp_ne_u64_e32 vcc, v[12:13], v[6:7]
	s_and_b64 exec, exec, vcc
	s_cbranch_execz .LBB7_99
; %bb.186:                              ;   in Loop: Header=BB7_100 Depth=1
	s_mov_b64 s[4:5], 0
.LBB7_187:                              ;   Parent Loop BB7_100 Depth=1
                                        ; =>  This Inner Loop Header: Depth=2
	s_sleep 1
	global_store_dwordx2 v[2:3], v[12:13], off
	buffer_wbl2
	s_waitcnt vmcnt(0)
	global_atomic_cmpswap_x2 v[6:7], v29, v[10:13], s[8:9] offset:24 glc
	s_waitcnt vmcnt(0)
	v_cmp_eq_u64_e32 vcc, v[6:7], v[12:13]
	s_or_b64 s[4:5], vcc, s[4:5]
	v_pk_mov_b32 v[12:13], v[6:7], v[6:7] op_sel:[0,1]
	s_andn2_b64 exec, exec, s[4:5]
	s_cbranch_execnz .LBB7_187
	s_branch .LBB7_99
.LBB7_188:
	s_or_b64 exec, exec, s[10:11]
	s_add_u32 s8, s4, 0x78
	s_addc_u32 s9, s5, 0
	s_getpc_b64 s[4:5]
	s_add_u32 s4, s4, __ockl_dm_dealloc@rel32@lo+4
	s_addc_u32 s5, s5, __ockl_dm_dealloc@rel32@hi+12
	s_swappc_b64 s[30:31], s[4:5]
	s_movk_i32 s4, 0xffe0
	s_mov_b32 s5, -1
	v_readlane_b32 s10, v70, 2
	v_cmp_gt_i64_e32 vcc, s[4:5], v[66:67]
	v_readlane_b32 s11, v70, 3
	s_and_saveexec_b64 s[4:5], vcc
	s_xor_b64 s[4:5], exec, s[4:5]
	s_cbranch_execnz .LBB7_680
.LBB7_189:
	s_or_saveexec_b64 s[12:13], s[4:5]
	v_readlane_b32 s4, v70, 10
	v_readlane_b32 s5, v70, 11
	s_xor_b64 exec, exec, s[12:13]
	s_cbranch_execz .LBB7_501
; %bb.190:
	v_cmp_lt_i64_e32 vcc, v[60:61], v[64:65]
	s_and_saveexec_b64 s[14:15], vcc
	s_cbranch_execz .LBB7_500
; %bb.191:
	s_mov_b64 s[16:17], 0
	s_branch .LBB7_193
.LBB7_192:                              ;   in Loop: Header=BB7_193 Depth=1
	s_or_b64 exec, exec, s[18:19]
	s_and_b64 s[6:7], exec, vcc
	v_add_co_u32_e32 v44, vcc, 0x80, v44
	s_or_b64 s[16:17], s[6:7], s[16:17]
	v_addc_co_u32_e32 v45, vcc, 0, v45, vcc
	v_pk_mov_b32 v[46:47], v[0:1], v[0:1] op_sel:[0,1]
	s_andn2_b64 exec, exec, s[16:17]
	s_cbranch_execz .LBB7_500
.LBB7_193:                              ; =>This Loop Header: Depth=1
                                        ;     Child Loop BB7_196 Depth 2
                                        ;       Child Loop BB7_199 Depth 3
                                        ;       Child Loop BB7_204 Depth 3
	s_waitcnt vmcnt(0)
	v_add_co_u32_e32 v0, vcc, 0x80, v46
	v_addc_co_u32_e32 v1, vcc, 0, v47, vcc
	v_sub_co_u32_e32 v2, vcc, v42, v0
	v_subb_co_u32_e32 v3, vcc, v43, v1, vcc
	v_cmp_lt_i64_e64 s[6:7], 0, v[2:3]
	v_add_co_u32_e64 v4, s[8:9], 4, v46
	v_cmp_gt_i64_e32 vcc, 1, v[2:3]
	v_cndmask_b32_e64 v3, v43, v1, s[6:7]
	v_cndmask_b32_e64 v2, v42, v0, s[6:7]
	v_addc_co_u32_e64 v5, s[8:9], 0, v47, s[8:9]
	v_cmp_ne_u64_e64 s[6:7], v[46:47], v[2:3]
	v_cmp_ne_u64_e64 s[8:9], v[4:5], v[2:3]
	s_and_b64 s[6:7], s[6:7], s[8:9]
	s_and_saveexec_b64 s[18:19], s[6:7]
	s_cbranch_execz .LBB7_192
; %bb.194:                              ;   in Loop: Header=BB7_193 Depth=1
	s_mov_b64 s[20:21], -4
	s_mov_b64 s[22:23], 0
	v_pk_mov_b32 v[6:7], v[46:47], v[46:47] op_sel:[0,1]
	v_pk_mov_b32 v[10:11], v[44:45], v[44:45] op_sel:[0,1]
	s_branch .LBB7_196
.LBB7_195:                              ;   in Loop: Header=BB7_196 Depth=2
	s_or_b64 exec, exec, s[8:9]
	v_add_co_u32_e64 v4, s[6:7], 4, v4
	v_addc_co_u32_e64 v5, s[6:7], 0, v5, s[6:7]
	v_add_co_u32_e64 v6, s[6:7], 4, v6
	v_addc_co_u32_e64 v7, s[6:7], 0, v7, s[6:7]
	s_add_u32 s20, s20, -4
	s_addc_u32 s21, s21, -1
	v_cmp_eq_u64_e64 s[6:7], v[4:5], v[2:3]
	s_or_b64 s[22:23], s[6:7], s[22:23]
	v_pk_mov_b32 v[10:11], v[8:9], v[8:9] op_sel:[0,1]
	s_waitcnt vmcnt(0)
	global_store_dword v[14:15], v17, off
	global_store_dword v[12:13], v16, off
	s_andn2_b64 exec, exec, s[22:23]
	s_cbranch_execz .LBB7_192
.LBB7_196:                              ;   Parent Loop BB7_193 Depth=1
                                        ; =>  This Loop Header: Depth=2
                                        ;       Child Loop BB7_199 Depth 3
                                        ;       Child Loop BB7_204 Depth 3
	global_load_dword v16, v[10:11], off offset:4
	global_load_dword v12, v[44:45], off
	global_load_dword v17, v[4:5], off
	v_add_co_u32_e64 v8, s[6:7], 4, v10
	v_addc_co_u32_e64 v9, s[6:7], 0, v11, s[6:7]
                                        ; implicit-def: $vgpr14_vgpr15
	s_waitcnt vmcnt(1)
	v_cmp_le_i32_e64 s[6:7], v16, v12
                                        ; implicit-def: $vgpr12_vgpr13
	s_and_saveexec_b64 s[8:9], s[6:7]
	s_xor_b64 s[24:25], exec, s[8:9]
	s_cbranch_execz .LBB7_202
; %bb.197:                              ;   in Loop: Header=BB7_196 Depth=2
	global_load_dword v14, v[10:11], off
	v_pk_mov_b32 v[12:13], v[8:9], v[8:9] op_sel:[0,1]
	s_waitcnt vmcnt(0)
	v_cmp_gt_i32_e64 s[6:7], v16, v14
	v_pk_mov_b32 v[14:15], v[4:5], v[4:5] op_sel:[0,1]
	s_and_saveexec_b64 s[26:27], s[6:7]
	s_cbranch_execz .LBB7_201
; %bb.198:                              ;   in Loop: Header=BB7_196 Depth=2
	s_mov_b64 s[28:29], 0
	s_mov_b64 s[30:31], 0
.LBB7_199:                              ;   Parent Loop BB7_193 Depth=1
                                        ;     Parent Loop BB7_196 Depth=2
                                        ; =>    This Inner Loop Header: Depth=3
	v_mov_b32_e32 v14, s31
	v_add_co_u32_e64 v12, s[6:7], s30, v4
	v_addc_co_u32_e64 v13, s[6:7], v5, v14, s[6:7]
	global_load_dword v15, v[12:13], off offset:-4
	v_add_co_u32_e64 v18, s[6:7], s30, v10
	v_addc_co_u32_e64 v19, s[6:7], v11, v14, s[6:7]
	s_add_u32 s30, s30, -4
	s_addc_u32 s31, s31, -1
	v_add_co_u32_e64 v22, s[6:7], s30, v10
	v_add_co_u32_e64 v14, s[8:9], s30, v4
	s_waitcnt vmcnt(0)
	global_store_dword v[12:13], v15, off
	global_load_dwordx2 v[20:21], v[18:19], off offset:-4
	v_mov_b32_e32 v13, s31
	v_mov_b32_e32 v12, s31
	v_addc_co_u32_e64 v13, s[6:7], v11, v13, s[6:7]
	v_addc_co_u32_e64 v15, s[8:9], v5, v12, s[8:9]
	v_add_co_u32_e64 v12, s[6:7], 4, v22
	v_addc_co_u32_e64 v13, s[6:7], 0, v13, s[6:7]
	s_waitcnt vmcnt(0)
	v_cmp_le_i32_e64 s[6:7], v16, v20
	s_or_b64 s[28:29], s[6:7], s[28:29]
	global_store_dword v[18:19], v21, off offset:4
	s_andn2_b64 exec, exec, s[28:29]
	s_cbranch_execnz .LBB7_199
; %bb.200:                              ;   in Loop: Header=BB7_196 Depth=2
	s_or_b64 exec, exec, s[28:29]
.LBB7_201:                              ;   in Loop: Header=BB7_196 Depth=2
	s_or_b64 exec, exec, s[26:27]
                                        ; implicit-def: $vgpr10_vgpr11
.LBB7_202:                              ;   in Loop: Header=BB7_196 Depth=2
	s_andn2_saveexec_b64 s[8:9], s[24:25]
	s_cbranch_execz .LBB7_195
; %bb.203:                              ;   in Loop: Header=BB7_196 Depth=2
	s_mov_b64 s[24:25], 0
.LBB7_204:                              ;   Parent Loop BB7_193 Depth=1
                                        ;     Parent Loop BB7_196 Depth=2
                                        ; =>    This Inner Loop Header: Depth=3
	v_mov_b32_e32 v14, s25
	v_add_co_u32_e64 v12, s[6:7], s24, v6
	v_addc_co_u32_e64 v13, s[6:7], v7, v14, s[6:7]
	global_load_dword v15, v[12:13], off
	v_add_co_u32_e64 v18, s[6:7], s24, v10
	v_addc_co_u32_e64 v19, s[6:7], v11, v14, s[6:7]
	s_add_u32 s24, s24, -4
	s_addc_u32 s25, s25, -1
	s_cmp_eq_u64 s[20:21], s[24:25]
	s_waitcnt vmcnt(0)
	global_store_dword v[12:13], v15, off offset:4
	global_load_dword v20, v[18:19], off
	v_pk_mov_b32 v[12:13], v[44:45], v[44:45] op_sel:[0,1]
	v_pk_mov_b32 v[14:15], v[46:47], v[46:47] op_sel:[0,1]
	s_waitcnt vmcnt(0)
	global_store_dword v[18:19], v20, off offset:4
	s_cbranch_scc0 .LBB7_204
	s_branch .LBB7_195
.LBB7_205:
	v_mov_b32_e32 v2, 0
	s_mov_b64 s[6:7], 0
	v_mov_b32_e32 v3, v2
	v_pk_mov_b32 v[4:5], v[66:67], v[66:67] op_sel:[0,1]
	v_pk_mov_b32 v[6:7], v[0:1], v[0:1] op_sel:[0,1]
.LBB7_206:                              ; =>This Inner Loop Header: Depth=1
	v_add_co_u32_e32 v4, vcc, 1, v4
	v_addc_co_u32_e32 v5, vcc, 0, v5, vcc
	global_store_dwordx2 v[6:7], v[2:3], off
	v_add_co_u32_e32 v6, vcc, 8, v6
	v_cmp_eq_u64_e64 s[4:5], 0, v[4:5]
	s_or_b64 s[6:7], s[4:5], s[6:7]
	v_addc_co_u32_e32 v7, vcc, 0, v7, vcc
	s_andn2_b64 exec, exec, s[6:7]
	s_cbranch_execnz .LBB7_206
; %bb.207:
	s_or_b64 exec, exec, s[6:7]
	v_cmp_lt_i64_e64 s[4:5], v[60:61], v[64:65]
	s_and_saveexec_b64 s[12:13], s[4:5]
	v_readlane_b32 s10, v70, 10
	v_readlane_b32 s11, v70, 11
	s_cbranch_execz .LBB7_338
; %bb.208:
	s_mov_b64 s[14:15], 0
	v_pk_mov_b32 v[2:3], v[44:45], v[44:45] op_sel:[0,1]
	v_pk_mov_b32 v[6:7], v[46:47], v[46:47] op_sel:[0,1]
	s_branch .LBB7_210
.LBB7_209:                              ;   in Loop: Header=BB7_210 Depth=1
	s_or_b64 exec, exec, s[16:17]
	s_and_b64 s[6:7], exec, vcc
	v_add_co_u32_e32 v2, vcc, 0x80, v2
	s_or_b64 s[14:15], s[6:7], s[14:15]
	v_addc_co_u32_e32 v3, vcc, 0, v3, vcc
	v_pk_mov_b32 v[6:7], v[4:5], v[4:5] op_sel:[0,1]
	s_andn2_b64 exec, exec, s[14:15]
	s_cbranch_execz .LBB7_338
.LBB7_210:                              ; =>This Loop Header: Depth=1
                                        ;     Child Loop BB7_213 Depth 2
                                        ;       Child Loop BB7_216 Depth 3
                                        ;       Child Loop BB7_221 Depth 3
	v_add_co_u32_e32 v4, vcc, 0x80, v6
	v_addc_co_u32_e32 v5, vcc, 0, v7, vcc
	v_sub_co_u32_e32 v8, vcc, v42, v4
	v_subb_co_u32_e32 v9, vcc, v43, v5, vcc
	v_cmp_lt_i64_e64 s[6:7], 0, v[8:9]
	v_add_co_u32_e64 v10, s[8:9], 4, v6
	v_cmp_gt_i64_e32 vcc, 1, v[8:9]
	v_cndmask_b32_e64 v9, v43, v5, s[6:7]
	v_cndmask_b32_e64 v8, v42, v4, s[6:7]
	v_addc_co_u32_e64 v11, s[8:9], 0, v7, s[8:9]
	v_cmp_ne_u64_e64 s[6:7], v[6:7], v[8:9]
	v_cmp_ne_u64_e64 s[8:9], v[10:11], v[8:9]
	s_and_b64 s[6:7], s[6:7], s[8:9]
	s_and_saveexec_b64 s[16:17], s[6:7]
	s_cbranch_execz .LBB7_209
; %bb.211:                              ;   in Loop: Header=BB7_210 Depth=1
	s_mov_b64 s[18:19], -4
	s_mov_b64 s[20:21], 0
	v_pk_mov_b32 v[12:13], v[6:7], v[6:7] op_sel:[0,1]
	v_pk_mov_b32 v[16:17], v[2:3], v[2:3] op_sel:[0,1]
	s_branch .LBB7_213
.LBB7_212:                              ;   in Loop: Header=BB7_213 Depth=2
	s_or_b64 exec, exec, s[8:9]
	v_add_co_u32_e64 v10, s[6:7], 4, v10
	v_addc_co_u32_e64 v11, s[6:7], 0, v11, s[6:7]
	v_add_co_u32_e64 v12, s[6:7], 4, v12
	v_addc_co_u32_e64 v13, s[6:7], 0, v13, s[6:7]
	s_add_u32 s18, s18, -4
	s_addc_u32 s19, s19, -1
	v_cmp_eq_u64_e64 s[6:7], v[10:11], v[8:9]
	s_or_b64 s[20:21], s[6:7], s[20:21]
	v_pk_mov_b32 v[16:17], v[14:15], v[14:15] op_sel:[0,1]
	global_store_dword v[20:21], v22, off
	global_store_dword v[18:19], v23, off
	s_andn2_b64 exec, exec, s[20:21]
	s_cbranch_execz .LBB7_209
.LBB7_213:                              ;   Parent Loop BB7_210 Depth=1
                                        ; =>  This Loop Header: Depth=2
                                        ;       Child Loop BB7_216 Depth 3
                                        ;       Child Loop BB7_221 Depth 3
	global_load_dword v22, v[10:11], off
	global_load_dword v18, v[6:7], off
	global_load_dword v23, v[16:17], off offset:4
	global_load_dword v19, v[2:3], off
	v_add_co_u32_e64 v14, s[6:7], 4, v16
	v_addc_co_u32_e64 v15, s[6:7], 0, v17, s[6:7]
	s_waitcnt vmcnt(2)
	v_cmp_gt_i32_e64 s[6:7], v22, v18
	v_cndmask_b32_e64 v18, 0, 1, s[6:7]
	s_waitcnt vmcnt(0)
	v_cmp_gt_i32_e64 s[6:7], v23, v19
	v_cndmask_b32_e64 v20, 0, 1, s[6:7]
	v_cmp_eq_u32_e64 s[6:7], v23, v19
	v_cndmask_b32_e64 v18, v20, v18, s[6:7]
	v_and_b32_e32 v18, 1, v18
	v_cmp_eq_u32_e64 s[6:7], 1, v18
	s_xor_b64 s[6:7], s[6:7], -1
                                        ; implicit-def: $vgpr18_vgpr19
                                        ; implicit-def: $vgpr20_vgpr21
	s_and_saveexec_b64 s[8:9], s[6:7]
	s_xor_b64 s[22:23], exec, s[8:9]
	s_cbranch_execz .LBB7_219
; %bb.214:                              ;   in Loop: Header=BB7_213 Depth=2
	global_load_dword v24, v[12:13], off
	global_load_dword v20, v[16:17], off
	v_pk_mov_b32 v[18:19], v[14:15], v[14:15] op_sel:[0,1]
	s_waitcnt vmcnt(1)
	v_cmp_gt_i32_e64 s[6:7], v22, v24
	v_cndmask_b32_e64 v21, 0, 1, s[6:7]
	s_waitcnt vmcnt(0)
	v_cmp_gt_i32_e64 s[6:7], v23, v20
	v_cndmask_b32_e64 v25, 0, 1, s[6:7]
	v_cmp_eq_u32_e64 s[6:7], v23, v20
	v_cndmask_b32_e64 v20, v25, v21, s[6:7]
	v_and_b32_e32 v20, 1, v20
	v_cmp_eq_u32_e64 s[6:7], 1, v20
	v_pk_mov_b32 v[20:21], v[10:11], v[10:11] op_sel:[0,1]
	s_and_saveexec_b64 s[28:29], s[6:7]
	s_cbranch_execz .LBB7_218
; %bb.215:                              ;   in Loop: Header=BB7_213 Depth=2
	s_mov_b64 s[30:31], 0
	s_mov_b64 s[34:35], 0
.LBB7_216:                              ;   Parent Loop BB7_210 Depth=1
                                        ;     Parent Loop BB7_213 Depth=2
                                        ; =>    This Inner Loop Header: Depth=3
	v_mov_b32_e32 v19, s35
	v_add_co_u32_e64 v20, s[8:9], s34, v10
	v_add_co_u32_e64 v18, s[6:7], s34, v16
	v_addc_co_u32_e64 v21, s[8:9], v11, v19, s[8:9]
	v_addc_co_u32_e64 v19, s[6:7], v17, v19, s[6:7]
	global_store_dword v[20:21], v24, off
	global_load_dwordx2 v[26:27], v[18:19], off offset:-4
	s_waitcnt vmcnt(0)
	v_cmp_gt_i32_e64 s[6:7], v23, v26
	global_store_dword v[18:19], v27, off offset:4
	global_load_dword v24, v[20:21], off offset:-8
	v_cndmask_b32_e64 v18, 0, 1, s[6:7]
	s_waitcnt vmcnt(0)
	v_cmp_gt_i32_e64 s[6:7], v22, v24
	v_cndmask_b32_e64 v19, 0, 1, s[6:7]
	v_cmp_eq_u32_e64 s[6:7], v23, v26
	v_cndmask_b32_e64 v18, v18, v19, s[6:7]
	v_and_b32_e32 v18, 1, v18
	v_cmp_eq_u32_e64 s[6:7], 1, v18
	s_xor_b64 s[8:9], s[6:7], -1
	s_add_u32 s34, s34, -4
	s_addc_u32 s35, s35, -1
	v_mov_b32_e32 v19, s35
	v_add_co_u32_e64 v25, s[6:7], s34, v16
	v_mov_b32_e32 v18, s35
	s_and_b64 s[36:37], exec, s[8:9]
	v_add_co_u32_e64 v20, s[8:9], s34, v10
	v_addc_co_u32_e64 v19, s[6:7], v17, v19, s[6:7]
	v_addc_co_u32_e64 v21, s[8:9], v11, v18, s[8:9]
	v_add_co_u32_e64 v18, s[6:7], 4, v25
	s_or_b64 s[30:31], s[36:37], s[30:31]
	v_addc_co_u32_e64 v19, s[6:7], 0, v19, s[6:7]
	s_andn2_b64 exec, exec, s[30:31]
	s_cbranch_execnz .LBB7_216
; %bb.217:                              ;   in Loop: Header=BB7_213 Depth=2
	s_or_b64 exec, exec, s[30:31]
.LBB7_218:                              ;   in Loop: Header=BB7_213 Depth=2
	s_or_b64 exec, exec, s[28:29]
                                        ; implicit-def: $vgpr16_vgpr17
.LBB7_219:                              ;   in Loop: Header=BB7_213 Depth=2
	s_andn2_saveexec_b64 s[8:9], s[22:23]
	s_cbranch_execz .LBB7_212
; %bb.220:                              ;   in Loop: Header=BB7_213 Depth=2
	s_mov_b64 s[22:23], 0
.LBB7_221:                              ;   Parent Loop BB7_210 Depth=1
                                        ;     Parent Loop BB7_213 Depth=2
                                        ; =>    This Inner Loop Header: Depth=3
	v_mov_b32_e32 v20, s23
	v_add_co_u32_e64 v18, s[6:7], s22, v12
	v_addc_co_u32_e64 v19, s[6:7], v13, v20, s[6:7]
	global_load_dword v21, v[18:19], off
	v_add_co_u32_e64 v24, s[6:7], s22, v16
	v_addc_co_u32_e64 v25, s[6:7], v17, v20, s[6:7]
	s_add_u32 s22, s22, -4
	s_addc_u32 s23, s23, -1
	s_cmp_eq_u64 s[18:19], s[22:23]
	s_waitcnt vmcnt(0)
	global_store_dword v[18:19], v21, off offset:4
	global_load_dword v26, v[24:25], off
	v_pk_mov_b32 v[18:19], v[2:3], v[2:3] op_sel:[0,1]
	v_pk_mov_b32 v[20:21], v[6:7], v[6:7] op_sel:[0,1]
	s_waitcnt vmcnt(0)
	global_store_dword v[24:25], v26, off offset:4
	s_cbranch_scc0 .LBB7_221
	s_branch .LBB7_212
.LBB7_222:
	s_add_u32 s8, s4, 0x78
	s_addc_u32 s9, s5, 0
	s_getpc_b64 s[4:5]
	s_add_u32 s4, s4, __ockl_dm_dealloc@rel32@lo+4
	s_addc_u32 s5, s5, __ockl_dm_dealloc@rel32@hi+12
	s_swappc_b64 s[30:31], s[4:5]
	s_load_dwordx2 s[8:9], s[98:99], 0x50
	v_mbcnt_lo_u32_b32 v0, -1, 0
	v_mbcnt_hi_u32_b32 v33, -1, v0
	v_readfirstlane_b32 s4, v33
	v_cmp_eq_u32_e64 s[4:5], s4, v33
	v_pk_mov_b32 v[6:7], 0, 0
	s_and_saveexec_b64 s[6:7], s[4:5]
	s_cbranch_execz .LBB7_228
; %bb.223:
	v_mov_b32_e32 v0, 0
	s_waitcnt lgkmcnt(0)
	global_load_dwordx2 v[4:5], v0, s[8:9] offset:24 glc
	s_waitcnt vmcnt(0)
	buffer_invl2
	buffer_wbinvl1_vol
	global_load_dwordx2 v[2:3], v0, s[8:9] offset:40
	global_load_dwordx2 v[6:7], v0, s[8:9]
	s_waitcnt vmcnt(1)
	v_and_b32_e32 v1, v2, v4
	v_and_b32_e32 v2, v3, v5
	v_mul_lo_u32 v2, v2, 24
	v_mul_hi_u32 v3, v1, 24
	v_mul_lo_u32 v1, v1, 24
	v_add_u32_e32 v3, v3, v2
	s_waitcnt vmcnt(0)
	v_add_co_u32_e32 v2, vcc, v6, v1
	v_addc_co_u32_e32 v3, vcc, v7, v3, vcc
	global_load_dwordx2 v[2:3], v[2:3], off glc
	s_waitcnt vmcnt(0)
	global_atomic_cmpswap_x2 v[6:7], v0, v[2:5], s[8:9] offset:24 glc
	s_waitcnt vmcnt(0)
	buffer_invl2
	buffer_wbinvl1_vol
	v_cmp_ne_u64_e32 vcc, v[6:7], v[4:5]
	s_and_saveexec_b64 s[10:11], vcc
	s_cbranch_execz .LBB7_227
; %bb.224:
	s_mov_b64 s[12:13], 0
.LBB7_225:                              ; =>This Inner Loop Header: Depth=1
	s_sleep 1
	global_load_dwordx2 v[2:3], v0, s[8:9] offset:40
	global_load_dwordx2 v[8:9], v0, s[8:9]
	v_pk_mov_b32 v[4:5], v[6:7], v[6:7] op_sel:[0,1]
	s_waitcnt vmcnt(1)
	v_and_b32_e32 v2, v2, v4
	v_and_b32_e32 v1, v3, v5
	s_waitcnt vmcnt(0)
	v_mad_u64_u32 v[2:3], s[14:15], v2, 24, v[8:9]
	v_mov_b32_e32 v6, v3
	v_mad_u64_u32 v[6:7], s[14:15], v1, 24, v[6:7]
	v_mov_b32_e32 v3, v6
	global_load_dwordx2 v[2:3], v[2:3], off glc
	s_waitcnt vmcnt(0)
	global_atomic_cmpswap_x2 v[6:7], v0, v[2:5], s[8:9] offset:24 glc
	s_waitcnt vmcnt(0)
	buffer_invl2
	buffer_wbinvl1_vol
	v_cmp_eq_u64_e32 vcc, v[6:7], v[4:5]
	s_or_b64 s[12:13], vcc, s[12:13]
	s_andn2_b64 exec, exec, s[12:13]
	s_cbranch_execnz .LBB7_225
; %bb.226:
	s_or_b64 exec, exec, s[12:13]
	v_readlane_b32 s58, v70, 8
	v_readlane_b32 s59, v70, 9
.LBB7_227:
	s_or_b64 exec, exec, s[10:11]
.LBB7_228:
	s_or_b64 exec, exec, s[6:7]
	v_mov_b32_e32 v5, 0
	s_waitcnt lgkmcnt(0)
	global_load_dwordx2 v[8:9], v5, s[8:9] offset:40
	global_load_dwordx4 v[0:3], v5, s[8:9]
	v_readfirstlane_b32 s6, v6
	v_readfirstlane_b32 s7, v7
	s_mov_b64 s[10:11], exec
	s_waitcnt vmcnt(1)
	v_readfirstlane_b32 s12, v8
	v_readfirstlane_b32 s13, v9
	s_and_b64 s[12:13], s[6:7], s[12:13]
	s_mul_i32 s14, s13, 24
	s_mul_hi_u32 s15, s12, 24
	s_mul_i32 s16, s12, 24
	s_add_i32 s14, s15, s14
	v_mov_b32_e32 v4, s14
	s_waitcnt vmcnt(0)
	v_add_co_u32_e32 v8, vcc, s16, v0
	v_addc_co_u32_e32 v9, vcc, v1, v4, vcc
	s_and_saveexec_b64 s[14:15], s[4:5]
	s_cbranch_execz .LBB7_230
; %bb.229:
	v_pk_mov_b32 v[10:11], s[10:11], s[10:11] op_sel:[0,1]
	v_mov_b32_e32 v12, 2
	v_mov_b32_e32 v13, 1
	global_store_dwordx4 v[8:9], v[10:13], off offset:8
.LBB7_230:
	s_or_b64 exec, exec, s[14:15]
	s_lshl_b64 s[10:11], s[12:13], 12
	v_mov_b32_e32 v4, s11
	v_add_co_u32_e32 v2, vcc, s10, v2
	v_addc_co_u32_e32 v3, vcc, v3, v4, vcc
	s_mov_b32 s12, 0
	v_lshlrev_b32_e32 v32, 6, v33
	v_add_co_u32_e32 v10, vcc, v2, v32
	v_mov_b32_e32 v4, 33
	v_mov_b32_e32 v6, v5
	;; [unrolled: 1-line block ×3, first 2 shown]
	v_readfirstlane_b32 s10, v2
	v_readfirstlane_b32 s11, v3
	s_mov_b32 s13, s12
	v_addc_co_u32_e32 v11, vcc, 0, v3, vcc
	s_mov_b32 s14, s12
	s_mov_b32 s15, s12
	s_nop 0
	global_store_dwordx4 v32, v[4:7], s[10:11]
	v_pk_mov_b32 v[2:3], s[12:13], s[12:13] op_sel:[0,1]
	v_pk_mov_b32 v[4:5], s[14:15], s[14:15] op_sel:[0,1]
	global_store_dwordx4 v32, v[2:5], s[10:11] offset:16
	global_store_dwordx4 v32, v[2:5], s[10:11] offset:32
	;; [unrolled: 1-line block ×3, first 2 shown]
	s_and_saveexec_b64 s[10:11], s[4:5]
	s_cbranch_execz .LBB7_238
; %bb.231:
	v_mov_b32_e32 v6, 0
	global_load_dwordx2 v[14:15], v6, s[8:9] offset:32 glc
	global_load_dwordx2 v[2:3], v6, s[8:9] offset:40
	v_mov_b32_e32 v12, s6
	v_mov_b32_e32 v13, s7
	s_waitcnt vmcnt(0)
	v_and_b32_e32 v2, s6, v2
	v_and_b32_e32 v3, s7, v3
	v_mul_lo_u32 v3, v3, 24
	v_mul_hi_u32 v4, v2, 24
	v_mul_lo_u32 v2, v2, 24
	v_add_u32_e32 v3, v4, v3
	v_add_co_u32_e32 v4, vcc, v0, v2
	v_addc_co_u32_e32 v5, vcc, v1, v3, vcc
	global_store_dwordx2 v[4:5], v[14:15], off
	buffer_wbl2
	s_waitcnt vmcnt(0)
	global_atomic_cmpswap_x2 v[2:3], v6, v[12:15], s[8:9] offset:32 glc
	s_waitcnt vmcnt(0)
	v_cmp_ne_u64_e32 vcc, v[2:3], v[14:15]
	s_and_saveexec_b64 s[12:13], vcc
	s_cbranch_execz .LBB7_234
; %bb.232:
	s_mov_b64 s[14:15], 0
.LBB7_233:                              ; =>This Inner Loop Header: Depth=1
	s_sleep 1
	global_store_dwordx2 v[4:5], v[2:3], off
	v_mov_b32_e32 v0, s6
	v_mov_b32_e32 v1, s7
	buffer_wbl2
	s_waitcnt vmcnt(0)
	global_atomic_cmpswap_x2 v[0:1], v6, v[0:3], s[8:9] offset:32 glc
	s_waitcnt vmcnt(0)
	v_cmp_eq_u64_e32 vcc, v[0:1], v[2:3]
	s_or_b64 s[14:15], vcc, s[14:15]
	v_pk_mov_b32 v[2:3], v[0:1], v[0:1] op_sel:[0,1]
	s_andn2_b64 exec, exec, s[14:15]
	s_cbranch_execnz .LBB7_233
.LBB7_234:
	s_or_b64 exec, exec, s[12:13]
	v_mov_b32_e32 v3, 0
	global_load_dwordx2 v[0:1], v3, s[8:9] offset:16
	s_mov_b64 s[12:13], exec
	v_mbcnt_lo_u32_b32 v2, s12, 0
	v_mbcnt_hi_u32_b32 v2, s13, v2
	v_cmp_eq_u32_e32 vcc, 0, v2
	s_and_saveexec_b64 s[14:15], vcc
	s_cbranch_execz .LBB7_236
; %bb.235:
	s_bcnt1_i32_b64 s12, s[12:13]
	v_mov_b32_e32 v2, s12
	buffer_wbl2
	s_waitcnt vmcnt(0)
	global_atomic_add_x2 v[0:1], v[2:3], off offset:8
.LBB7_236:
	s_or_b64 exec, exec, s[14:15]
	s_waitcnt vmcnt(0)
	global_load_dwordx2 v[2:3], v[0:1], off offset:16
	v_readlane_b32 s58, v70, 8
	v_readlane_b32 s59, v70, 9
	s_waitcnt vmcnt(0)
	v_cmp_eq_u64_e32 vcc, 0, v[2:3]
	s_cbranch_vccnz .LBB7_238
; %bb.237:
	global_load_dword v0, v[0:1], off offset:24
	v_mov_b32_e32 v1, 0
	buffer_wbl2
	s_waitcnt vmcnt(0)
	global_store_dwordx2 v[2:3], v[0:1], off
	v_and_b32_e32 v0, 0xffffff, v0
	v_readfirstlane_b32 m0, v0
	s_sendmsg sendmsg(MSG_INTERRUPT)
.LBB7_238:
	s_or_b64 exec, exec, s[10:11]
	s_branch .LBB7_240
.LBB7_239:
	s_branch .LBB7_244
.LBB7_240:                              ; =>This Inner Loop Header: Depth=1
	v_mov_b32_e32 v0, 1
	s_and_saveexec_b64 s[10:11], s[4:5]
	s_cbranch_execz .LBB7_242
; %bb.241:                              ;   in Loop: Header=BB7_240 Depth=1
	global_load_dword v0, v[8:9], off offset:20 glc
	s_waitcnt vmcnt(0)
	buffer_invl2
	buffer_wbinvl1_vol
	v_and_b32_e32 v0, 1, v0
.LBB7_242:                              ;   in Loop: Header=BB7_240 Depth=1
	s_or_b64 exec, exec, s[10:11]
	v_readfirstlane_b32 s10, v0
	s_cmp_eq_u32 s10, 0
	s_cbranch_scc1 .LBB7_239
; %bb.243:                              ;   in Loop: Header=BB7_240 Depth=1
	s_sleep 1
	s_cbranch_execnz .LBB7_240
.LBB7_244:
	global_load_dwordx2 v[4:5], v[10:11], off
	s_and_saveexec_b64 s[10:11], s[4:5]
	s_cbranch_execz .LBB7_247
; %bb.245:
	v_mov_b32_e32 v8, 0
	global_load_dwordx2 v[6:7], v8, s[8:9] offset:40
	global_load_dwordx2 v[10:11], v8, s[8:9] offset:24 glc
	global_load_dwordx2 v[12:13], v8, s[8:9]
	v_mov_b32_e32 v1, s7
	s_mov_b64 s[4:5], 0
	s_waitcnt vmcnt(2)
	v_add_co_u32_e32 v3, vcc, 1, v6
	v_addc_co_u32_e32 v9, vcc, 0, v7, vcc
	v_add_co_u32_e32 v0, vcc, s6, v3
	v_addc_co_u32_e32 v1, vcc, v9, v1, vcc
	v_cmp_eq_u64_e32 vcc, 0, v[0:1]
	v_cndmask_b32_e32 v1, v1, v9, vcc
	v_cndmask_b32_e32 v0, v0, v3, vcc
	v_and_b32_e32 v3, v1, v7
	v_and_b32_e32 v6, v0, v6
	v_mul_lo_u32 v3, v3, 24
	v_mul_hi_u32 v7, v6, 24
	v_mul_lo_u32 v6, v6, 24
	v_add_u32_e32 v3, v7, v3
	s_waitcnt vmcnt(0)
	v_add_co_u32_e32 v6, vcc, v12, v6
	v_addc_co_u32_e32 v7, vcc, v13, v3, vcc
	v_mov_b32_e32 v2, v10
	global_store_dwordx2 v[6:7], v[10:11], off
	v_mov_b32_e32 v3, v11
	buffer_wbl2
	s_waitcnt vmcnt(0)
	global_atomic_cmpswap_x2 v[2:3], v8, v[0:3], s[8:9] offset:24 glc
	s_waitcnt vmcnt(0)
	v_cmp_ne_u64_e32 vcc, v[2:3], v[10:11]
	s_and_b64 exec, exec, vcc
	s_cbranch_execz .LBB7_247
.LBB7_246:                              ; =>This Inner Loop Header: Depth=1
	s_sleep 1
	global_store_dwordx2 v[6:7], v[2:3], off
	buffer_wbl2
	s_waitcnt vmcnt(0)
	global_atomic_cmpswap_x2 v[10:11], v8, v[0:3], s[8:9] offset:24 glc
	s_waitcnt vmcnt(0)
	v_cmp_eq_u64_e32 vcc, v[10:11], v[2:3]
	s_or_b64 s[4:5], vcc, s[4:5]
	v_pk_mov_b32 v[2:3], v[10:11], v[10:11] op_sel:[0,1]
	s_andn2_b64 exec, exec, s[4:5]
	s_cbranch_execnz .LBB7_246
.LBB7_247:
	s_or_b64 exec, exec, s[10:11]
	s_getpc_b64 s[6:7]
	s_add_u32 s6, s6, .str.19@rel32@lo+4
	s_addc_u32 s7, s7, .str.19@rel32@hi+12
	s_cmp_lg_u64 s[6:7], 0
	s_cbranch_scc0 .LBB7_531
; %bb.248:
	s_waitcnt vmcnt(0)
	v_and_b32_e32 v26, 2, v4
	v_mov_b32_e32 v29, 0
	v_and_b32_e32 v0, -3, v4
	v_mov_b32_e32 v1, v5
	s_mov_b64 s[10:11], 4
	v_mov_b32_e32 v8, 2
	v_mov_b32_e32 v9, 1
	s_branch .LBB7_250
.LBB7_249:                              ;   in Loop: Header=BB7_250 Depth=1
	s_or_b64 exec, exec, s[16:17]
	s_sub_u32 s10, s10, s12
	s_subb_u32 s11, s11, s13
	s_add_u32 s6, s6, s12
	s_addc_u32 s7, s7, s13
	s_cmp_lg_u64 s[10:11], 0
	s_cbranch_scc0 .LBB7_532
.LBB7_250:                              ; =>This Loop Header: Depth=1
                                        ;     Child Loop BB7_253 Depth 2
                                        ;     Child Loop BB7_261 Depth 2
	;; [unrolled: 1-line block ×11, first 2 shown]
	v_cmp_lt_u64_e64 s[4:5], s[10:11], 56
	s_and_b64 s[4:5], s[4:5], exec
	v_cmp_gt_u64_e64 s[4:5], s[10:11], 7
	s_cselect_b32 s13, s11, 0
	s_cselect_b32 s12, s10, 56
	s_and_b64 vcc, exec, s[4:5]
	s_cbranch_vccnz .LBB7_255
; %bb.251:                              ;   in Loop: Header=BB7_250 Depth=1
	s_mov_b64 s[4:5], 0
	s_cmp_eq_u64 s[10:11], 0
	s_waitcnt vmcnt(0)
	v_pk_mov_b32 v[2:3], 0, 0
	s_cbranch_scc1 .LBB7_254
; %bb.252:                              ;   in Loop: Header=BB7_250 Depth=1
	s_lshl_b64 s[14:15], s[12:13], 3
	s_mov_b64 s[16:17], 0
	v_pk_mov_b32 v[2:3], 0, 0
	s_mov_b64 s[18:19], s[6:7]
.LBB7_253:                              ;   Parent Loop BB7_250 Depth=1
                                        ; =>  This Inner Loop Header: Depth=2
	global_load_ubyte v6, v29, s[18:19]
	s_waitcnt vmcnt(0)
	v_and_b32_e32 v28, 0xffff, v6
	v_lshlrev_b64 v[6:7], s16, v[28:29]
	s_add_u32 s16, s16, 8
	s_addc_u32 s17, s17, 0
	s_add_u32 s18, s18, 1
	s_addc_u32 s19, s19, 0
	v_or_b32_e32 v2, v6, v2
	s_cmp_lg_u32 s14, s16
	v_or_b32_e32 v3, v7, v3
	s_cbranch_scc1 .LBB7_253
.LBB7_254:                              ;   in Loop: Header=BB7_250 Depth=1
	s_mov_b32 s18, 0
	s_branch .LBB7_256
.LBB7_255:                              ;   in Loop: Header=BB7_250 Depth=1
	s_mov_b64 s[4:5], -1
                                        ; implicit-def: $vgpr2_vgpr3
                                        ; implicit-def: $sgpr18
.LBB7_256:                              ;   in Loop: Header=BB7_250 Depth=1
	s_andn2_b64 vcc, exec, s[4:5]
	s_mov_b64 s[4:5], s[6:7]
	s_cbranch_vccnz .LBB7_258
; %bb.257:                              ;   in Loop: Header=BB7_250 Depth=1
	global_load_dwordx2 v[2:3], v29, s[6:7]
	s_add_i32 s18, s12, -8
	s_add_u32 s4, s6, 8
	s_addc_u32 s5, s7, 0
.LBB7_258:                              ;   in Loop: Header=BB7_250 Depth=1
	s_cmp_gt_u32 s18, 7
	s_cbranch_scc1 .LBB7_262
; %bb.259:                              ;   in Loop: Header=BB7_250 Depth=1
	s_cmp_eq_u32 s18, 0
	s_cbranch_scc1 .LBB7_263
; %bb.260:                              ;   in Loop: Header=BB7_250 Depth=1
	s_mov_b64 s[14:15], 0
	v_pk_mov_b32 v[10:11], 0, 0
	s_mov_b64 s[16:17], 0
.LBB7_261:                              ;   Parent Loop BB7_250 Depth=1
                                        ; =>  This Inner Loop Header: Depth=2
	s_add_u32 s20, s4, s16
	s_addc_u32 s21, s5, s17
	global_load_ubyte v6, v29, s[20:21]
	s_add_u32 s16, s16, 1
	s_addc_u32 s17, s17, 0
	s_waitcnt vmcnt(0)
	v_and_b32_e32 v28, 0xffff, v6
	v_lshlrev_b64 v[6:7], s14, v[28:29]
	s_add_u32 s14, s14, 8
	s_addc_u32 s15, s15, 0
	v_or_b32_e32 v10, v6, v10
	s_cmp_lg_u32 s18, s16
	v_or_b32_e32 v11, v7, v11
	s_cbranch_scc1 .LBB7_261
	s_branch .LBB7_264
.LBB7_262:                              ;   in Loop: Header=BB7_250 Depth=1
	s_mov_b64 s[14:15], -1
                                        ; implicit-def: $vgpr10_vgpr11
                                        ; implicit-def: $sgpr19
	s_branch .LBB7_265
.LBB7_263:                              ;   in Loop: Header=BB7_250 Depth=1
	v_pk_mov_b32 v[10:11], 0, 0
.LBB7_264:                              ;   in Loop: Header=BB7_250 Depth=1
	s_mov_b64 s[14:15], 0
	s_mov_b32 s19, 0
.LBB7_265:                              ;   in Loop: Header=BB7_250 Depth=1
	s_andn2_b64 vcc, exec, s[14:15]
	s_cbranch_vccnz .LBB7_267
; %bb.266:                              ;   in Loop: Header=BB7_250 Depth=1
	global_load_dwordx2 v[10:11], v29, s[4:5]
	s_add_i32 s19, s18, -8
	s_add_u32 s4, s4, 8
	s_addc_u32 s5, s5, 0
.LBB7_267:                              ;   in Loop: Header=BB7_250 Depth=1
	s_cmp_gt_u32 s19, 7
	s_cbranch_scc1 .LBB7_271
; %bb.268:                              ;   in Loop: Header=BB7_250 Depth=1
	s_cmp_eq_u32 s19, 0
	s_cbranch_scc1 .LBB7_272
; %bb.269:                              ;   in Loop: Header=BB7_250 Depth=1
	s_mov_b64 s[14:15], 0
	v_pk_mov_b32 v[12:13], 0, 0
	s_mov_b64 s[16:17], 0
.LBB7_270:                              ;   Parent Loop BB7_250 Depth=1
                                        ; =>  This Inner Loop Header: Depth=2
	s_add_u32 s20, s4, s16
	s_addc_u32 s21, s5, s17
	global_load_ubyte v6, v29, s[20:21]
	s_add_u32 s16, s16, 1
	s_addc_u32 s17, s17, 0
	s_waitcnt vmcnt(0)
	v_and_b32_e32 v28, 0xffff, v6
	v_lshlrev_b64 v[6:7], s14, v[28:29]
	s_add_u32 s14, s14, 8
	s_addc_u32 s15, s15, 0
	v_or_b32_e32 v12, v6, v12
	s_cmp_lg_u32 s19, s16
	v_or_b32_e32 v13, v7, v13
	s_cbranch_scc1 .LBB7_270
	s_branch .LBB7_273
.LBB7_271:                              ;   in Loop: Header=BB7_250 Depth=1
	s_mov_b64 s[14:15], -1
                                        ; implicit-def: $sgpr18
	s_branch .LBB7_274
.LBB7_272:                              ;   in Loop: Header=BB7_250 Depth=1
	v_pk_mov_b32 v[12:13], 0, 0
.LBB7_273:                              ;   in Loop: Header=BB7_250 Depth=1
	s_mov_b64 s[14:15], 0
	s_mov_b32 s18, 0
.LBB7_274:                              ;   in Loop: Header=BB7_250 Depth=1
	s_andn2_b64 vcc, exec, s[14:15]
	s_cbranch_vccnz .LBB7_276
; %bb.275:                              ;   in Loop: Header=BB7_250 Depth=1
	global_load_dwordx2 v[12:13], v29, s[4:5]
	s_add_i32 s18, s19, -8
	s_add_u32 s4, s4, 8
	s_addc_u32 s5, s5, 0
.LBB7_276:                              ;   in Loop: Header=BB7_250 Depth=1
	s_cmp_gt_u32 s18, 7
	s_cbranch_scc1 .LBB7_280
; %bb.277:                              ;   in Loop: Header=BB7_250 Depth=1
	s_cmp_eq_u32 s18, 0
	s_cbranch_scc1 .LBB7_281
; %bb.278:                              ;   in Loop: Header=BB7_250 Depth=1
	s_mov_b64 s[14:15], 0
	v_pk_mov_b32 v[14:15], 0, 0
	s_mov_b64 s[16:17], 0
.LBB7_279:                              ;   Parent Loop BB7_250 Depth=1
                                        ; =>  This Inner Loop Header: Depth=2
	s_add_u32 s20, s4, s16
	s_addc_u32 s21, s5, s17
	global_load_ubyte v6, v29, s[20:21]
	s_add_u32 s16, s16, 1
	s_addc_u32 s17, s17, 0
	s_waitcnt vmcnt(0)
	v_and_b32_e32 v28, 0xffff, v6
	v_lshlrev_b64 v[6:7], s14, v[28:29]
	s_add_u32 s14, s14, 8
	s_addc_u32 s15, s15, 0
	v_or_b32_e32 v14, v6, v14
	s_cmp_lg_u32 s18, s16
	v_or_b32_e32 v15, v7, v15
	s_cbranch_scc1 .LBB7_279
	s_branch .LBB7_282
.LBB7_280:                              ;   in Loop: Header=BB7_250 Depth=1
	s_mov_b64 s[14:15], -1
                                        ; implicit-def: $vgpr14_vgpr15
                                        ; implicit-def: $sgpr19
	s_branch .LBB7_283
.LBB7_281:                              ;   in Loop: Header=BB7_250 Depth=1
	v_pk_mov_b32 v[14:15], 0, 0
.LBB7_282:                              ;   in Loop: Header=BB7_250 Depth=1
	s_mov_b64 s[14:15], 0
	s_mov_b32 s19, 0
.LBB7_283:                              ;   in Loop: Header=BB7_250 Depth=1
	s_andn2_b64 vcc, exec, s[14:15]
	s_cbranch_vccnz .LBB7_285
; %bb.284:                              ;   in Loop: Header=BB7_250 Depth=1
	global_load_dwordx2 v[14:15], v29, s[4:5]
	s_add_i32 s19, s18, -8
	s_add_u32 s4, s4, 8
	s_addc_u32 s5, s5, 0
.LBB7_285:                              ;   in Loop: Header=BB7_250 Depth=1
	s_cmp_gt_u32 s19, 7
	s_cbranch_scc1 .LBB7_289
; %bb.286:                              ;   in Loop: Header=BB7_250 Depth=1
	s_cmp_eq_u32 s19, 0
	s_cbranch_scc1 .LBB7_290
; %bb.287:                              ;   in Loop: Header=BB7_250 Depth=1
	s_mov_b64 s[14:15], 0
	v_pk_mov_b32 v[16:17], 0, 0
	s_mov_b64 s[16:17], 0
.LBB7_288:                              ;   Parent Loop BB7_250 Depth=1
                                        ; =>  This Inner Loop Header: Depth=2
	s_add_u32 s20, s4, s16
	s_addc_u32 s21, s5, s17
	global_load_ubyte v6, v29, s[20:21]
	s_add_u32 s16, s16, 1
	s_addc_u32 s17, s17, 0
	s_waitcnt vmcnt(0)
	v_and_b32_e32 v28, 0xffff, v6
	v_lshlrev_b64 v[6:7], s14, v[28:29]
	s_add_u32 s14, s14, 8
	s_addc_u32 s15, s15, 0
	v_or_b32_e32 v16, v6, v16
	s_cmp_lg_u32 s19, s16
	v_or_b32_e32 v17, v7, v17
	s_cbranch_scc1 .LBB7_288
	s_branch .LBB7_291
.LBB7_289:                              ;   in Loop: Header=BB7_250 Depth=1
	s_mov_b64 s[14:15], -1
                                        ; implicit-def: $sgpr18
	s_branch .LBB7_292
.LBB7_290:                              ;   in Loop: Header=BB7_250 Depth=1
	v_pk_mov_b32 v[16:17], 0, 0
.LBB7_291:                              ;   in Loop: Header=BB7_250 Depth=1
	s_mov_b64 s[14:15], 0
	s_mov_b32 s18, 0
.LBB7_292:                              ;   in Loop: Header=BB7_250 Depth=1
	s_andn2_b64 vcc, exec, s[14:15]
	s_cbranch_vccnz .LBB7_294
; %bb.293:                              ;   in Loop: Header=BB7_250 Depth=1
	global_load_dwordx2 v[16:17], v29, s[4:5]
	s_add_i32 s18, s19, -8
	s_add_u32 s4, s4, 8
	s_addc_u32 s5, s5, 0
.LBB7_294:                              ;   in Loop: Header=BB7_250 Depth=1
	s_cmp_gt_u32 s18, 7
	s_cbranch_scc1 .LBB7_298
; %bb.295:                              ;   in Loop: Header=BB7_250 Depth=1
	s_cmp_eq_u32 s18, 0
	s_cbranch_scc1 .LBB7_299
; %bb.296:                              ;   in Loop: Header=BB7_250 Depth=1
	s_mov_b64 s[14:15], 0
	v_pk_mov_b32 v[18:19], 0, 0
	s_mov_b64 s[16:17], 0
.LBB7_297:                              ;   Parent Loop BB7_250 Depth=1
                                        ; =>  This Inner Loop Header: Depth=2
	s_add_u32 s20, s4, s16
	s_addc_u32 s21, s5, s17
	global_load_ubyte v6, v29, s[20:21]
	s_add_u32 s16, s16, 1
	s_addc_u32 s17, s17, 0
	s_waitcnt vmcnt(0)
	v_and_b32_e32 v28, 0xffff, v6
	v_lshlrev_b64 v[6:7], s14, v[28:29]
	s_add_u32 s14, s14, 8
	s_addc_u32 s15, s15, 0
	v_or_b32_e32 v18, v6, v18
	s_cmp_lg_u32 s18, s16
	v_or_b32_e32 v19, v7, v19
	s_cbranch_scc1 .LBB7_297
	s_branch .LBB7_300
.LBB7_298:                              ;   in Loop: Header=BB7_250 Depth=1
	s_mov_b64 s[14:15], -1
                                        ; implicit-def: $vgpr18_vgpr19
                                        ; implicit-def: $sgpr19
	s_branch .LBB7_301
.LBB7_299:                              ;   in Loop: Header=BB7_250 Depth=1
	v_pk_mov_b32 v[18:19], 0, 0
.LBB7_300:                              ;   in Loop: Header=BB7_250 Depth=1
	s_mov_b64 s[14:15], 0
	s_mov_b32 s19, 0
.LBB7_301:                              ;   in Loop: Header=BB7_250 Depth=1
	s_andn2_b64 vcc, exec, s[14:15]
	s_cbranch_vccnz .LBB7_303
; %bb.302:                              ;   in Loop: Header=BB7_250 Depth=1
	global_load_dwordx2 v[18:19], v29, s[4:5]
	s_add_i32 s19, s18, -8
	s_add_u32 s4, s4, 8
	s_addc_u32 s5, s5, 0
.LBB7_303:                              ;   in Loop: Header=BB7_250 Depth=1
	s_cmp_gt_u32 s19, 7
	s_cbranch_scc1 .LBB7_307
; %bb.304:                              ;   in Loop: Header=BB7_250 Depth=1
	s_cmp_eq_u32 s19, 0
	s_cbranch_scc1 .LBB7_308
; %bb.305:                              ;   in Loop: Header=BB7_250 Depth=1
	s_mov_b64 s[14:15], 0
	v_pk_mov_b32 v[20:21], 0, 0
	s_mov_b64 s[16:17], s[4:5]
.LBB7_306:                              ;   Parent Loop BB7_250 Depth=1
                                        ; =>  This Inner Loop Header: Depth=2
	global_load_ubyte v6, v29, s[16:17]
	s_add_i32 s19, s19, -1
	s_waitcnt vmcnt(0)
	v_and_b32_e32 v28, 0xffff, v6
	v_lshlrev_b64 v[6:7], s14, v[28:29]
	s_add_u32 s14, s14, 8
	s_addc_u32 s15, s15, 0
	s_add_u32 s16, s16, 1
	s_addc_u32 s17, s17, 0
	v_or_b32_e32 v20, v6, v20
	s_cmp_lg_u32 s19, 0
	v_or_b32_e32 v21, v7, v21
	s_cbranch_scc1 .LBB7_306
	s_branch .LBB7_309
.LBB7_307:                              ;   in Loop: Header=BB7_250 Depth=1
	s_mov_b64 s[14:15], -1
	s_branch .LBB7_310
.LBB7_308:                              ;   in Loop: Header=BB7_250 Depth=1
	v_pk_mov_b32 v[20:21], 0, 0
.LBB7_309:                              ;   in Loop: Header=BB7_250 Depth=1
	s_mov_b64 s[14:15], 0
.LBB7_310:                              ;   in Loop: Header=BB7_250 Depth=1
	s_andn2_b64 vcc, exec, s[14:15]
	s_cbranch_vccnz .LBB7_312
; %bb.311:                              ;   in Loop: Header=BB7_250 Depth=1
	global_load_dwordx2 v[20:21], v29, s[4:5]
.LBB7_312:                              ;   in Loop: Header=BB7_250 Depth=1
	v_readfirstlane_b32 s4, v33
	v_cmp_eq_u32_e64 s[4:5], s4, v33
	v_pk_mov_b32 v[6:7], 0, 0
	s_and_saveexec_b64 s[14:15], s[4:5]
	s_cbranch_execz .LBB7_318
; %bb.313:                              ;   in Loop: Header=BB7_250 Depth=1
	global_load_dwordx2 v[24:25], v29, s[8:9] offset:24 glc
	s_waitcnt vmcnt(0)
	buffer_invl2
	buffer_wbinvl1_vol
	global_load_dwordx2 v[6:7], v29, s[8:9] offset:40
	global_load_dwordx2 v[22:23], v29, s[8:9]
	s_waitcnt vmcnt(1)
	v_and_b32_e32 v6, v6, v24
	v_and_b32_e32 v7, v7, v25
	v_mul_lo_u32 v7, v7, 24
	v_mul_hi_u32 v27, v6, 24
	v_mul_lo_u32 v6, v6, 24
	v_add_u32_e32 v7, v27, v7
	s_waitcnt vmcnt(0)
	v_add_co_u32_e32 v6, vcc, v22, v6
	v_addc_co_u32_e32 v7, vcc, v23, v7, vcc
	global_load_dwordx2 v[22:23], v[6:7], off glc
	s_waitcnt vmcnt(0)
	global_atomic_cmpswap_x2 v[6:7], v29, v[22:25], s[8:9] offset:24 glc
	s_waitcnt vmcnt(0)
	buffer_invl2
	buffer_wbinvl1_vol
	v_cmp_ne_u64_e32 vcc, v[6:7], v[24:25]
	s_and_saveexec_b64 s[16:17], vcc
	s_cbranch_execz .LBB7_317
; %bb.314:                              ;   in Loop: Header=BB7_250 Depth=1
	s_mov_b64 s[18:19], 0
.LBB7_315:                              ;   Parent Loop BB7_250 Depth=1
                                        ; =>  This Inner Loop Header: Depth=2
	s_sleep 1
	global_load_dwordx2 v[22:23], v29, s[8:9] offset:40
	global_load_dwordx2 v[30:31], v29, s[8:9]
	v_pk_mov_b32 v[24:25], v[6:7], v[6:7] op_sel:[0,1]
	s_waitcnt vmcnt(1)
	v_and_b32_e32 v6, v22, v24
	s_waitcnt vmcnt(0)
	v_mad_u64_u32 v[6:7], s[20:21], v6, 24, v[30:31]
	v_and_b32_e32 v23, v23, v25
	v_mov_b32_e32 v22, v7
	v_mad_u64_u32 v[22:23], s[20:21], v23, 24, v[22:23]
	v_mov_b32_e32 v7, v22
	global_load_dwordx2 v[22:23], v[6:7], off glc
	s_waitcnt vmcnt(0)
	global_atomic_cmpswap_x2 v[6:7], v29, v[22:25], s[8:9] offset:24 glc
	s_waitcnt vmcnt(0)
	buffer_invl2
	buffer_wbinvl1_vol
	v_cmp_eq_u64_e32 vcc, v[6:7], v[24:25]
	s_or_b64 s[18:19], vcc, s[18:19]
	s_andn2_b64 exec, exec, s[18:19]
	s_cbranch_execnz .LBB7_315
; %bb.316:                              ;   in Loop: Header=BB7_250 Depth=1
	s_or_b64 exec, exec, s[18:19]
.LBB7_317:                              ;   in Loop: Header=BB7_250 Depth=1
	s_or_b64 exec, exec, s[16:17]
.LBB7_318:                              ;   in Loop: Header=BB7_250 Depth=1
	s_or_b64 exec, exec, s[14:15]
	global_load_dwordx2 v[30:31], v29, s[8:9] offset:40
	global_load_dwordx4 v[22:25], v29, s[8:9]
	v_readfirstlane_b32 s14, v6
	v_readfirstlane_b32 s15, v7
	s_mov_b64 s[16:17], exec
	s_waitcnt vmcnt(1)
	v_readfirstlane_b32 s18, v30
	v_readfirstlane_b32 s19, v31
	s_and_b64 s[18:19], s[14:15], s[18:19]
	s_mul_i32 s20, s19, 24
	s_mul_hi_u32 s21, s18, 24
	s_mul_i32 s22, s18, 24
	s_add_i32 s20, s21, s20
	v_mov_b32_e32 v6, s20
	s_waitcnt vmcnt(0)
	v_add_co_u32_e32 v30, vcc, s22, v22
	v_addc_co_u32_e32 v31, vcc, v23, v6, vcc
	s_and_saveexec_b64 s[20:21], s[4:5]
	s_cbranch_execz .LBB7_320
; %bb.319:                              ;   in Loop: Header=BB7_250 Depth=1
	v_pk_mov_b32 v[6:7], s[16:17], s[16:17] op_sel:[0,1]
	global_store_dwordx4 v[30:31], v[6:9], off offset:8
.LBB7_320:                              ;   in Loop: Header=BB7_250 Depth=1
	s_or_b64 exec, exec, s[20:21]
	s_lshl_b64 s[16:17], s[18:19], 12
	v_mov_b32_e32 v7, s17
	v_add_co_u32_e32 v6, vcc, s16, v24
	v_addc_co_u32_e32 v7, vcc, v25, v7, vcc
	v_or_b32_e32 v25, v0, v26
	v_cmp_gt_u64_e64 vcc, s[10:11], 56
	s_lshl_b32 s16, s12, 2
	v_cndmask_b32_e32 v0, v25, v0, vcc
	s_add_i32 s16, s16, 28
	v_or_b32_e32 v24, 0, v1
	s_and_b32 s16, s16, 0x1e0
	v_and_b32_e32 v0, 0xffffff1f, v0
	v_cndmask_b32_e32 v1, v24, v1, vcc
	v_or_b32_e32 v0, s16, v0
	v_readfirstlane_b32 s16, v6
	v_readfirstlane_b32 s17, v7
	s_nop 4
	global_store_dwordx4 v32, v[0:3], s[16:17]
	global_store_dwordx4 v32, v[10:13], s[16:17] offset:16
	global_store_dwordx4 v32, v[14:17], s[16:17] offset:32
	;; [unrolled: 1-line block ×3, first 2 shown]
	s_and_saveexec_b64 s[16:17], s[4:5]
	s_cbranch_execz .LBB7_328
; %bb.321:                              ;   in Loop: Header=BB7_250 Depth=1
	global_load_dwordx2 v[14:15], v29, s[8:9] offset:32 glc
	global_load_dwordx2 v[0:1], v29, s[8:9] offset:40
	v_mov_b32_e32 v12, s14
	v_mov_b32_e32 v13, s15
	s_waitcnt vmcnt(0)
	v_readfirstlane_b32 s18, v0
	v_readfirstlane_b32 s19, v1
	s_and_b64 s[18:19], s[18:19], s[14:15]
	s_mul_i32 s19, s19, 24
	s_mul_hi_u32 s20, s18, 24
	s_mul_i32 s18, s18, 24
	s_add_i32 s19, s20, s19
	v_mov_b32_e32 v0, s19
	v_add_co_u32_e32 v10, vcc, s18, v22
	v_addc_co_u32_e32 v11, vcc, v23, v0, vcc
	global_store_dwordx2 v[10:11], v[14:15], off
	buffer_wbl2
	s_waitcnt vmcnt(0)
	global_atomic_cmpswap_x2 v[2:3], v29, v[12:15], s[8:9] offset:32 glc
	s_waitcnt vmcnt(0)
	v_cmp_ne_u64_e32 vcc, v[2:3], v[14:15]
	s_and_saveexec_b64 s[18:19], vcc
	s_cbranch_execz .LBB7_324
; %bb.322:                              ;   in Loop: Header=BB7_250 Depth=1
	s_mov_b64 s[20:21], 0
.LBB7_323:                              ;   Parent Loop BB7_250 Depth=1
                                        ; =>  This Inner Loop Header: Depth=2
	s_sleep 1
	global_store_dwordx2 v[10:11], v[2:3], off
	v_mov_b32_e32 v0, s14
	v_mov_b32_e32 v1, s15
	buffer_wbl2
	s_waitcnt vmcnt(0)
	global_atomic_cmpswap_x2 v[0:1], v29, v[0:3], s[8:9] offset:32 glc
	s_waitcnt vmcnt(0)
	v_cmp_eq_u64_e32 vcc, v[0:1], v[2:3]
	s_or_b64 s[20:21], vcc, s[20:21]
	v_pk_mov_b32 v[2:3], v[0:1], v[0:1] op_sel:[0,1]
	s_andn2_b64 exec, exec, s[20:21]
	s_cbranch_execnz .LBB7_323
.LBB7_324:                              ;   in Loop: Header=BB7_250 Depth=1
	s_or_b64 exec, exec, s[18:19]
	global_load_dwordx2 v[0:1], v29, s[8:9] offset:16
	s_mov_b64 s[20:21], exec
	v_mbcnt_lo_u32_b32 v2, s20, 0
	v_mbcnt_hi_u32_b32 v2, s21, v2
	v_cmp_eq_u32_e32 vcc, 0, v2
	s_and_saveexec_b64 s[18:19], vcc
	s_cbranch_execz .LBB7_326
; %bb.325:                              ;   in Loop: Header=BB7_250 Depth=1
	s_bcnt1_i32_b64 s20, s[20:21]
	v_mov_b32_e32 v28, s20
	buffer_wbl2
	s_waitcnt vmcnt(0)
	global_atomic_add_x2 v[0:1], v[28:29], off offset:8
.LBB7_326:                              ;   in Loop: Header=BB7_250 Depth=1
	s_or_b64 exec, exec, s[18:19]
	s_waitcnt vmcnt(0)
	global_load_dwordx2 v[2:3], v[0:1], off offset:16
	s_waitcnt vmcnt(0)
	v_cmp_eq_u64_e32 vcc, 0, v[2:3]
	s_cbranch_vccnz .LBB7_328
; %bb.327:                              ;   in Loop: Header=BB7_250 Depth=1
	global_load_dword v28, v[0:1], off offset:24
	s_waitcnt vmcnt(0)
	v_and_b32_e32 v0, 0xffffff, v28
	v_readfirstlane_b32 m0, v0
	buffer_wbl2
	global_store_dwordx2 v[2:3], v[28:29], off
	s_sendmsg sendmsg(MSG_INTERRUPT)
.LBB7_328:                              ;   in Loop: Header=BB7_250 Depth=1
	s_or_b64 exec, exec, s[16:17]
	v_add_co_u32_e32 v0, vcc, v6, v32
	v_addc_co_u32_e32 v1, vcc, 0, v7, vcc
	s_branch .LBB7_330
.LBB7_329:                              ;   in Loop: Header=BB7_250 Depth=1
	s_branch .LBB7_334
.LBB7_330:                              ;   Parent Loop BB7_250 Depth=1
                                        ; =>  This Inner Loop Header: Depth=2
	v_mov_b32_e32 v2, 1
	s_and_saveexec_b64 s[16:17], s[4:5]
	s_cbranch_execz .LBB7_332
; %bb.331:                              ;   in Loop: Header=BB7_330 Depth=2
	global_load_dword v2, v[30:31], off offset:20 glc
	s_waitcnt vmcnt(0)
	buffer_invl2
	buffer_wbinvl1_vol
	v_and_b32_e32 v2, 1, v2
.LBB7_332:                              ;   in Loop: Header=BB7_330 Depth=2
	s_or_b64 exec, exec, s[16:17]
	v_readfirstlane_b32 s16, v2
	s_cmp_eq_u32 s16, 0
	s_cbranch_scc1 .LBB7_329
; %bb.333:                              ;   in Loop: Header=BB7_330 Depth=2
	s_sleep 1
	s_cbranch_execnz .LBB7_330
.LBB7_334:                              ;   in Loop: Header=BB7_250 Depth=1
	global_load_dwordx4 v[0:3], v[0:1], off
	s_and_saveexec_b64 s[16:17], s[4:5]
	s_cbranch_execz .LBB7_249
; %bb.335:                              ;   in Loop: Header=BB7_250 Depth=1
	global_load_dwordx2 v[2:3], v29, s[8:9] offset:40
	global_load_dwordx2 v[6:7], v29, s[8:9] offset:24 glc
	global_load_dwordx2 v[14:15], v29, s[8:9]
	v_mov_b32_e32 v11, s15
	s_waitcnt vmcnt(2)
	v_add_co_u32_e32 v13, vcc, 1, v2
	v_addc_co_u32_e32 v16, vcc, 0, v3, vcc
	v_add_co_u32_e32 v10, vcc, s14, v13
	v_addc_co_u32_e32 v11, vcc, v16, v11, vcc
	v_cmp_eq_u64_e32 vcc, 0, v[10:11]
	v_cndmask_b32_e32 v11, v11, v16, vcc
	v_cndmask_b32_e32 v10, v10, v13, vcc
	v_and_b32_e32 v3, v11, v3
	v_and_b32_e32 v2, v10, v2
	v_mul_lo_u32 v3, v3, 24
	v_mul_hi_u32 v13, v2, 24
	v_mul_lo_u32 v2, v2, 24
	v_add_u32_e32 v3, v13, v3
	s_waitcnt vmcnt(0)
	v_add_co_u32_e32 v2, vcc, v14, v2
	v_addc_co_u32_e32 v3, vcc, v15, v3, vcc
	v_mov_b32_e32 v12, v6
	global_store_dwordx2 v[2:3], v[6:7], off
	v_mov_b32_e32 v13, v7
	buffer_wbl2
	s_waitcnt vmcnt(0)
	global_atomic_cmpswap_x2 v[12:13], v29, v[10:13], s[8:9] offset:24 glc
	s_waitcnt vmcnt(0)
	v_cmp_ne_u64_e32 vcc, v[12:13], v[6:7]
	s_and_b64 exec, exec, vcc
	s_cbranch_execz .LBB7_249
; %bb.336:                              ;   in Loop: Header=BB7_250 Depth=1
	s_mov_b64 s[4:5], 0
.LBB7_337:                              ;   Parent Loop BB7_250 Depth=1
                                        ; =>  This Inner Loop Header: Depth=2
	s_sleep 1
	global_store_dwordx2 v[2:3], v[12:13], off
	buffer_wbl2
	s_waitcnt vmcnt(0)
	global_atomic_cmpswap_x2 v[6:7], v29, v[10:13], s[8:9] offset:24 glc
	s_waitcnt vmcnt(0)
	v_cmp_eq_u64_e32 vcc, v[6:7], v[12:13]
	s_or_b64 s[4:5], vcc, s[4:5]
	v_pk_mov_b32 v[12:13], v[6:7], v[6:7] op_sel:[0,1]
	s_andn2_b64 exec, exec, s[4:5]
	s_cbranch_execnz .LBB7_337
	s_branch .LBB7_249
.LBB7_338:
	s_or_b64 exec, exec, s[12:13]
	v_add_co_u32_e32 v2, vcc, v0, v40
	v_and_b32_e32 v4, 2.0, v59
	v_addc_co_u32_e32 v3, vcc, v1, v41, vcc
	v_cmp_ne_u32_e64 s[6:7], 0, v4
	s_mov_b64 s[18:19], -1
	s_mov_b64 s[14:15], 32
	s_mov_b64 s[12:13], 0
                                        ; implicit-def: $sgpr16_sgpr17
	s_branch .LBB7_341
.LBB7_339:                              ;   in Loop: Header=BB7_341 Depth=1
	s_or_b64 exec, exec, s[20:21]
.LBB7_340:                              ;   in Loop: Header=BB7_341 Depth=1
	s_lshl_b64 s[14:15], s[14:15], 1
	s_xor_b64 s[8:9], s[18:19], -1
	v_cmp_ge_i64_e32 vcc, s[14:15], v[56:57]
	s_or_b64 s[12:13], vcc, s[12:13]
	s_andn2_b64 s[16:17], s[16:17], exec
	s_and_b64 s[18:19], s[18:19], exec
	s_or_b64 s[16:17], s[16:17], s[18:19]
	s_mov_b64 s[18:19], s[8:9]
	s_andn2_b64 exec, exec, s[12:13]
	s_cbranch_execz .LBB7_376
.LBB7_341:                              ; =>This Loop Header: Depth=1
                                        ;     Child Loop BB7_345 Depth 2
                                        ;       Child Loop BB7_347 Depth 3
                                        ;       Child Loop BB7_352 Depth 3
	;; [unrolled: 1-line block ×3, first 2 shown]
                                        ;     Child Loop BB7_361 Depth 2
                                        ;       Child Loop BB7_364 Depth 3
                                        ;       Child Loop BB7_370 Depth 3
	;; [unrolled: 1-line block ×3, first 2 shown]
	s_andn2_b64 vcc, exec, s[18:19]
	s_mov_b64 s[8:9], -1
	s_cbranch_vccz .LBB7_357
; %bb.342:                              ;   in Loop: Header=BB7_341 Depth=1
	s_and_saveexec_b64 s[20:21], s[6:7]
	s_cbranch_execz .LBB7_356
; %bb.343:                              ;   in Loop: Header=BB7_341 Depth=1
	s_lshl_b64 s[22:23], s[14:15], 3
	s_mov_b64 s[28:29], 0
	v_mov_b32_e32 v20, s23
	v_pk_mov_b32 v[4:5], v[46:47], v[46:47] op_sel:[0,1]
	v_pk_mov_b32 v[6:7], v[44:45], v[44:45] op_sel:[0,1]
	v_pk_mov_b32 v[10:11], v[0:1], v[0:1] op_sel:[0,1]
	s_branch .LBB7_345
.LBB7_344:                              ;   in Loop: Header=BB7_345 Depth=2
	s_or_b64 exec, exec, s[8:9]
	v_mov_b32_e32 v12, s23
	v_add_co_u32_e32 v10, vcc, s22, v22
	v_addc_co_u32_e32 v11, vcc, v21, v12, vcc
	v_add_co_u32_e32 v4, vcc, s22, v4
	v_addc_co_u32_e32 v5, vcc, v5, v12, vcc
	v_sub_co_u32_e32 v8, vcc, v10, v2
	v_subb_co_u32_e32 v9, vcc, v11, v3, vcc
	v_cmp_lt_i64_e32 vcc, -1, v[8:9]
	s_or_b64 s[28:29], vcc, s[28:29]
	v_add_co_u32_e32 v6, vcc, s22, v6
	v_addc_co_u32_e32 v7, vcc, v7, v12, vcc
	s_andn2_b64 exec, exec, s[28:29]
	s_cbranch_execz .LBB7_356
.LBB7_345:                              ;   Parent Loop BB7_341 Depth=1
                                        ; =>  This Loop Header: Depth=2
                                        ;       Child Loop BB7_347 Depth 3
                                        ;       Child Loop BB7_352 Depth 3
	;; [unrolled: 1-line block ×3, first 2 shown]
	v_add_co_u32_e32 v22, vcc, s22, v10
	v_addc_co_u32_e32 v21, vcc, v11, v20, vcc
	v_sub_co_u32_e32 v8, vcc, v22, v2
	v_subb_co_u32_e32 v9, vcc, v21, v3, vcc
	v_cmp_gt_i64_e32 vcc, 0, v[8:9]
	v_cndmask_b32_e32 v14, v2, v22, vcc
	v_cndmask_b32_e32 v15, v3, v21, vcc
	v_add_co_u32_e32 v12, vcc, s22, v14
	v_addc_co_u32_e32 v13, vcc, v15, v20, vcc
	v_sub_co_u32_e32 v8, vcc, v12, v2
	v_subb_co_u32_e32 v9, vcc, v13, v3, vcc
	v_cmp_gt_i64_e32 vcc, 0, v[8:9]
	v_cndmask_b32_e32 v9, v3, v13, vcc
	v_cndmask_b32_e32 v8, v2, v12, vcc
	v_cmp_ne_u64_e32 vcc, v[10:11], v[14:15]
	v_cmp_ne_u64_e64 s[8:9], v[14:15], v[8:9]
	s_and_b64 s[8:9], vcc, s[8:9]
	v_pk_mov_b32 v[12:13], v[14:15], v[14:15] op_sel:[0,1]
	v_pk_mov_b32 v[18:19], v[6:7], v[6:7] op_sel:[0,1]
	;; [unrolled: 1-line block ×3, first 2 shown]
	s_and_saveexec_b64 s[30:31], s[8:9]
	s_cbranch_execz .LBB7_350
; %bb.346:                              ;   in Loop: Header=BB7_345 Depth=2
	s_mov_b64 s[34:35], 0
	s_mov_b64 s[36:37], 0
	v_pk_mov_b32 v[12:13], v[14:15], v[14:15] op_sel:[0,1]
.LBB7_347:                              ;   Parent Loop BB7_341 Depth=1
                                        ;     Parent Loop BB7_345 Depth=2
                                        ; =>    This Inner Loop Header: Depth=3
	global_load_dwordx2 v[16:17], v[12:13], off
	global_load_dwordx2 v[18:19], v[10:11], off
	v_add_co_u32_e64 v28, s[8:9], 8, v12
	v_addc_co_u32_e64 v29, s[8:9], 0, v13, s[8:9]
	v_mov_b32_e32 v23, s37
	v_add_co_u32_e32 v24, vcc, s36, v4
	v_add_co_u32_e64 v30, s[8:9], 8, v10
	v_addc_co_u32_e64 v31, s[8:9], 0, v11, s[8:9]
	v_addc_co_u32_e32 v25, vcc, v5, v23, vcc
	v_add_co_u32_e64 v26, s[8:9], s36, v6
	v_addc_co_u32_e64 v27, s[8:9], v7, v23, s[8:9]
	s_waitcnt vmcnt(0)
	v_cmp_gt_i32_e32 vcc, v16, v18
	v_cndmask_b32_e64 v23, 0, 1, vcc
	v_cmp_gt_i32_e32 vcc, v17, v19
	v_cndmask_b32_e64 v32, 0, 1, vcc
	v_cmp_eq_u32_e32 vcc, v17, v19
	v_cndmask_b32_e32 v23, v32, v23, vcc
	v_and_b32_e32 v23, 1, v23
	v_cmp_eq_u32_e32 vcc, 1, v23
	v_cndmask_b32_e32 v13, v13, v29, vcc
	v_cndmask_b32_e32 v12, v12, v28, vcc
	v_cndmask_b32_e32 v11, v31, v11, vcc
	v_cndmask_b32_e32 v10, v30, v10, vcc
	v_cndmask_b32_e32 v17, v19, v17, vcc
	v_cndmask_b32_e32 v16, v18, v16, vcc
	v_cmp_eq_u64_e32 vcc, v[10:11], v[14:15]
	v_cmp_eq_u64_e64 s[8:9], v[12:13], v[8:9]
	s_or_b64 s[8:9], vcc, s[8:9]
	s_add_u32 s36, s36, 4
	s_addc_u32 s37, s37, 0
	global_store_dword v[24:25], v16, off
	global_store_dword v[26:27], v17, off
	v_mov_b32_e32 v17, s37
	v_mov_b32_e32 v23, s37
	v_add_co_u32_e32 v16, vcc, s36, v4
	s_and_b64 s[38:39], exec, s[8:9]
	v_add_co_u32_e64 v18, s[8:9], s36, v6
	v_addc_co_u32_e64 v19, s[8:9], v7, v17, s[8:9]
	s_or_b64 s[34:35], s[38:39], s[34:35]
	v_addc_co_u32_e32 v17, vcc, v5, v23, vcc
	s_andn2_b64 exec, exec, s[34:35]
	s_cbranch_execnz .LBB7_347
; %bb.348:                              ;   in Loop: Header=BB7_345 Depth=2
	s_or_b64 exec, exec, s[34:35]
	s_or_b64 exec, exec, s[30:31]
	v_cmp_ne_u64_e32 vcc, v[10:11], v[14:15]
	s_and_saveexec_b64 s[8:9], vcc
	s_cbranch_execnz .LBB7_351
.LBB7_349:                              ;   in Loop: Header=BB7_345 Depth=2
	s_or_b64 exec, exec, s[8:9]
	v_cmp_ne_u64_e32 vcc, v[12:13], v[8:9]
	s_and_saveexec_b64 s[8:9], vcc
	s_cbranch_execz .LBB7_344
	s_branch .LBB7_354
.LBB7_350:                              ;   in Loop: Header=BB7_345 Depth=2
	s_or_b64 exec, exec, s[30:31]
	v_cmp_ne_u64_e32 vcc, v[10:11], v[14:15]
	s_and_saveexec_b64 s[8:9], vcc
	s_cbranch_execz .LBB7_349
.LBB7_351:                              ;   in Loop: Header=BB7_345 Depth=2
	s_mov_b64 s[30:31], 0
.LBB7_352:                              ;   Parent Loop BB7_341 Depth=1
                                        ;     Parent Loop BB7_345 Depth=2
                                        ; =>    This Inner Loop Header: Depth=3
	global_load_dwordx2 v[24:25], v[10:11], off
	v_add_co_u32_e32 v10, vcc, 8, v10
	v_addc_co_u32_e32 v11, vcc, 0, v11, vcc
	v_cmp_eq_u64_e32 vcc, v[10:11], v[14:15]
	s_or_b64 s[30:31], vcc, s[30:31]
	s_waitcnt vmcnt(0)
	global_store_dword v[16:17], v24, off
	global_store_dword v[18:19], v25, off
	v_add_co_u32_e32 v16, vcc, 4, v16
	v_addc_co_u32_e32 v17, vcc, 0, v17, vcc
	v_add_co_u32_e32 v18, vcc, 4, v18
	v_addc_co_u32_e32 v19, vcc, 0, v19, vcc
	s_andn2_b64 exec, exec, s[30:31]
	s_cbranch_execnz .LBB7_352
; %bb.353:                              ;   in Loop: Header=BB7_345 Depth=2
	s_or_b64 exec, exec, s[30:31]
	s_or_b64 exec, exec, s[8:9]
	v_cmp_ne_u64_e32 vcc, v[12:13], v[8:9]
	s_and_saveexec_b64 s[8:9], vcc
	s_cbranch_execz .LBB7_344
.LBB7_354:                              ;   in Loop: Header=BB7_345 Depth=2
	s_mov_b64 s[30:31], 0
.LBB7_355:                              ;   Parent Loop BB7_341 Depth=1
                                        ;     Parent Loop BB7_345 Depth=2
                                        ; =>    This Inner Loop Header: Depth=3
	global_load_dwordx2 v[10:11], v[12:13], off
	v_add_co_u32_e32 v12, vcc, 8, v12
	v_addc_co_u32_e32 v13, vcc, 0, v13, vcc
	v_cmp_eq_u64_e32 vcc, v[12:13], v[8:9]
	s_or_b64 s[30:31], vcc, s[30:31]
	s_waitcnt vmcnt(0)
	global_store_dword v[16:17], v10, off
	global_store_dword v[18:19], v11, off
	v_add_co_u32_e32 v16, vcc, 4, v16
	v_addc_co_u32_e32 v17, vcc, 0, v17, vcc
	v_add_co_u32_e32 v18, vcc, 4, v18
	v_addc_co_u32_e32 v19, vcc, 0, v19, vcc
	s_andn2_b64 exec, exec, s[30:31]
	s_cbranch_execnz .LBB7_355
	s_branch .LBB7_344
.LBB7_356:                              ;   in Loop: Header=BB7_341 Depth=1
	s_or_b64 exec, exec, s[20:21]
	s_mov_b64 s[8:9], 0
.LBB7_357:                              ;   in Loop: Header=BB7_341 Depth=1
	s_andn2_b64 vcc, exec, s[8:9]
	s_cbranch_vccnz .LBB7_340
; %bb.358:                              ;   in Loop: Header=BB7_341 Depth=1
	s_and_saveexec_b64 s[20:21], s[4:5]
	s_cbranch_execz .LBB7_339
; %bb.359:                              ;   in Loop: Header=BB7_341 Depth=1
	s_lshl_b64 s[8:9], s[14:15], 1
	s_lshl_b64 s[22:23], s[14:15], 2
	s_mov_b64 s[28:29], 0
	s_lshl_b64 s[30:31], s[8:9], 3
	v_pk_mov_b32 v[10:11], v[44:45], v[44:45] op_sel:[0,1]
	v_pk_mov_b32 v[8:9], v[46:47], v[46:47] op_sel:[0,1]
	;; [unrolled: 1-line block ×3, first 2 shown]
	s_branch .LBB7_361
.LBB7_360:                              ;   in Loop: Header=BB7_361 Depth=2
	s_or_b64 exec, exec, s[8:9]
	v_mov_b32_e32 v6, s23
	v_add_co_u32_e32 v8, vcc, s22, v26
	v_addc_co_u32_e32 v9, vcc, v27, v6, vcc
	v_add_co_u32_e32 v10, vcc, s22, v24
	v_addc_co_u32_e32 v11, vcc, v25, v6, vcc
	v_sub_co_u32_e32 v6, vcc, v42, v8
	v_subb_co_u32_e32 v7, vcc, v43, v9, vcc
	v_cmp_gt_i64_e32 vcc, 1, v[6:7]
	v_mov_b32_e32 v12, s31
	s_or_b64 s[28:29], vcc, s[28:29]
	v_add_co_u32_e32 v4, vcc, s30, v4
	v_addc_co_u32_e32 v5, vcc, v5, v12, vcc
	s_andn2_b64 exec, exec, s[28:29]
	s_cbranch_execz .LBB7_339
.LBB7_361:                              ;   Parent Loop BB7_341 Depth=1
                                        ; =>  This Loop Header: Depth=2
                                        ;       Child Loop BB7_364 Depth 3
                                        ;       Child Loop BB7_370 Depth 3
	;; [unrolled: 1-line block ×3, first 2 shown]
	v_mov_b32_e32 v12, s23
	v_add_co_u32_e32 v26, vcc, s22, v8
	v_addc_co_u32_e32 v27, vcc, v9, v12, vcc
	v_add_co_u32_e32 v24, vcc, s22, v10
	v_addc_co_u32_e32 v25, vcc, v11, v12, vcc
	v_sub_co_u32_e32 v6, vcc, v42, v26
	v_subb_co_u32_e32 v7, vcc, v43, v27, vcc
	v_cmp_lt_i64_e32 vcc, 0, v[6:7]
	v_cndmask_b32_e32 v18, v42, v26, vcc
	v_cndmask_b32_e32 v19, v43, v27, vcc
	;; [unrolled: 1-line block ×4, first 2 shown]
	v_add_co_u32_e32 v14, vcc, s22, v18
	v_addc_co_u32_e32 v15, vcc, v19, v12, vcc
	v_sub_co_u32_e32 v12, vcc, v42, v14
	v_subb_co_u32_e32 v13, vcc, v43, v15, vcc
	v_cmp_lt_i64_e32 vcc, 0, v[12:13]
	v_cndmask_b32_e32 v13, v43, v15, vcc
	v_cndmask_b32_e32 v12, v42, v14, vcc
	v_cmp_ne_u64_e32 vcc, v[8:9], v[18:19]
	v_cmp_ne_u64_e64 s[8:9], v[18:19], v[12:13]
	s_and_b64 s[8:9], vcc, s[8:9]
	v_pk_mov_b32 v[14:15], v[18:19], v[18:19] op_sel:[0,1]
	v_pk_mov_b32 v[16:17], v[4:5], v[4:5] op_sel:[0,1]
	s_and_saveexec_b64 s[34:35], s[8:9]
	s_cbranch_execz .LBB7_368
; %bb.362:                              ;   in Loop: Header=BB7_361 Depth=2
	s_mov_b64 s[36:37], 0
	v_pk_mov_b32 v[14:15], v[18:19], v[18:19] op_sel:[0,1]
	v_pk_mov_b32 v[16:17], v[4:5], v[4:5] op_sel:[0,1]
	s_branch .LBB7_364
.LBB7_363:                              ;   in Loop: Header=BB7_364 Depth=3
	s_or_b64 exec, exec, s[8:9]
	v_cmp_eq_u64_e32 vcc, v[8:9], v[18:19]
	v_cmp_eq_u64_e64 s[8:9], v[14:15], v[12:13]
	s_or_b64 s[8:9], vcc, s[8:9]
	global_store_dwordx2 v[16:17], v[20:21], off
	s_and_b64 s[8:9], exec, s[8:9]
	v_add_co_u32_e32 v16, vcc, 8, v16
	s_or_b64 s[36:37], s[8:9], s[36:37]
	v_addc_co_u32_e32 v17, vcc, 0, v17, vcc
	s_andn2_b64 exec, exec, s[36:37]
	s_cbranch_execz .LBB7_372
.LBB7_364:                              ;   Parent Loop BB7_341 Depth=1
                                        ;     Parent Loop BB7_361 Depth=2
                                        ; =>    This Inner Loop Header: Depth=3
	global_load_dword v20, v[14:15], off
	global_load_dword v22, v[8:9], off
	;; [unrolled: 1-line block ×4, first 2 shown]
	s_waitcnt vmcnt(2)
	v_cmp_gt_i32_e32 vcc, v20, v22
	v_cndmask_b32_e64 v28, 0, 1, vcc
	s_waitcnt vmcnt(0)
	v_cmp_gt_i32_e32 vcc, v21, v23
	v_cndmask_b32_e64 v29, 0, 1, vcc
	v_cmp_eq_u32_e32 vcc, v21, v23
	v_cndmask_b32_e32 v28, v29, v28, vcc
	v_and_b32_e32 v28, 1, v28
	v_cmp_eq_u32_e32 vcc, 1, v28
	s_xor_b64 s[8:9], vcc, -1
	s_and_saveexec_b64 s[38:39], s[8:9]
	s_xor_b64 s[8:9], exec, s[38:39]
; %bb.365:                              ;   in Loop: Header=BB7_364 Depth=3
	v_add_co_u32_e32 v8, vcc, 4, v8
	v_addc_co_u32_e32 v9, vcc, 0, v9, vcc
	v_add_co_u32_e32 v10, vcc, 4, v10
	v_addc_co_u32_e32 v11, vcc, 0, v11, vcc
	v_pk_mov_b32 v[20:21], v[22:23], v[22:23] op_sel:[0,1]
; %bb.366:                              ;   in Loop: Header=BB7_364 Depth=3
	s_andn2_saveexec_b64 s[8:9], s[8:9]
	s_cbranch_execz .LBB7_363
; %bb.367:                              ;   in Loop: Header=BB7_364 Depth=3
	v_add_co_u32_e32 v14, vcc, 4, v14
	v_addc_co_u32_e32 v15, vcc, 0, v15, vcc
	v_add_co_u32_e32 v6, vcc, 4, v6
	v_addc_co_u32_e32 v7, vcc, 0, v7, vcc
	s_branch .LBB7_363
.LBB7_368:                              ;   in Loop: Header=BB7_361 Depth=2
	s_or_b64 exec, exec, s[34:35]
	v_cmp_ne_u64_e32 vcc, v[8:9], v[18:19]
	s_and_saveexec_b64 s[8:9], vcc
	s_cbranch_execz .LBB7_373
.LBB7_369:                              ;   in Loop: Header=BB7_361 Depth=2
	s_mov_b64 s[34:35], 0
.LBB7_370:                              ;   Parent Loop BB7_341 Depth=1
                                        ;     Parent Loop BB7_361 Depth=2
                                        ; =>    This Inner Loop Header: Depth=3
	global_load_dword v20, v[8:9], off
	global_load_dword v21, v[10:11], off
	v_add_co_u32_e32 v8, vcc, 4, v8
	v_addc_co_u32_e32 v9, vcc, 0, v9, vcc
	v_add_co_u32_e32 v10, vcc, 4, v10
	v_addc_co_u32_e32 v11, vcc, 0, v11, vcc
	v_cmp_eq_u64_e32 vcc, v[8:9], v[18:19]
	s_or_b64 s[34:35], vcc, s[34:35]
	s_waitcnt vmcnt(0)
	global_store_dwordx2 v[16:17], v[20:21], off
	v_add_co_u32_e32 v16, vcc, 8, v16
	v_addc_co_u32_e32 v17, vcc, 0, v17, vcc
	s_andn2_b64 exec, exec, s[34:35]
	s_cbranch_execnz .LBB7_370
; %bb.371:                              ;   in Loop: Header=BB7_361 Depth=2
	s_or_b64 exec, exec, s[34:35]
	s_or_b64 exec, exec, s[8:9]
	v_cmp_ne_u64_e32 vcc, v[14:15], v[12:13]
	s_and_saveexec_b64 s[8:9], vcc
	s_cbranch_execz .LBB7_360
	s_branch .LBB7_374
.LBB7_372:                              ;   in Loop: Header=BB7_361 Depth=2
	s_or_b64 exec, exec, s[36:37]
	s_or_b64 exec, exec, s[34:35]
	v_cmp_ne_u64_e32 vcc, v[8:9], v[18:19]
	s_and_saveexec_b64 s[8:9], vcc
	s_cbranch_execnz .LBB7_369
.LBB7_373:                              ;   in Loop: Header=BB7_361 Depth=2
	s_or_b64 exec, exec, s[8:9]
	v_cmp_ne_u64_e32 vcc, v[14:15], v[12:13]
	s_and_saveexec_b64 s[8:9], vcc
	s_cbranch_execz .LBB7_360
.LBB7_374:                              ;   in Loop: Header=BB7_361 Depth=2
	s_mov_b64 s[34:35], 0
.LBB7_375:                              ;   Parent Loop BB7_341 Depth=1
                                        ;     Parent Loop BB7_361 Depth=2
                                        ; =>    This Inner Loop Header: Depth=3
	global_load_dword v8, v[14:15], off
	global_load_dword v9, v[6:7], off
	v_add_co_u32_e32 v14, vcc, 4, v14
	v_addc_co_u32_e32 v15, vcc, 0, v15, vcc
	v_add_co_u32_e32 v6, vcc, 4, v6
	v_addc_co_u32_e32 v7, vcc, 0, v7, vcc
	v_cmp_eq_u64_e32 vcc, v[14:15], v[12:13]
	s_or_b64 s[34:35], vcc, s[34:35]
	s_waitcnt vmcnt(0)
	global_store_dwordx2 v[16:17], v[8:9], off
	v_add_co_u32_e32 v16, vcc, 8, v16
	v_addc_co_u32_e32 v17, vcc, 0, v17, vcc
	s_andn2_b64 exec, exec, s[34:35]
	s_cbranch_execnz .LBB7_375
	s_branch .LBB7_360
.LBB7_376:
	s_or_b64 exec, exec, s[12:13]
	s_and_saveexec_b64 s[4:5], s[16:17]
	s_cbranch_execz .LBB7_379
; %bb.377:
	s_mov_b64 s[6:7], 0
	v_pk_mov_b32 v[4:5], v[46:47], v[46:47] op_sel:[0,1]
	v_pk_mov_b32 v[6:7], v[44:45], v[44:45] op_sel:[0,1]
	;; [unrolled: 1-line block ×3, first 2 shown]
.LBB7_378:                              ; =>This Inner Loop Header: Depth=1
	global_load_dwordx2 v[10:11], v[8:9], off
	v_add_co_u32_e32 v8, vcc, 8, v8
	v_addc_co_u32_e32 v9, vcc, 0, v9, vcc
	v_cmp_eq_u64_e32 vcc, v[8:9], v[2:3]
	s_or_b64 s[6:7], vcc, s[6:7]
	s_waitcnt vmcnt(0)
	global_store_dword v[4:5], v10, off
	global_store_dword v[6:7], v11, off
	v_add_co_u32_e32 v4, vcc, 4, v4
	v_addc_co_u32_e32 v5, vcc, 0, v5, vcc
	v_add_co_u32_e32 v6, vcc, 4, v6
	v_addc_co_u32_e32 v7, vcc, 0, v7, vcc
	s_andn2_b64 exec, exec, s[6:7]
	s_cbranch_execnz .LBB7_378
.LBB7_379:
	s_or_b64 exec, exec, s[4:5]
	s_add_u32 s8, s10, 0x78
	s_addc_u32 s9, s11, 0
	s_getpc_b64 s[4:5]
	s_add_u32 s4, s4, __ockl_dm_dealloc@rel32@lo+4
	s_addc_u32 s5, s5, __ockl_dm_dealloc@rel32@hi+12
	s_swappc_b64 s[30:31], s[4:5]
                                        ; implicit-def: $vgpr0_vgpr1
	s_branch .LBB7_62
.LBB7_380:
	s_mov_b64 s[6:7], -1
                                        ; implicit-def: $vgpr0_vgpr1
	s_branch .LBB7_382
.LBB7_381:
	s_mov_b64 s[6:7], 0
.LBB7_382:
	v_readlane_b32 s4, v70, 10
	v_readlane_b32 s5, v70, 11
	s_and_b64 vcc, exec, s[6:7]
	s_cbranch_vccz .LBB7_409
; %bb.383:
	v_readfirstlane_b32 s4, v33
	v_cmp_eq_u32_e64 s[4:5], s4, v33
	v_pk_mov_b32 v[8:9], 0, 0
	s_and_saveexec_b64 s[6:7], s[4:5]
	s_cbranch_execz .LBB7_389
; %bb.384:
	s_waitcnt vmcnt(0)
	v_mov_b32_e32 v0, 0
	global_load_dwordx2 v[10:11], v0, s[8:9] offset:24 glc
	s_waitcnt vmcnt(0)
	buffer_invl2
	buffer_wbinvl1_vol
	global_load_dwordx2 v[2:3], v0, s[8:9] offset:40
	global_load_dwordx2 v[6:7], v0, s[8:9]
	s_waitcnt vmcnt(1)
	v_and_b32_e32 v1, v2, v10
	v_and_b32_e32 v2, v3, v11
	v_mul_lo_u32 v2, v2, 24
	v_mul_hi_u32 v3, v1, 24
	v_mul_lo_u32 v1, v1, 24
	v_add_u32_e32 v3, v3, v2
	s_waitcnt vmcnt(0)
	v_add_co_u32_e32 v2, vcc, v6, v1
	v_addc_co_u32_e32 v3, vcc, v7, v3, vcc
	global_load_dwordx2 v[8:9], v[2:3], off glc
	s_waitcnt vmcnt(0)
	global_atomic_cmpswap_x2 v[8:9], v0, v[8:11], s[8:9] offset:24 glc
	s_waitcnt vmcnt(0)
	buffer_invl2
	buffer_wbinvl1_vol
	v_cmp_ne_u64_e32 vcc, v[8:9], v[10:11]
	s_and_saveexec_b64 s[10:11], vcc
	s_cbranch_execz .LBB7_388
; %bb.385:
	s_mov_b64 s[12:13], 0
.LBB7_386:                              ; =>This Inner Loop Header: Depth=1
	s_sleep 1
	global_load_dwordx2 v[2:3], v0, s[8:9] offset:40
	global_load_dwordx2 v[6:7], v0, s[8:9]
	v_pk_mov_b32 v[10:11], v[8:9], v[8:9] op_sel:[0,1]
	s_waitcnt vmcnt(1)
	v_and_b32_e32 v2, v2, v10
	v_and_b32_e32 v1, v3, v11
	s_waitcnt vmcnt(0)
	v_mad_u64_u32 v[2:3], s[14:15], v2, 24, v[6:7]
	v_mov_b32_e32 v6, v3
	v_mad_u64_u32 v[6:7], s[14:15], v1, 24, v[6:7]
	v_mov_b32_e32 v3, v6
	global_load_dwordx2 v[8:9], v[2:3], off glc
	s_waitcnt vmcnt(0)
	global_atomic_cmpswap_x2 v[8:9], v0, v[8:11], s[8:9] offset:24 glc
	s_waitcnt vmcnt(0)
	buffer_invl2
	buffer_wbinvl1_vol
	v_cmp_eq_u64_e32 vcc, v[8:9], v[10:11]
	s_or_b64 s[12:13], vcc, s[12:13]
	s_andn2_b64 exec, exec, s[12:13]
	s_cbranch_execnz .LBB7_386
; %bb.387:
	s_or_b64 exec, exec, s[12:13]
.LBB7_388:
	s_or_b64 exec, exec, s[10:11]
.LBB7_389:
	s_or_b64 exec, exec, s[6:7]
	v_mov_b32_e32 v6, 0
	global_load_dwordx2 v[10:11], v6, s[8:9] offset:40
	global_load_dwordx4 v[0:3], v6, s[8:9]
	v_readfirstlane_b32 s6, v8
	v_readfirstlane_b32 s7, v9
	s_mov_b64 s[10:11], exec
	s_waitcnt vmcnt(1)
	v_readfirstlane_b32 s12, v10
	v_readfirstlane_b32 s13, v11
	s_and_b64 s[12:13], s[6:7], s[12:13]
	s_mul_i32 s14, s13, 24
	s_mul_hi_u32 s15, s12, 24
	s_mul_i32 s16, s12, 24
	s_add_i32 s14, s15, s14
	v_mov_b32_e32 v7, s14
	s_waitcnt vmcnt(0)
	v_add_co_u32_e32 v8, vcc, s16, v0
	v_addc_co_u32_e32 v9, vcc, v1, v7, vcc
	s_and_saveexec_b64 s[14:15], s[4:5]
	s_cbranch_execz .LBB7_391
; %bb.390:
	v_pk_mov_b32 v[10:11], s[10:11], s[10:11] op_sel:[0,1]
	v_mov_b32_e32 v12, 2
	v_mov_b32_e32 v13, 1
	global_store_dwordx4 v[8:9], v[10:13], off offset:8
.LBB7_391:
	s_or_b64 exec, exec, s[14:15]
	s_lshl_b64 s[10:11], s[12:13], 12
	v_mov_b32_e32 v7, s11
	v_add_co_u32_e32 v2, vcc, s10, v2
	v_addc_co_u32_e32 v3, vcc, v3, v7, vcc
	s_movk_i32 s10, 0xff1f
	s_mov_b32 s12, 0
	v_and_or_b32 v4, v4, s10, 32
	v_add_co_u32_e32 v10, vcc, v2, v32
	v_mov_b32_e32 v7, v6
	v_readfirstlane_b32 s10, v2
	v_readfirstlane_b32 s11, v3
	s_mov_b32 s13, s12
	v_addc_co_u32_e32 v11, vcc, 0, v3, vcc
	s_mov_b32 s14, s12
	s_mov_b32 s15, s12
	s_nop 0
	global_store_dwordx4 v32, v[4:7], s[10:11]
	v_pk_mov_b32 v[2:3], s[12:13], s[12:13] op_sel:[0,1]
	v_pk_mov_b32 v[4:5], s[14:15], s[14:15] op_sel:[0,1]
	global_store_dwordx4 v32, v[2:5], s[10:11] offset:16
	global_store_dwordx4 v32, v[2:5], s[10:11] offset:32
	;; [unrolled: 1-line block ×3, first 2 shown]
	s_and_saveexec_b64 s[10:11], s[4:5]
	s_cbranch_execz .LBB7_399
; %bb.392:
	v_mov_b32_e32 v6, 0
	global_load_dwordx2 v[14:15], v6, s[8:9] offset:32 glc
	global_load_dwordx2 v[2:3], v6, s[8:9] offset:40
	v_mov_b32_e32 v12, s6
	v_mov_b32_e32 v13, s7
	s_waitcnt vmcnt(0)
	v_readfirstlane_b32 s12, v2
	v_readfirstlane_b32 s13, v3
	s_and_b64 s[12:13], s[12:13], s[6:7]
	s_mul_i32 s13, s13, 24
	s_mul_hi_u32 s14, s12, 24
	s_mul_i32 s12, s12, 24
	s_add_i32 s13, s14, s13
	v_mov_b32_e32 v2, s13
	v_add_co_u32_e32 v4, vcc, s12, v0
	v_addc_co_u32_e32 v5, vcc, v1, v2, vcc
	global_store_dwordx2 v[4:5], v[14:15], off
	buffer_wbl2
	s_waitcnt vmcnt(0)
	global_atomic_cmpswap_x2 v[2:3], v6, v[12:15], s[8:9] offset:32 glc
	s_waitcnt vmcnt(0)
	v_cmp_ne_u64_e32 vcc, v[2:3], v[14:15]
	s_and_saveexec_b64 s[12:13], vcc
	s_cbranch_execz .LBB7_395
; %bb.393:
	s_mov_b64 s[14:15], 0
.LBB7_394:                              ; =>This Inner Loop Header: Depth=1
	s_sleep 1
	global_store_dwordx2 v[4:5], v[2:3], off
	v_mov_b32_e32 v0, s6
	v_mov_b32_e32 v1, s7
	buffer_wbl2
	s_waitcnt vmcnt(0)
	global_atomic_cmpswap_x2 v[0:1], v6, v[0:3], s[8:9] offset:32 glc
	s_waitcnt vmcnt(0)
	v_cmp_eq_u64_e32 vcc, v[0:1], v[2:3]
	s_or_b64 s[14:15], vcc, s[14:15]
	v_pk_mov_b32 v[2:3], v[0:1], v[0:1] op_sel:[0,1]
	s_andn2_b64 exec, exec, s[14:15]
	s_cbranch_execnz .LBB7_394
.LBB7_395:
	s_or_b64 exec, exec, s[12:13]
	v_mov_b32_e32 v3, 0
	global_load_dwordx2 v[0:1], v3, s[8:9] offset:16
	s_mov_b64 s[12:13], exec
	v_mbcnt_lo_u32_b32 v2, s12, 0
	v_mbcnt_hi_u32_b32 v2, s13, v2
	v_cmp_eq_u32_e32 vcc, 0, v2
	s_and_saveexec_b64 s[14:15], vcc
	s_cbranch_execz .LBB7_397
; %bb.396:
	s_bcnt1_i32_b64 s12, s[12:13]
	v_mov_b32_e32 v2, s12
	buffer_wbl2
	s_waitcnt vmcnt(0)
	global_atomic_add_x2 v[0:1], v[2:3], off offset:8
.LBB7_397:
	s_or_b64 exec, exec, s[14:15]
	s_waitcnt vmcnt(0)
	global_load_dwordx2 v[2:3], v[0:1], off offset:16
	s_waitcnt vmcnt(0)
	v_cmp_eq_u64_e32 vcc, 0, v[2:3]
	s_cbranch_vccnz .LBB7_399
; %bb.398:
	global_load_dword v0, v[0:1], off offset:24
	v_mov_b32_e32 v1, 0
	buffer_wbl2
	s_waitcnt vmcnt(0)
	global_store_dwordx2 v[2:3], v[0:1], off
	v_and_b32_e32 v0, 0xffffff, v0
	v_readfirstlane_b32 m0, v0
	s_sendmsg sendmsg(MSG_INTERRUPT)
.LBB7_399:
	s_or_b64 exec, exec, s[10:11]
	s_branch .LBB7_401
.LBB7_400:
	s_branch .LBB7_405
.LBB7_401:                              ; =>This Inner Loop Header: Depth=1
	v_mov_b32_e32 v0, 1
	s_and_saveexec_b64 s[10:11], s[4:5]
	s_cbranch_execz .LBB7_403
; %bb.402:                              ;   in Loop: Header=BB7_401 Depth=1
	global_load_dword v0, v[8:9], off offset:20 glc
	s_waitcnt vmcnt(0)
	buffer_invl2
	buffer_wbinvl1_vol
	v_and_b32_e32 v0, 1, v0
.LBB7_403:                              ;   in Loop: Header=BB7_401 Depth=1
	s_or_b64 exec, exec, s[10:11]
	v_readfirstlane_b32 s10, v0
	s_cmp_eq_u32 s10, 0
	s_cbranch_scc1 .LBB7_400
; %bb.404:                              ;   in Loop: Header=BB7_401 Depth=1
	s_sleep 1
	s_cbranch_execnz .LBB7_401
.LBB7_405:
	global_load_dwordx2 v[0:1], v[10:11], off
	s_and_saveexec_b64 s[10:11], s[4:5]
	s_cbranch_execz .LBB7_408
; %bb.406:
	v_mov_b32_e32 v8, 0
	global_load_dwordx2 v[6:7], v8, s[8:9] offset:40
	global_load_dwordx2 v[10:11], v8, s[8:9] offset:24 glc
	global_load_dwordx2 v[12:13], v8, s[8:9]
	v_mov_b32_e32 v3, s7
	s_mov_b64 s[4:5], 0
	s_waitcnt vmcnt(2)
	v_add_co_u32_e32 v5, vcc, 1, v6
	v_addc_co_u32_e32 v9, vcc, 0, v7, vcc
	v_add_co_u32_e32 v2, vcc, s6, v5
	v_addc_co_u32_e32 v3, vcc, v9, v3, vcc
	v_cmp_eq_u64_e32 vcc, 0, v[2:3]
	v_cndmask_b32_e32 v3, v3, v9, vcc
	v_cndmask_b32_e32 v2, v2, v5, vcc
	v_and_b32_e32 v5, v3, v7
	v_and_b32_e32 v6, v2, v6
	v_mul_lo_u32 v5, v5, 24
	v_mul_hi_u32 v7, v6, 24
	v_mul_lo_u32 v6, v6, 24
	v_add_u32_e32 v5, v7, v5
	s_waitcnt vmcnt(0)
	v_add_co_u32_e32 v6, vcc, v12, v6
	v_addc_co_u32_e32 v7, vcc, v13, v5, vcc
	v_mov_b32_e32 v4, v10
	global_store_dwordx2 v[6:7], v[10:11], off
	v_mov_b32_e32 v5, v11
	buffer_wbl2
	s_waitcnt vmcnt(0)
	global_atomic_cmpswap_x2 v[4:5], v8, v[2:5], s[8:9] offset:24 glc
	s_waitcnt vmcnt(0)
	v_cmp_ne_u64_e32 vcc, v[4:5], v[10:11]
	s_and_b64 exec, exec, vcc
	s_cbranch_execz .LBB7_408
.LBB7_407:                              ; =>This Inner Loop Header: Depth=1
	s_sleep 1
	global_store_dwordx2 v[6:7], v[4:5], off
	buffer_wbl2
	s_waitcnt vmcnt(0)
	global_atomic_cmpswap_x2 v[10:11], v8, v[2:5], s[8:9] offset:24 glc
	s_waitcnt vmcnt(0)
	v_cmp_eq_u64_e32 vcc, v[10:11], v[4:5]
	s_or_b64 s[4:5], vcc, s[4:5]
	v_pk_mov_b32 v[4:5], v[10:11], v[10:11] op_sel:[0,1]
	s_andn2_b64 exec, exec, s[4:5]
	s_cbranch_execnz .LBB7_407
.LBB7_408:
	s_or_b64 exec, exec, s[10:11]
	v_readlane_b32 s4, v70, 10
	v_readlane_b32 s58, v70, 8
	;; [unrolled: 1-line block ×4, first 2 shown]
.LBB7_409:
	s_getpc_b64 s[10:11]
	s_add_u32 s10, s10, .str.18@rel32@lo+4
	s_addc_u32 s11, s11, .str.18@rel32@hi+12
	s_cmp_lg_u64 s[10:11], 0
	s_mov_b64 s[6:7], -1
	s_cbranch_scc0 .LBB7_503
; %bb.410:
	s_waitcnt vmcnt(0)
	v_and_b32_e32 v6, -3, v0
	v_mov_b32_e32 v7, v1
	s_mov_b64 s[12:13], 56
	v_mov_b32_e32 v27, 0
	v_mov_b32_e32 v4, 2
	;; [unrolled: 1-line block ×3, first 2 shown]
	s_branch .LBB7_412
.LBB7_411:                              ;   in Loop: Header=BB7_412 Depth=1
	s_or_b64 exec, exec, s[18:19]
	s_sub_u32 s12, s12, s14
	s_subb_u32 s13, s13, s15
	s_add_u32 s10, s10, s14
	s_addc_u32 s11, s11, s15
	s_cmp_lg_u64 s[12:13], 0
	s_cbranch_scc0 .LBB7_502
.LBB7_412:                              ; =>This Loop Header: Depth=1
                                        ;     Child Loop BB7_415 Depth 2
                                        ;     Child Loop BB7_423 Depth 2
	;; [unrolled: 1-line block ×11, first 2 shown]
	v_cmp_lt_u64_e64 s[6:7], s[12:13], 56
	s_and_b64 s[6:7], s[6:7], exec
	v_cmp_gt_u64_e64 s[6:7], s[12:13], 7
	s_cselect_b32 s15, s13, 0
	s_cselect_b32 s14, s12, 56
	s_and_b64 vcc, exec, s[6:7]
	s_cbranch_vccnz .LBB7_417
; %bb.413:                              ;   in Loop: Header=BB7_412 Depth=1
	s_mov_b64 s[6:7], 0
	s_cmp_eq_u64 s[12:13], 0
	s_waitcnt vmcnt(0)
	v_pk_mov_b32 v[8:9], 0, 0
	s_cbranch_scc1 .LBB7_416
; %bb.414:                              ;   in Loop: Header=BB7_412 Depth=1
	s_lshl_b64 s[16:17], s[14:15], 3
	s_mov_b64 s[18:19], 0
	v_pk_mov_b32 v[8:9], 0, 0
	s_mov_b64 s[20:21], s[10:11]
.LBB7_415:                              ;   Parent Loop BB7_412 Depth=1
                                        ; =>  This Inner Loop Header: Depth=2
	global_load_ubyte v2, v27, s[20:21]
	s_waitcnt vmcnt(0)
	v_and_b32_e32 v26, 0xffff, v2
	v_lshlrev_b64 v[2:3], s18, v[26:27]
	s_add_u32 s18, s18, 8
	s_addc_u32 s19, s19, 0
	s_add_u32 s20, s20, 1
	s_addc_u32 s21, s21, 0
	v_or_b32_e32 v8, v2, v8
	s_cmp_lg_u32 s16, s18
	v_or_b32_e32 v9, v3, v9
	s_cbranch_scc1 .LBB7_415
.LBB7_416:                              ;   in Loop: Header=BB7_412 Depth=1
	s_mov_b32 s20, 0
	s_branch .LBB7_418
.LBB7_417:                              ;   in Loop: Header=BB7_412 Depth=1
	s_mov_b64 s[6:7], -1
                                        ; implicit-def: $sgpr20
.LBB7_418:                              ;   in Loop: Header=BB7_412 Depth=1
	s_andn2_b64 vcc, exec, s[6:7]
	s_mov_b64 s[6:7], s[10:11]
	s_cbranch_vccnz .LBB7_420
; %bb.419:                              ;   in Loop: Header=BB7_412 Depth=1
	global_load_dwordx2 v[8:9], v27, s[10:11]
	s_add_i32 s20, s14, -8
	s_add_u32 s6, s10, 8
	s_addc_u32 s7, s11, 0
.LBB7_420:                              ;   in Loop: Header=BB7_412 Depth=1
	s_cmp_gt_u32 s20, 7
	s_cbranch_scc1 .LBB7_424
; %bb.421:                              ;   in Loop: Header=BB7_412 Depth=1
	s_cmp_eq_u32 s20, 0
	s_cbranch_scc1 .LBB7_425
; %bb.422:                              ;   in Loop: Header=BB7_412 Depth=1
	s_mov_b64 s[16:17], 0
	v_pk_mov_b32 v[10:11], 0, 0
	s_mov_b64 s[18:19], 0
.LBB7_423:                              ;   Parent Loop BB7_412 Depth=1
                                        ; =>  This Inner Loop Header: Depth=2
	s_add_u32 s22, s6, s18
	s_addc_u32 s23, s7, s19
	global_load_ubyte v2, v27, s[22:23]
	s_add_u32 s18, s18, 1
	s_addc_u32 s19, s19, 0
	s_waitcnt vmcnt(0)
	v_and_b32_e32 v26, 0xffff, v2
	v_lshlrev_b64 v[2:3], s16, v[26:27]
	s_add_u32 s16, s16, 8
	s_addc_u32 s17, s17, 0
	v_or_b32_e32 v10, v2, v10
	s_cmp_lg_u32 s20, s18
	v_or_b32_e32 v11, v3, v11
	s_cbranch_scc1 .LBB7_423
	s_branch .LBB7_426
.LBB7_424:                              ;   in Loop: Header=BB7_412 Depth=1
	s_mov_b64 s[16:17], -1
                                        ; implicit-def: $vgpr10_vgpr11
                                        ; implicit-def: $sgpr21
	s_branch .LBB7_427
.LBB7_425:                              ;   in Loop: Header=BB7_412 Depth=1
	v_pk_mov_b32 v[10:11], 0, 0
.LBB7_426:                              ;   in Loop: Header=BB7_412 Depth=1
	s_mov_b64 s[16:17], 0
	s_mov_b32 s21, 0
.LBB7_427:                              ;   in Loop: Header=BB7_412 Depth=1
	s_andn2_b64 vcc, exec, s[16:17]
	s_cbranch_vccnz .LBB7_429
; %bb.428:                              ;   in Loop: Header=BB7_412 Depth=1
	global_load_dwordx2 v[10:11], v27, s[6:7]
	s_add_i32 s21, s20, -8
	s_add_u32 s6, s6, 8
	s_addc_u32 s7, s7, 0
.LBB7_429:                              ;   in Loop: Header=BB7_412 Depth=1
	s_cmp_gt_u32 s21, 7
	s_cbranch_scc1 .LBB7_433
; %bb.430:                              ;   in Loop: Header=BB7_412 Depth=1
	s_cmp_eq_u32 s21, 0
	s_cbranch_scc1 .LBB7_434
; %bb.431:                              ;   in Loop: Header=BB7_412 Depth=1
	s_mov_b64 s[16:17], 0
	v_pk_mov_b32 v[12:13], 0, 0
	s_mov_b64 s[18:19], 0
.LBB7_432:                              ;   Parent Loop BB7_412 Depth=1
                                        ; =>  This Inner Loop Header: Depth=2
	s_add_u32 s22, s6, s18
	s_addc_u32 s23, s7, s19
	global_load_ubyte v2, v27, s[22:23]
	s_add_u32 s18, s18, 1
	s_addc_u32 s19, s19, 0
	s_waitcnt vmcnt(0)
	v_and_b32_e32 v26, 0xffff, v2
	v_lshlrev_b64 v[2:3], s16, v[26:27]
	s_add_u32 s16, s16, 8
	s_addc_u32 s17, s17, 0
	v_or_b32_e32 v12, v2, v12
	s_cmp_lg_u32 s21, s18
	v_or_b32_e32 v13, v3, v13
	s_cbranch_scc1 .LBB7_432
	s_branch .LBB7_435
.LBB7_433:                              ;   in Loop: Header=BB7_412 Depth=1
	s_mov_b64 s[16:17], -1
                                        ; implicit-def: $sgpr20
	s_branch .LBB7_436
.LBB7_434:                              ;   in Loop: Header=BB7_412 Depth=1
	v_pk_mov_b32 v[12:13], 0, 0
.LBB7_435:                              ;   in Loop: Header=BB7_412 Depth=1
	s_mov_b64 s[16:17], 0
	s_mov_b32 s20, 0
.LBB7_436:                              ;   in Loop: Header=BB7_412 Depth=1
	s_andn2_b64 vcc, exec, s[16:17]
	s_cbranch_vccnz .LBB7_438
; %bb.437:                              ;   in Loop: Header=BB7_412 Depth=1
	global_load_dwordx2 v[12:13], v27, s[6:7]
	s_add_i32 s20, s21, -8
	s_add_u32 s6, s6, 8
	s_addc_u32 s7, s7, 0
.LBB7_438:                              ;   in Loop: Header=BB7_412 Depth=1
	s_cmp_gt_u32 s20, 7
	s_cbranch_scc1 .LBB7_442
; %bb.439:                              ;   in Loop: Header=BB7_412 Depth=1
	s_cmp_eq_u32 s20, 0
	s_cbranch_scc1 .LBB7_443
; %bb.440:                              ;   in Loop: Header=BB7_412 Depth=1
	s_mov_b64 s[16:17], 0
	v_pk_mov_b32 v[14:15], 0, 0
	s_mov_b64 s[18:19], 0
.LBB7_441:                              ;   Parent Loop BB7_412 Depth=1
                                        ; =>  This Inner Loop Header: Depth=2
	s_add_u32 s22, s6, s18
	s_addc_u32 s23, s7, s19
	global_load_ubyte v2, v27, s[22:23]
	s_add_u32 s18, s18, 1
	s_addc_u32 s19, s19, 0
	s_waitcnt vmcnt(0)
	v_and_b32_e32 v26, 0xffff, v2
	v_lshlrev_b64 v[2:3], s16, v[26:27]
	s_add_u32 s16, s16, 8
	s_addc_u32 s17, s17, 0
	v_or_b32_e32 v14, v2, v14
	s_cmp_lg_u32 s20, s18
	v_or_b32_e32 v15, v3, v15
	s_cbranch_scc1 .LBB7_441
	s_branch .LBB7_444
.LBB7_442:                              ;   in Loop: Header=BB7_412 Depth=1
	s_mov_b64 s[16:17], -1
                                        ; implicit-def: $vgpr14_vgpr15
                                        ; implicit-def: $sgpr21
	s_branch .LBB7_445
.LBB7_443:                              ;   in Loop: Header=BB7_412 Depth=1
	v_pk_mov_b32 v[14:15], 0, 0
.LBB7_444:                              ;   in Loop: Header=BB7_412 Depth=1
	s_mov_b64 s[16:17], 0
	s_mov_b32 s21, 0
.LBB7_445:                              ;   in Loop: Header=BB7_412 Depth=1
	s_andn2_b64 vcc, exec, s[16:17]
	s_cbranch_vccnz .LBB7_447
; %bb.446:                              ;   in Loop: Header=BB7_412 Depth=1
	global_load_dwordx2 v[14:15], v27, s[6:7]
	s_add_i32 s21, s20, -8
	s_add_u32 s6, s6, 8
	s_addc_u32 s7, s7, 0
.LBB7_447:                              ;   in Loop: Header=BB7_412 Depth=1
	s_cmp_gt_u32 s21, 7
	s_cbranch_scc1 .LBB7_451
; %bb.448:                              ;   in Loop: Header=BB7_412 Depth=1
	s_cmp_eq_u32 s21, 0
	s_cbranch_scc1 .LBB7_452
; %bb.449:                              ;   in Loop: Header=BB7_412 Depth=1
	s_mov_b64 s[16:17], 0
	v_pk_mov_b32 v[16:17], 0, 0
	s_mov_b64 s[18:19], 0
.LBB7_450:                              ;   Parent Loop BB7_412 Depth=1
                                        ; =>  This Inner Loop Header: Depth=2
	s_add_u32 s22, s6, s18
	s_addc_u32 s23, s7, s19
	global_load_ubyte v2, v27, s[22:23]
	s_add_u32 s18, s18, 1
	s_addc_u32 s19, s19, 0
	s_waitcnt vmcnt(0)
	v_and_b32_e32 v26, 0xffff, v2
	v_lshlrev_b64 v[2:3], s16, v[26:27]
	s_add_u32 s16, s16, 8
	s_addc_u32 s17, s17, 0
	v_or_b32_e32 v16, v2, v16
	s_cmp_lg_u32 s21, s18
	v_or_b32_e32 v17, v3, v17
	s_cbranch_scc1 .LBB7_450
	s_branch .LBB7_453
.LBB7_451:                              ;   in Loop: Header=BB7_412 Depth=1
	s_mov_b64 s[16:17], -1
                                        ; implicit-def: $sgpr20
	s_branch .LBB7_454
.LBB7_452:                              ;   in Loop: Header=BB7_412 Depth=1
	v_pk_mov_b32 v[16:17], 0, 0
.LBB7_453:                              ;   in Loop: Header=BB7_412 Depth=1
	s_mov_b64 s[16:17], 0
	s_mov_b32 s20, 0
.LBB7_454:                              ;   in Loop: Header=BB7_412 Depth=1
	s_andn2_b64 vcc, exec, s[16:17]
	s_cbranch_vccnz .LBB7_456
; %bb.455:                              ;   in Loop: Header=BB7_412 Depth=1
	global_load_dwordx2 v[16:17], v27, s[6:7]
	s_add_i32 s20, s21, -8
	s_add_u32 s6, s6, 8
	s_addc_u32 s7, s7, 0
.LBB7_456:                              ;   in Loop: Header=BB7_412 Depth=1
	s_cmp_gt_u32 s20, 7
	s_cbranch_scc1 .LBB7_460
; %bb.457:                              ;   in Loop: Header=BB7_412 Depth=1
	s_cmp_eq_u32 s20, 0
	s_cbranch_scc1 .LBB7_461
; %bb.458:                              ;   in Loop: Header=BB7_412 Depth=1
	s_mov_b64 s[16:17], 0
	v_pk_mov_b32 v[18:19], 0, 0
	s_mov_b64 s[18:19], 0
.LBB7_459:                              ;   Parent Loop BB7_412 Depth=1
                                        ; =>  This Inner Loop Header: Depth=2
	s_add_u32 s22, s6, s18
	s_addc_u32 s23, s7, s19
	global_load_ubyte v2, v27, s[22:23]
	s_add_u32 s18, s18, 1
	s_addc_u32 s19, s19, 0
	s_waitcnt vmcnt(0)
	v_and_b32_e32 v26, 0xffff, v2
	v_lshlrev_b64 v[2:3], s16, v[26:27]
	s_add_u32 s16, s16, 8
	s_addc_u32 s17, s17, 0
	v_or_b32_e32 v18, v2, v18
	s_cmp_lg_u32 s20, s18
	v_or_b32_e32 v19, v3, v19
	s_cbranch_scc1 .LBB7_459
	s_branch .LBB7_462
.LBB7_460:                              ;   in Loop: Header=BB7_412 Depth=1
	s_mov_b64 s[16:17], -1
                                        ; implicit-def: $vgpr18_vgpr19
                                        ; implicit-def: $sgpr21
	s_branch .LBB7_463
.LBB7_461:                              ;   in Loop: Header=BB7_412 Depth=1
	v_pk_mov_b32 v[18:19], 0, 0
.LBB7_462:                              ;   in Loop: Header=BB7_412 Depth=1
	s_mov_b64 s[16:17], 0
	s_mov_b32 s21, 0
.LBB7_463:                              ;   in Loop: Header=BB7_412 Depth=1
	s_andn2_b64 vcc, exec, s[16:17]
	s_cbranch_vccnz .LBB7_465
; %bb.464:                              ;   in Loop: Header=BB7_412 Depth=1
	global_load_dwordx2 v[18:19], v27, s[6:7]
	s_add_i32 s21, s20, -8
	s_add_u32 s6, s6, 8
	s_addc_u32 s7, s7, 0
.LBB7_465:                              ;   in Loop: Header=BB7_412 Depth=1
	s_cmp_gt_u32 s21, 7
	s_cbranch_scc1 .LBB7_469
; %bb.466:                              ;   in Loop: Header=BB7_412 Depth=1
	s_cmp_eq_u32 s21, 0
	s_cbranch_scc1 .LBB7_470
; %bb.467:                              ;   in Loop: Header=BB7_412 Depth=1
	s_mov_b64 s[16:17], 0
	v_pk_mov_b32 v[20:21], 0, 0
	s_mov_b64 s[18:19], s[6:7]
.LBB7_468:                              ;   Parent Loop BB7_412 Depth=1
                                        ; =>  This Inner Loop Header: Depth=2
	global_load_ubyte v2, v27, s[18:19]
	s_add_i32 s21, s21, -1
	s_waitcnt vmcnt(0)
	v_and_b32_e32 v26, 0xffff, v2
	v_lshlrev_b64 v[2:3], s16, v[26:27]
	s_add_u32 s16, s16, 8
	s_addc_u32 s17, s17, 0
	s_add_u32 s18, s18, 1
	s_addc_u32 s19, s19, 0
	v_or_b32_e32 v20, v2, v20
	s_cmp_lg_u32 s21, 0
	v_or_b32_e32 v21, v3, v21
	s_cbranch_scc1 .LBB7_468
	s_branch .LBB7_471
.LBB7_469:                              ;   in Loop: Header=BB7_412 Depth=1
	s_mov_b64 s[16:17], -1
	s_branch .LBB7_472
.LBB7_470:                              ;   in Loop: Header=BB7_412 Depth=1
	v_pk_mov_b32 v[20:21], 0, 0
.LBB7_471:                              ;   in Loop: Header=BB7_412 Depth=1
	s_mov_b64 s[16:17], 0
.LBB7_472:                              ;   in Loop: Header=BB7_412 Depth=1
	s_andn2_b64 vcc, exec, s[16:17]
	s_cbranch_vccnz .LBB7_474
; %bb.473:                              ;   in Loop: Header=BB7_412 Depth=1
	global_load_dwordx2 v[20:21], v27, s[6:7]
.LBB7_474:                              ;   in Loop: Header=BB7_412 Depth=1
	v_readfirstlane_b32 s6, v33
	v_cmp_eq_u32_e64 s[6:7], s6, v33
	v_pk_mov_b32 v[2:3], 0, 0
	s_and_saveexec_b64 s[16:17], s[6:7]
	s_cbranch_execz .LBB7_480
; %bb.475:                              ;   in Loop: Header=BB7_412 Depth=1
	global_load_dwordx2 v[24:25], v27, s[8:9] offset:24 glc
	s_waitcnt vmcnt(0)
	buffer_invl2
	buffer_wbinvl1_vol
	global_load_dwordx2 v[2:3], v27, s[8:9] offset:40
	global_load_dwordx2 v[22:23], v27, s[8:9]
	s_waitcnt vmcnt(1)
	v_and_b32_e32 v2, v2, v24
	v_and_b32_e32 v3, v3, v25
	v_mul_lo_u32 v3, v3, 24
	v_mul_hi_u32 v26, v2, 24
	v_mul_lo_u32 v2, v2, 24
	v_add_u32_e32 v3, v26, v3
	s_waitcnt vmcnt(0)
	v_add_co_u32_e32 v2, vcc, v22, v2
	v_addc_co_u32_e32 v3, vcc, v23, v3, vcc
	global_load_dwordx2 v[22:23], v[2:3], off glc
	s_waitcnt vmcnt(0)
	global_atomic_cmpswap_x2 v[2:3], v27, v[22:25], s[8:9] offset:24 glc
	s_waitcnt vmcnt(0)
	buffer_invl2
	buffer_wbinvl1_vol
	v_cmp_ne_u64_e32 vcc, v[2:3], v[24:25]
	s_and_saveexec_b64 s[18:19], vcc
	s_cbranch_execz .LBB7_479
; %bb.476:                              ;   in Loop: Header=BB7_412 Depth=1
	s_mov_b64 s[20:21], 0
.LBB7_477:                              ;   Parent Loop BB7_412 Depth=1
                                        ; =>  This Inner Loop Header: Depth=2
	s_sleep 1
	global_load_dwordx2 v[22:23], v27, s[8:9] offset:40
	global_load_dwordx2 v[28:29], v27, s[8:9]
	v_pk_mov_b32 v[24:25], v[2:3], v[2:3] op_sel:[0,1]
	s_waitcnt vmcnt(1)
	v_and_b32_e32 v2, v22, v24
	s_waitcnt vmcnt(0)
	v_mad_u64_u32 v[2:3], s[22:23], v2, 24, v[28:29]
	v_and_b32_e32 v23, v23, v25
	v_mov_b32_e32 v22, v3
	v_mad_u64_u32 v[22:23], s[22:23], v23, 24, v[22:23]
	v_mov_b32_e32 v3, v22
	global_load_dwordx2 v[22:23], v[2:3], off glc
	s_waitcnt vmcnt(0)
	global_atomic_cmpswap_x2 v[2:3], v27, v[22:25], s[8:9] offset:24 glc
	s_waitcnt vmcnt(0)
	buffer_invl2
	buffer_wbinvl1_vol
	v_cmp_eq_u64_e32 vcc, v[2:3], v[24:25]
	s_or_b64 s[20:21], vcc, s[20:21]
	s_andn2_b64 exec, exec, s[20:21]
	s_cbranch_execnz .LBB7_477
; %bb.478:                              ;   in Loop: Header=BB7_412 Depth=1
	s_or_b64 exec, exec, s[20:21]
.LBB7_479:                              ;   in Loop: Header=BB7_412 Depth=1
	s_or_b64 exec, exec, s[18:19]
.LBB7_480:                              ;   in Loop: Header=BB7_412 Depth=1
	s_or_b64 exec, exec, s[16:17]
	global_load_dwordx2 v[28:29], v27, s[8:9] offset:40
	global_load_dwordx4 v[22:25], v27, s[8:9]
	v_readfirstlane_b32 s16, v2
	v_readfirstlane_b32 s17, v3
	s_mov_b64 s[18:19], exec
	s_waitcnt vmcnt(1)
	v_readfirstlane_b32 s20, v28
	v_readfirstlane_b32 s21, v29
	s_and_b64 s[20:21], s[16:17], s[20:21]
	s_mul_i32 s22, s21, 24
	s_mul_hi_u32 s23, s20, 24
	s_mul_i32 s26, s20, 24
	s_add_i32 s22, s23, s22
	v_mov_b32_e32 v2, s22
	s_waitcnt vmcnt(0)
	v_add_co_u32_e32 v28, vcc, s26, v22
	v_addc_co_u32_e32 v29, vcc, v23, v2, vcc
	s_and_saveexec_b64 s[22:23], s[6:7]
	s_cbranch_execz .LBB7_482
; %bb.481:                              ;   in Loop: Header=BB7_412 Depth=1
	v_pk_mov_b32 v[2:3], s[18:19], s[18:19] op_sel:[0,1]
	global_store_dwordx4 v[28:29], v[2:5], off offset:8
.LBB7_482:                              ;   in Loop: Header=BB7_412 Depth=1
	s_or_b64 exec, exec, s[22:23]
	s_lshl_b64 s[18:19], s[20:21], 12
	v_mov_b32_e32 v3, s19
	v_add_co_u32_e32 v2, vcc, s18, v24
	v_addc_co_u32_e32 v3, vcc, v25, v3, vcc
	v_or_b32_e32 v24, 2, v6
	v_cmp_gt_u64_e64 vcc, s[12:13], 56
	s_lshl_b32 s18, s14, 2
	v_cndmask_b32_e32 v6, v24, v6, vcc
	s_add_i32 s18, s18, 28
	s_and_b32 s18, s18, 0x1e0
	v_and_b32_e32 v6, 0xffffff1f, v6
	v_or_b32_e32 v6, s18, v6
	v_readfirstlane_b32 s18, v2
	v_readfirstlane_b32 s19, v3
	s_nop 4
	global_store_dwordx4 v32, v[6:9], s[18:19]
	global_store_dwordx4 v32, v[10:13], s[18:19] offset:16
	global_store_dwordx4 v32, v[14:17], s[18:19] offset:32
	;; [unrolled: 1-line block ×3, first 2 shown]
	s_and_saveexec_b64 s[18:19], s[6:7]
	s_cbranch_execz .LBB7_490
; %bb.483:                              ;   in Loop: Header=BB7_412 Depth=1
	global_load_dwordx2 v[14:15], v27, s[8:9] offset:32 glc
	global_load_dwordx2 v[6:7], v27, s[8:9] offset:40
	v_mov_b32_e32 v12, s16
	v_mov_b32_e32 v13, s17
	s_waitcnt vmcnt(0)
	v_readfirstlane_b32 s20, v6
	v_readfirstlane_b32 s21, v7
	s_and_b64 s[20:21], s[20:21], s[16:17]
	s_mul_i32 s21, s21, 24
	s_mul_hi_u32 s22, s20, 24
	s_mul_i32 s20, s20, 24
	s_add_i32 s21, s22, s21
	v_mov_b32_e32 v6, s21
	v_add_co_u32_e32 v10, vcc, s20, v22
	v_addc_co_u32_e32 v11, vcc, v23, v6, vcc
	global_store_dwordx2 v[10:11], v[14:15], off
	buffer_wbl2
	s_waitcnt vmcnt(0)
	global_atomic_cmpswap_x2 v[8:9], v27, v[12:15], s[8:9] offset:32 glc
	s_waitcnt vmcnt(0)
	v_cmp_ne_u64_e32 vcc, v[8:9], v[14:15]
	s_and_saveexec_b64 s[20:21], vcc
	s_cbranch_execz .LBB7_486
; %bb.484:                              ;   in Loop: Header=BB7_412 Depth=1
	s_mov_b64 s[22:23], 0
.LBB7_485:                              ;   Parent Loop BB7_412 Depth=1
                                        ; =>  This Inner Loop Header: Depth=2
	s_sleep 1
	global_store_dwordx2 v[10:11], v[8:9], off
	v_mov_b32_e32 v6, s16
	v_mov_b32_e32 v7, s17
	buffer_wbl2
	s_waitcnt vmcnt(0)
	global_atomic_cmpswap_x2 v[6:7], v27, v[6:9], s[8:9] offset:32 glc
	s_waitcnt vmcnt(0)
	v_cmp_eq_u64_e32 vcc, v[6:7], v[8:9]
	s_or_b64 s[22:23], vcc, s[22:23]
	v_pk_mov_b32 v[8:9], v[6:7], v[6:7] op_sel:[0,1]
	s_andn2_b64 exec, exec, s[22:23]
	s_cbranch_execnz .LBB7_485
.LBB7_486:                              ;   in Loop: Header=BB7_412 Depth=1
	s_or_b64 exec, exec, s[20:21]
	global_load_dwordx2 v[6:7], v27, s[8:9] offset:16
	s_mov_b64 s[22:23], exec
	v_mbcnt_lo_u32_b32 v8, s22, 0
	v_mbcnt_hi_u32_b32 v8, s23, v8
	v_cmp_eq_u32_e32 vcc, 0, v8
	s_and_saveexec_b64 s[20:21], vcc
	s_cbranch_execz .LBB7_488
; %bb.487:                              ;   in Loop: Header=BB7_412 Depth=1
	s_bcnt1_i32_b64 s22, s[22:23]
	v_mov_b32_e32 v26, s22
	buffer_wbl2
	s_waitcnt vmcnt(0)
	global_atomic_add_x2 v[6:7], v[26:27], off offset:8
.LBB7_488:                              ;   in Loop: Header=BB7_412 Depth=1
	s_or_b64 exec, exec, s[20:21]
	s_waitcnt vmcnt(0)
	global_load_dwordx2 v[8:9], v[6:7], off offset:16
	s_waitcnt vmcnt(0)
	v_cmp_eq_u64_e32 vcc, 0, v[8:9]
	s_cbranch_vccnz .LBB7_490
; %bb.489:                              ;   in Loop: Header=BB7_412 Depth=1
	global_load_dword v26, v[6:7], off offset:24
	s_waitcnt vmcnt(0)
	v_and_b32_e32 v6, 0xffffff, v26
	v_readfirstlane_b32 m0, v6
	buffer_wbl2
	global_store_dwordx2 v[8:9], v[26:27], off
	s_sendmsg sendmsg(MSG_INTERRUPT)
.LBB7_490:                              ;   in Loop: Header=BB7_412 Depth=1
	s_or_b64 exec, exec, s[18:19]
	v_add_co_u32_e32 v2, vcc, v2, v32
	v_addc_co_u32_e32 v3, vcc, 0, v3, vcc
	s_branch .LBB7_492
.LBB7_491:                              ;   in Loop: Header=BB7_412 Depth=1
	s_branch .LBB7_496
.LBB7_492:                              ;   Parent Loop BB7_412 Depth=1
                                        ; =>  This Inner Loop Header: Depth=2
	v_mov_b32_e32 v6, 1
	s_and_saveexec_b64 s[18:19], s[6:7]
	s_cbranch_execz .LBB7_494
; %bb.493:                              ;   in Loop: Header=BB7_492 Depth=2
	global_load_dword v6, v[28:29], off offset:20 glc
	s_waitcnt vmcnt(0)
	buffer_invl2
	buffer_wbinvl1_vol
	v_and_b32_e32 v6, 1, v6
.LBB7_494:                              ;   in Loop: Header=BB7_492 Depth=2
	s_or_b64 exec, exec, s[18:19]
	v_readfirstlane_b32 s18, v6
	s_cmp_eq_u32 s18, 0
	s_cbranch_scc1 .LBB7_491
; %bb.495:                              ;   in Loop: Header=BB7_492 Depth=2
	s_sleep 1
	s_cbranch_execnz .LBB7_492
.LBB7_496:                              ;   in Loop: Header=BB7_412 Depth=1
	global_load_dwordx4 v[6:9], v[2:3], off
	s_and_saveexec_b64 s[18:19], s[6:7]
	s_cbranch_execz .LBB7_411
; %bb.497:                              ;   in Loop: Header=BB7_412 Depth=1
	global_load_dwordx2 v[2:3], v27, s[8:9] offset:40
	global_load_dwordx2 v[12:13], v27, s[8:9] offset:24 glc
	global_load_dwordx2 v[14:15], v27, s[8:9]
	s_waitcnt vmcnt(3)
	v_mov_b32_e32 v9, s17
	s_waitcnt vmcnt(2)
	v_add_co_u32_e32 v11, vcc, 1, v2
	v_addc_co_u32_e32 v16, vcc, 0, v3, vcc
	v_add_co_u32_e32 v8, vcc, s16, v11
	v_addc_co_u32_e32 v9, vcc, v16, v9, vcc
	v_cmp_eq_u64_e32 vcc, 0, v[8:9]
	v_cndmask_b32_e32 v9, v9, v16, vcc
	v_cndmask_b32_e32 v8, v8, v11, vcc
	v_and_b32_e32 v3, v9, v3
	v_and_b32_e32 v2, v8, v2
	v_mul_lo_u32 v3, v3, 24
	v_mul_hi_u32 v11, v2, 24
	v_mul_lo_u32 v2, v2, 24
	v_add_u32_e32 v3, v11, v3
	s_waitcnt vmcnt(0)
	v_add_co_u32_e32 v2, vcc, v14, v2
	v_addc_co_u32_e32 v3, vcc, v15, v3, vcc
	v_mov_b32_e32 v10, v12
	global_store_dwordx2 v[2:3], v[12:13], off
	v_mov_b32_e32 v11, v13
	buffer_wbl2
	s_waitcnt vmcnt(0)
	global_atomic_cmpswap_x2 v[10:11], v27, v[8:11], s[8:9] offset:24 glc
	s_waitcnt vmcnt(0)
	v_cmp_ne_u64_e32 vcc, v[10:11], v[12:13]
	s_and_b64 exec, exec, vcc
	s_cbranch_execz .LBB7_411
; %bb.498:                              ;   in Loop: Header=BB7_412 Depth=1
	s_mov_b64 s[6:7], 0
.LBB7_499:                              ;   Parent Loop BB7_412 Depth=1
                                        ; =>  This Inner Loop Header: Depth=2
	s_sleep 1
	global_store_dwordx2 v[2:3], v[10:11], off
	buffer_wbl2
	s_waitcnt vmcnt(0)
	global_atomic_cmpswap_x2 v[12:13], v27, v[8:11], s[8:9] offset:24 glc
	s_waitcnt vmcnt(0)
	v_cmp_eq_u64_e32 vcc, v[12:13], v[10:11]
	s_or_b64 s[6:7], vcc, s[6:7]
	v_pk_mov_b32 v[10:11], v[12:13], v[12:13] op_sel:[0,1]
	s_andn2_b64 exec, exec, s[6:7]
	s_cbranch_execnz .LBB7_499
	s_branch .LBB7_411
.LBB7_500:
	s_or_b64 exec, exec, s[14:15]
.LBB7_501:
	s_or_b64 exec, exec, s[12:13]
	v_readlane_b32 s6, v70, 2
	v_readlane_b32 s7, v70, 3
	s_andn2_b64 s[6:7], s[6:7], exec
	s_and_b64 s[8:9], s[10:11], exec
	s_or_b64 s[6:7], s[6:7], s[8:9]
	v_writelane_b32 v70, s6, 2
	v_writelane_b32 v70, s7, 3
	v_readlane_b32 s8, v70, 12
	v_readlane_b32 s9, v70, 13
                                        ; implicit-def: $vgpr0_vgpr1
	s_branch .LBB7_59
.LBB7_502:
	s_mov_b64 s[6:7], 0
.LBB7_503:
	s_and_b64 vcc, exec, s[6:7]
	s_cbranch_vccz .LBB7_530
; %bb.504:
	v_readfirstlane_b32 s4, v33
	v_cmp_eq_u32_e64 s[4:5], s4, v33
	s_waitcnt vmcnt(0)
	v_pk_mov_b32 v[8:9], 0, 0
	s_and_saveexec_b64 s[6:7], s[4:5]
	s_cbranch_execz .LBB7_510
; %bb.505:
	v_mov_b32_e32 v2, 0
	global_load_dwordx2 v[6:7], v2, s[8:9] offset:24 glc
	s_waitcnt vmcnt(0)
	buffer_invl2
	buffer_wbinvl1_vol
	global_load_dwordx2 v[4:5], v2, s[8:9] offset:40
	global_load_dwordx2 v[8:9], v2, s[8:9]
	s_waitcnt vmcnt(1)
	v_and_b32_e32 v3, v4, v6
	v_and_b32_e32 v4, v5, v7
	v_mul_lo_u32 v4, v4, 24
	v_mul_hi_u32 v5, v3, 24
	v_mul_lo_u32 v3, v3, 24
	v_add_u32_e32 v5, v5, v4
	s_waitcnt vmcnt(0)
	v_add_co_u32_e32 v4, vcc, v8, v3
	v_addc_co_u32_e32 v5, vcc, v9, v5, vcc
	global_load_dwordx2 v[4:5], v[4:5], off glc
	s_waitcnt vmcnt(0)
	global_atomic_cmpswap_x2 v[8:9], v2, v[4:7], s[8:9] offset:24 glc
	s_waitcnt vmcnt(0)
	buffer_invl2
	buffer_wbinvl1_vol
	v_cmp_ne_u64_e32 vcc, v[8:9], v[6:7]
	s_and_saveexec_b64 s[10:11], vcc
	s_cbranch_execz .LBB7_509
; %bb.506:
	s_mov_b64 s[12:13], 0
.LBB7_507:                              ; =>This Inner Loop Header: Depth=1
	s_sleep 1
	global_load_dwordx2 v[4:5], v2, s[8:9] offset:40
	global_load_dwordx2 v[10:11], v2, s[8:9]
	v_pk_mov_b32 v[6:7], v[8:9], v[8:9] op_sel:[0,1]
	s_waitcnt vmcnt(1)
	v_and_b32_e32 v4, v4, v6
	v_and_b32_e32 v3, v5, v7
	s_waitcnt vmcnt(0)
	v_mad_u64_u32 v[4:5], s[14:15], v4, 24, v[10:11]
	v_mov_b32_e32 v8, v5
	v_mad_u64_u32 v[8:9], s[14:15], v3, 24, v[8:9]
	v_mov_b32_e32 v5, v8
	global_load_dwordx2 v[4:5], v[4:5], off glc
	s_waitcnt vmcnt(0)
	global_atomic_cmpswap_x2 v[8:9], v2, v[4:7], s[8:9] offset:24 glc
	s_waitcnt vmcnt(0)
	buffer_invl2
	buffer_wbinvl1_vol
	v_cmp_eq_u64_e32 vcc, v[8:9], v[6:7]
	s_or_b64 s[12:13], vcc, s[12:13]
	s_andn2_b64 exec, exec, s[12:13]
	s_cbranch_execnz .LBB7_507
; %bb.508:
	s_or_b64 exec, exec, s[12:13]
.LBB7_509:
	s_or_b64 exec, exec, s[10:11]
.LBB7_510:
	s_or_b64 exec, exec, s[6:7]
	v_mov_b32_e32 v2, 0
	global_load_dwordx2 v[10:11], v2, s[8:9] offset:40
	global_load_dwordx4 v[4:7], v2, s[8:9]
	v_readfirstlane_b32 s6, v8
	v_readfirstlane_b32 s7, v9
	s_mov_b64 s[10:11], exec
	s_waitcnt vmcnt(1)
	v_readfirstlane_b32 s12, v10
	v_readfirstlane_b32 s13, v11
	s_and_b64 s[12:13], s[6:7], s[12:13]
	s_mul_i32 s14, s13, 24
	s_mul_hi_u32 s15, s12, 24
	s_mul_i32 s16, s12, 24
	s_add_i32 s14, s15, s14
	v_mov_b32_e32 v3, s14
	s_waitcnt vmcnt(0)
	v_add_co_u32_e32 v8, vcc, s16, v4
	v_addc_co_u32_e32 v9, vcc, v5, v3, vcc
	s_and_saveexec_b64 s[14:15], s[4:5]
	s_cbranch_execz .LBB7_512
; %bb.511:
	v_pk_mov_b32 v[10:11], s[10:11], s[10:11] op_sel:[0,1]
	v_mov_b32_e32 v12, 2
	v_mov_b32_e32 v13, 1
	global_store_dwordx4 v[8:9], v[10:13], off offset:8
.LBB7_512:
	s_or_b64 exec, exec, s[14:15]
	s_lshl_b64 s[10:11], s[12:13], 12
	v_mov_b32_e32 v3, s11
	v_add_co_u32_e32 v6, vcc, s10, v6
	v_addc_co_u32_e32 v7, vcc, v7, v3, vcc
	s_movk_i32 s10, 0xff1d
	s_mov_b32 s12, 0
	v_and_or_b32 v0, v0, s10, 34
	v_mov_b32_e32 v3, v2
	v_readfirstlane_b32 s10, v6
	v_readfirstlane_b32 s11, v7
	s_mov_b32 s13, s12
	s_mov_b32 s14, s12
	;; [unrolled: 1-line block ×3, first 2 shown]
	s_nop 1
	global_store_dwordx4 v32, v[0:3], s[10:11]
	s_nop 0
	v_pk_mov_b32 v[0:1], s[12:13], s[12:13] op_sel:[0,1]
	v_pk_mov_b32 v[2:3], s[14:15], s[14:15] op_sel:[0,1]
	global_store_dwordx4 v32, v[0:3], s[10:11] offset:16
	global_store_dwordx4 v32, v[0:3], s[10:11] offset:32
	;; [unrolled: 1-line block ×3, first 2 shown]
	s_and_saveexec_b64 s[10:11], s[4:5]
	s_cbranch_execz .LBB7_520
; %bb.513:
	v_mov_b32_e32 v6, 0
	global_load_dwordx2 v[12:13], v6, s[8:9] offset:32 glc
	global_load_dwordx2 v[0:1], v6, s[8:9] offset:40
	v_mov_b32_e32 v10, s6
	v_mov_b32_e32 v11, s7
	s_waitcnt vmcnt(0)
	v_readfirstlane_b32 s12, v0
	v_readfirstlane_b32 s13, v1
	s_and_b64 s[12:13], s[12:13], s[6:7]
	s_mul_i32 s13, s13, 24
	s_mul_hi_u32 s14, s12, 24
	s_mul_i32 s12, s12, 24
	s_add_i32 s13, s14, s13
	v_mov_b32_e32 v0, s13
	v_add_co_u32_e32 v4, vcc, s12, v4
	v_addc_co_u32_e32 v5, vcc, v5, v0, vcc
	global_store_dwordx2 v[4:5], v[12:13], off
	buffer_wbl2
	s_waitcnt vmcnt(0)
	global_atomic_cmpswap_x2 v[2:3], v6, v[10:13], s[8:9] offset:32 glc
	s_waitcnt vmcnt(0)
	v_cmp_ne_u64_e32 vcc, v[2:3], v[12:13]
	s_and_saveexec_b64 s[12:13], vcc
	s_cbranch_execz .LBB7_516
; %bb.514:
	s_mov_b64 s[14:15], 0
.LBB7_515:                              ; =>This Inner Loop Header: Depth=1
	s_sleep 1
	global_store_dwordx2 v[4:5], v[2:3], off
	v_mov_b32_e32 v0, s6
	v_mov_b32_e32 v1, s7
	buffer_wbl2
	s_waitcnt vmcnt(0)
	global_atomic_cmpswap_x2 v[0:1], v6, v[0:3], s[8:9] offset:32 glc
	s_waitcnt vmcnt(0)
	v_cmp_eq_u64_e32 vcc, v[0:1], v[2:3]
	s_or_b64 s[14:15], vcc, s[14:15]
	v_pk_mov_b32 v[2:3], v[0:1], v[0:1] op_sel:[0,1]
	s_andn2_b64 exec, exec, s[14:15]
	s_cbranch_execnz .LBB7_515
.LBB7_516:
	s_or_b64 exec, exec, s[12:13]
	v_mov_b32_e32 v3, 0
	global_load_dwordx2 v[0:1], v3, s[8:9] offset:16
	s_mov_b64 s[12:13], exec
	v_mbcnt_lo_u32_b32 v2, s12, 0
	v_mbcnt_hi_u32_b32 v2, s13, v2
	v_cmp_eq_u32_e32 vcc, 0, v2
	s_and_saveexec_b64 s[14:15], vcc
	s_cbranch_execz .LBB7_518
; %bb.517:
	s_bcnt1_i32_b64 s12, s[12:13]
	v_mov_b32_e32 v2, s12
	buffer_wbl2
	s_waitcnt vmcnt(0)
	global_atomic_add_x2 v[0:1], v[2:3], off offset:8
.LBB7_518:
	s_or_b64 exec, exec, s[14:15]
	s_waitcnt vmcnt(0)
	global_load_dwordx2 v[2:3], v[0:1], off offset:16
	s_waitcnt vmcnt(0)
	v_cmp_eq_u64_e32 vcc, 0, v[2:3]
	s_cbranch_vccnz .LBB7_520
; %bb.519:
	global_load_dword v0, v[0:1], off offset:24
	v_mov_b32_e32 v1, 0
	buffer_wbl2
	s_waitcnt vmcnt(0)
	global_store_dwordx2 v[2:3], v[0:1], off
	v_and_b32_e32 v0, 0xffffff, v0
	v_readfirstlane_b32 m0, v0
	s_sendmsg sendmsg(MSG_INTERRUPT)
.LBB7_520:
	s_or_b64 exec, exec, s[10:11]
	s_branch .LBB7_522
.LBB7_521:
	s_branch .LBB7_526
.LBB7_522:                              ; =>This Inner Loop Header: Depth=1
	v_mov_b32_e32 v0, 1
	s_and_saveexec_b64 s[10:11], s[4:5]
	s_cbranch_execz .LBB7_524
; %bb.523:                              ;   in Loop: Header=BB7_522 Depth=1
	global_load_dword v0, v[8:9], off offset:20 glc
	s_waitcnt vmcnt(0)
	buffer_invl2
	buffer_wbinvl1_vol
	v_and_b32_e32 v0, 1, v0
.LBB7_524:                              ;   in Loop: Header=BB7_522 Depth=1
	s_or_b64 exec, exec, s[10:11]
	v_readfirstlane_b32 s10, v0
	s_cmp_eq_u32 s10, 0
	s_cbranch_scc1 .LBB7_521
; %bb.525:                              ;   in Loop: Header=BB7_522 Depth=1
	s_sleep 1
	s_cbranch_execnz .LBB7_522
.LBB7_526:
	s_and_saveexec_b64 s[10:11], s[4:5]
	s_cbranch_execz .LBB7_529
; %bb.527:
	v_mov_b32_e32 v6, 0
	global_load_dwordx2 v[4:5], v6, s[8:9] offset:40
	global_load_dwordx2 v[8:9], v6, s[8:9] offset:24 glc
	global_load_dwordx2 v[10:11], v6, s[8:9]
	v_mov_b32_e32 v1, s7
	s_mov_b64 s[4:5], 0
	s_waitcnt vmcnt(2)
	v_add_co_u32_e32 v3, vcc, 1, v4
	v_addc_co_u32_e32 v7, vcc, 0, v5, vcc
	v_add_co_u32_e32 v0, vcc, s6, v3
	v_addc_co_u32_e32 v1, vcc, v7, v1, vcc
	v_cmp_eq_u64_e32 vcc, 0, v[0:1]
	v_cndmask_b32_e32 v1, v1, v7, vcc
	v_cndmask_b32_e32 v0, v0, v3, vcc
	v_and_b32_e32 v3, v1, v5
	v_and_b32_e32 v4, v0, v4
	v_mul_lo_u32 v3, v3, 24
	v_mul_hi_u32 v5, v4, 24
	v_mul_lo_u32 v4, v4, 24
	v_add_u32_e32 v3, v5, v3
	s_waitcnt vmcnt(0)
	v_add_co_u32_e32 v4, vcc, v10, v4
	v_addc_co_u32_e32 v5, vcc, v11, v3, vcc
	v_mov_b32_e32 v2, v8
	global_store_dwordx2 v[4:5], v[8:9], off
	v_mov_b32_e32 v3, v9
	buffer_wbl2
	s_waitcnt vmcnt(0)
	global_atomic_cmpswap_x2 v[2:3], v6, v[0:3], s[8:9] offset:24 glc
	s_waitcnt vmcnt(0)
	v_cmp_ne_u64_e32 vcc, v[2:3], v[8:9]
	s_and_b64 exec, exec, vcc
	s_cbranch_execz .LBB7_529
.LBB7_528:                              ; =>This Inner Loop Header: Depth=1
	s_sleep 1
	global_store_dwordx2 v[4:5], v[2:3], off
	buffer_wbl2
	s_waitcnt vmcnt(0)
	global_atomic_cmpswap_x2 v[8:9], v6, v[0:3], s[8:9] offset:24 glc
	s_waitcnt vmcnt(0)
	v_cmp_eq_u64_e32 vcc, v[8:9], v[2:3]
	s_or_b64 s[4:5], vcc, s[4:5]
	v_pk_mov_b32 v[2:3], v[8:9], v[8:9] op_sel:[0,1]
	s_andn2_b64 exec, exec, s[4:5]
	s_cbranch_execnz .LBB7_528
.LBB7_529:
	s_or_b64 exec, exec, s[10:11]
	v_readlane_b32 s4, v70, 10
	v_readlane_b32 s58, v70, 8
	;; [unrolled: 1-line block ×4, first 2 shown]
.LBB7_530:
	v_readlane_b32 s6, v70, 2
	v_readlane_b32 s7, v70, 3
	s_or_b64 s[6:7], s[6:7], exec
	v_writelane_b32 v70, s6, 2
	s_trap 2
	v_writelane_b32 v70, s7, 3
	s_branch .LBB7_60
.LBB7_531:
	s_mov_b64 s[6:7], -1
                                        ; implicit-def: $vgpr0_vgpr1
	s_branch .LBB7_533
.LBB7_532:
	s_mov_b64 s[6:7], 0
.LBB7_533:
	v_readlane_b32 s4, v70, 10
	v_readlane_b32 s5, v70, 11
	s_and_b64 vcc, exec, s[6:7]
	s_cbranch_vccz .LBB7_560
; %bb.534:
	v_readfirstlane_b32 s4, v33
	v_cmp_eq_u32_e64 s[4:5], s4, v33
	v_pk_mov_b32 v[8:9], 0, 0
	s_and_saveexec_b64 s[6:7], s[4:5]
	s_cbranch_execz .LBB7_540
; %bb.535:
	s_waitcnt vmcnt(0)
	v_mov_b32_e32 v0, 0
	global_load_dwordx2 v[10:11], v0, s[8:9] offset:24 glc
	s_waitcnt vmcnt(0)
	buffer_invl2
	buffer_wbinvl1_vol
	global_load_dwordx2 v[2:3], v0, s[8:9] offset:40
	global_load_dwordx2 v[6:7], v0, s[8:9]
	s_waitcnt vmcnt(1)
	v_and_b32_e32 v1, v2, v10
	v_and_b32_e32 v2, v3, v11
	v_mul_lo_u32 v2, v2, 24
	v_mul_hi_u32 v3, v1, 24
	v_mul_lo_u32 v1, v1, 24
	v_add_u32_e32 v3, v3, v2
	s_waitcnt vmcnt(0)
	v_add_co_u32_e32 v2, vcc, v6, v1
	v_addc_co_u32_e32 v3, vcc, v7, v3, vcc
	global_load_dwordx2 v[8:9], v[2:3], off glc
	s_waitcnt vmcnt(0)
	global_atomic_cmpswap_x2 v[8:9], v0, v[8:11], s[8:9] offset:24 glc
	s_waitcnt vmcnt(0)
	buffer_invl2
	buffer_wbinvl1_vol
	v_cmp_ne_u64_e32 vcc, v[8:9], v[10:11]
	s_and_saveexec_b64 s[10:11], vcc
	s_cbranch_execz .LBB7_539
; %bb.536:
	s_mov_b64 s[12:13], 0
.LBB7_537:                              ; =>This Inner Loop Header: Depth=1
	s_sleep 1
	global_load_dwordx2 v[2:3], v0, s[8:9] offset:40
	global_load_dwordx2 v[6:7], v0, s[8:9]
	v_pk_mov_b32 v[10:11], v[8:9], v[8:9] op_sel:[0,1]
	s_waitcnt vmcnt(1)
	v_and_b32_e32 v2, v2, v10
	v_and_b32_e32 v1, v3, v11
	s_waitcnt vmcnt(0)
	v_mad_u64_u32 v[2:3], s[14:15], v2, 24, v[6:7]
	v_mov_b32_e32 v6, v3
	v_mad_u64_u32 v[6:7], s[14:15], v1, 24, v[6:7]
	v_mov_b32_e32 v3, v6
	global_load_dwordx2 v[8:9], v[2:3], off glc
	s_waitcnt vmcnt(0)
	global_atomic_cmpswap_x2 v[8:9], v0, v[8:11], s[8:9] offset:24 glc
	s_waitcnt vmcnt(0)
	buffer_invl2
	buffer_wbinvl1_vol
	v_cmp_eq_u64_e32 vcc, v[8:9], v[10:11]
	s_or_b64 s[12:13], vcc, s[12:13]
	s_andn2_b64 exec, exec, s[12:13]
	s_cbranch_execnz .LBB7_537
; %bb.538:
	s_or_b64 exec, exec, s[12:13]
.LBB7_539:
	s_or_b64 exec, exec, s[10:11]
.LBB7_540:
	s_or_b64 exec, exec, s[6:7]
	v_mov_b32_e32 v6, 0
	global_load_dwordx2 v[10:11], v6, s[8:9] offset:40
	global_load_dwordx4 v[0:3], v6, s[8:9]
	v_readfirstlane_b32 s6, v8
	v_readfirstlane_b32 s7, v9
	s_mov_b64 s[10:11], exec
	s_waitcnt vmcnt(1)
	v_readfirstlane_b32 s12, v10
	v_readfirstlane_b32 s13, v11
	s_and_b64 s[12:13], s[6:7], s[12:13]
	s_mul_i32 s14, s13, 24
	s_mul_hi_u32 s15, s12, 24
	s_mul_i32 s16, s12, 24
	s_add_i32 s14, s15, s14
	v_mov_b32_e32 v7, s14
	s_waitcnt vmcnt(0)
	v_add_co_u32_e32 v8, vcc, s16, v0
	v_addc_co_u32_e32 v9, vcc, v1, v7, vcc
	s_and_saveexec_b64 s[14:15], s[4:5]
	s_cbranch_execz .LBB7_542
; %bb.541:
	v_pk_mov_b32 v[10:11], s[10:11], s[10:11] op_sel:[0,1]
	v_mov_b32_e32 v12, 2
	v_mov_b32_e32 v13, 1
	global_store_dwordx4 v[8:9], v[10:13], off offset:8
.LBB7_542:
	s_or_b64 exec, exec, s[14:15]
	s_lshl_b64 s[10:11], s[12:13], 12
	v_mov_b32_e32 v7, s11
	v_add_co_u32_e32 v2, vcc, s10, v2
	v_addc_co_u32_e32 v3, vcc, v3, v7, vcc
	s_movk_i32 s10, 0xff1f
	s_mov_b32 s12, 0
	v_and_or_b32 v4, v4, s10, 32
	v_add_co_u32_e32 v10, vcc, v2, v32
	v_mov_b32_e32 v7, v6
	v_readfirstlane_b32 s10, v2
	v_readfirstlane_b32 s11, v3
	s_mov_b32 s13, s12
	v_addc_co_u32_e32 v11, vcc, 0, v3, vcc
	s_mov_b32 s14, s12
	s_mov_b32 s15, s12
	s_nop 0
	global_store_dwordx4 v32, v[4:7], s[10:11]
	v_pk_mov_b32 v[2:3], s[12:13], s[12:13] op_sel:[0,1]
	v_pk_mov_b32 v[4:5], s[14:15], s[14:15] op_sel:[0,1]
	global_store_dwordx4 v32, v[2:5], s[10:11] offset:16
	global_store_dwordx4 v32, v[2:5], s[10:11] offset:32
	;; [unrolled: 1-line block ×3, first 2 shown]
	s_and_saveexec_b64 s[10:11], s[4:5]
	s_cbranch_execz .LBB7_550
; %bb.543:
	v_mov_b32_e32 v6, 0
	global_load_dwordx2 v[14:15], v6, s[8:9] offset:32 glc
	global_load_dwordx2 v[2:3], v6, s[8:9] offset:40
	v_mov_b32_e32 v12, s6
	v_mov_b32_e32 v13, s7
	s_waitcnt vmcnt(0)
	v_readfirstlane_b32 s12, v2
	v_readfirstlane_b32 s13, v3
	s_and_b64 s[12:13], s[12:13], s[6:7]
	s_mul_i32 s13, s13, 24
	s_mul_hi_u32 s14, s12, 24
	s_mul_i32 s12, s12, 24
	s_add_i32 s13, s14, s13
	v_mov_b32_e32 v2, s13
	v_add_co_u32_e32 v4, vcc, s12, v0
	v_addc_co_u32_e32 v5, vcc, v1, v2, vcc
	global_store_dwordx2 v[4:5], v[14:15], off
	buffer_wbl2
	s_waitcnt vmcnt(0)
	global_atomic_cmpswap_x2 v[2:3], v6, v[12:15], s[8:9] offset:32 glc
	s_waitcnt vmcnt(0)
	v_cmp_ne_u64_e32 vcc, v[2:3], v[14:15]
	s_and_saveexec_b64 s[12:13], vcc
	s_cbranch_execz .LBB7_546
; %bb.544:
	s_mov_b64 s[14:15], 0
.LBB7_545:                              ; =>This Inner Loop Header: Depth=1
	s_sleep 1
	global_store_dwordx2 v[4:5], v[2:3], off
	v_mov_b32_e32 v0, s6
	v_mov_b32_e32 v1, s7
	buffer_wbl2
	s_waitcnt vmcnt(0)
	global_atomic_cmpswap_x2 v[0:1], v6, v[0:3], s[8:9] offset:32 glc
	s_waitcnt vmcnt(0)
	v_cmp_eq_u64_e32 vcc, v[0:1], v[2:3]
	s_or_b64 s[14:15], vcc, s[14:15]
	v_pk_mov_b32 v[2:3], v[0:1], v[0:1] op_sel:[0,1]
	s_andn2_b64 exec, exec, s[14:15]
	s_cbranch_execnz .LBB7_545
.LBB7_546:
	s_or_b64 exec, exec, s[12:13]
	v_mov_b32_e32 v3, 0
	global_load_dwordx2 v[0:1], v3, s[8:9] offset:16
	s_mov_b64 s[12:13], exec
	v_mbcnt_lo_u32_b32 v2, s12, 0
	v_mbcnt_hi_u32_b32 v2, s13, v2
	v_cmp_eq_u32_e32 vcc, 0, v2
	s_and_saveexec_b64 s[14:15], vcc
	s_cbranch_execz .LBB7_548
; %bb.547:
	s_bcnt1_i32_b64 s12, s[12:13]
	v_mov_b32_e32 v2, s12
	buffer_wbl2
	s_waitcnt vmcnt(0)
	global_atomic_add_x2 v[0:1], v[2:3], off offset:8
.LBB7_548:
	s_or_b64 exec, exec, s[14:15]
	s_waitcnt vmcnt(0)
	global_load_dwordx2 v[2:3], v[0:1], off offset:16
	s_waitcnt vmcnt(0)
	v_cmp_eq_u64_e32 vcc, 0, v[2:3]
	s_cbranch_vccnz .LBB7_550
; %bb.549:
	global_load_dword v0, v[0:1], off offset:24
	v_mov_b32_e32 v1, 0
	buffer_wbl2
	s_waitcnt vmcnt(0)
	global_store_dwordx2 v[2:3], v[0:1], off
	v_and_b32_e32 v0, 0xffffff, v0
	v_readfirstlane_b32 m0, v0
	s_sendmsg sendmsg(MSG_INTERRUPT)
.LBB7_550:
	s_or_b64 exec, exec, s[10:11]
	s_branch .LBB7_552
.LBB7_551:
	s_branch .LBB7_556
.LBB7_552:                              ; =>This Inner Loop Header: Depth=1
	v_mov_b32_e32 v0, 1
	s_and_saveexec_b64 s[10:11], s[4:5]
	s_cbranch_execz .LBB7_554
; %bb.553:                              ;   in Loop: Header=BB7_552 Depth=1
	global_load_dword v0, v[8:9], off offset:20 glc
	s_waitcnt vmcnt(0)
	buffer_invl2
	buffer_wbinvl1_vol
	v_and_b32_e32 v0, 1, v0
.LBB7_554:                              ;   in Loop: Header=BB7_552 Depth=1
	s_or_b64 exec, exec, s[10:11]
	v_readfirstlane_b32 s10, v0
	s_cmp_eq_u32 s10, 0
	s_cbranch_scc1 .LBB7_551
; %bb.555:                              ;   in Loop: Header=BB7_552 Depth=1
	s_sleep 1
	s_cbranch_execnz .LBB7_552
.LBB7_556:
	global_load_dwordx2 v[0:1], v[10:11], off
	s_and_saveexec_b64 s[10:11], s[4:5]
	s_cbranch_execz .LBB7_559
; %bb.557:
	v_mov_b32_e32 v8, 0
	global_load_dwordx2 v[6:7], v8, s[8:9] offset:40
	global_load_dwordx2 v[10:11], v8, s[8:9] offset:24 glc
	global_load_dwordx2 v[12:13], v8, s[8:9]
	v_mov_b32_e32 v3, s7
	s_mov_b64 s[4:5], 0
	s_waitcnt vmcnt(2)
	v_add_co_u32_e32 v5, vcc, 1, v6
	v_addc_co_u32_e32 v9, vcc, 0, v7, vcc
	v_add_co_u32_e32 v2, vcc, s6, v5
	v_addc_co_u32_e32 v3, vcc, v9, v3, vcc
	v_cmp_eq_u64_e32 vcc, 0, v[2:3]
	v_cndmask_b32_e32 v3, v3, v9, vcc
	v_cndmask_b32_e32 v2, v2, v5, vcc
	v_and_b32_e32 v5, v3, v7
	v_and_b32_e32 v6, v2, v6
	v_mul_lo_u32 v5, v5, 24
	v_mul_hi_u32 v7, v6, 24
	v_mul_lo_u32 v6, v6, 24
	v_add_u32_e32 v5, v7, v5
	s_waitcnt vmcnt(0)
	v_add_co_u32_e32 v6, vcc, v12, v6
	v_addc_co_u32_e32 v7, vcc, v13, v5, vcc
	v_mov_b32_e32 v4, v10
	global_store_dwordx2 v[6:7], v[10:11], off
	v_mov_b32_e32 v5, v11
	buffer_wbl2
	s_waitcnt vmcnt(0)
	global_atomic_cmpswap_x2 v[4:5], v8, v[2:5], s[8:9] offset:24 glc
	s_waitcnt vmcnt(0)
	v_cmp_ne_u64_e32 vcc, v[4:5], v[10:11]
	s_and_b64 exec, exec, vcc
	s_cbranch_execz .LBB7_559
.LBB7_558:                              ; =>This Inner Loop Header: Depth=1
	s_sleep 1
	global_store_dwordx2 v[6:7], v[4:5], off
	buffer_wbl2
	s_waitcnt vmcnt(0)
	global_atomic_cmpswap_x2 v[10:11], v8, v[2:5], s[8:9] offset:24 glc
	s_waitcnt vmcnt(0)
	v_cmp_eq_u64_e32 vcc, v[10:11], v[4:5]
	s_or_b64 s[4:5], vcc, s[4:5]
	v_pk_mov_b32 v[4:5], v[10:11], v[10:11] op_sel:[0,1]
	s_andn2_b64 exec, exec, s[4:5]
	s_cbranch_execnz .LBB7_558
.LBB7_559:
	s_or_b64 exec, exec, s[10:11]
	v_readlane_b32 s4, v70, 10
	v_readlane_b32 s58, v70, 8
	;; [unrolled: 1-line block ×4, first 2 shown]
.LBB7_560:
	s_getpc_b64 s[10:11]
	s_add_u32 s10, s10, .str.18@rel32@lo+4
	s_addc_u32 s11, s11, .str.18@rel32@hi+12
	s_cmp_lg_u64 s[10:11], 0
	s_mov_b64 s[6:7], -1
	s_cbranch_scc0 .LBB7_652
; %bb.561:
	s_waitcnt vmcnt(0)
	v_and_b32_e32 v6, -3, v0
	v_mov_b32_e32 v7, v1
	s_mov_b64 s[12:13], 56
	v_mov_b32_e32 v27, 0
	v_mov_b32_e32 v4, 2
	v_mov_b32_e32 v5, 1
	s_branch .LBB7_563
.LBB7_562:                              ;   in Loop: Header=BB7_563 Depth=1
	s_or_b64 exec, exec, s[18:19]
	s_sub_u32 s12, s12, s14
	s_subb_u32 s13, s13, s15
	s_add_u32 s10, s10, s14
	s_addc_u32 s11, s11, s15
	s_cmp_lg_u64 s[12:13], 0
	s_cbranch_scc0 .LBB7_651
.LBB7_563:                              ; =>This Loop Header: Depth=1
                                        ;     Child Loop BB7_566 Depth 2
                                        ;     Child Loop BB7_574 Depth 2
                                        ;     Child Loop BB7_583 Depth 2
                                        ;     Child Loop BB7_592 Depth 2
                                        ;     Child Loop BB7_601 Depth 2
                                        ;     Child Loop BB7_610 Depth 2
                                        ;     Child Loop BB7_619 Depth 2
                                        ;     Child Loop BB7_628 Depth 2
                                        ;     Child Loop BB7_636 Depth 2
                                        ;     Child Loop BB7_643 Depth 2
                                        ;     Child Loop BB7_650 Depth 2
	v_cmp_lt_u64_e64 s[6:7], s[12:13], 56
	s_and_b64 s[6:7], s[6:7], exec
	v_cmp_gt_u64_e64 s[6:7], s[12:13], 7
	s_cselect_b32 s15, s13, 0
	s_cselect_b32 s14, s12, 56
	s_and_b64 vcc, exec, s[6:7]
	s_cbranch_vccnz .LBB7_568
; %bb.564:                              ;   in Loop: Header=BB7_563 Depth=1
	s_mov_b64 s[6:7], 0
	s_cmp_eq_u64 s[12:13], 0
	s_waitcnt vmcnt(0)
	v_pk_mov_b32 v[8:9], 0, 0
	s_cbranch_scc1 .LBB7_567
; %bb.565:                              ;   in Loop: Header=BB7_563 Depth=1
	s_lshl_b64 s[16:17], s[14:15], 3
	s_mov_b64 s[18:19], 0
	v_pk_mov_b32 v[8:9], 0, 0
	s_mov_b64 s[20:21], s[10:11]
.LBB7_566:                              ;   Parent Loop BB7_563 Depth=1
                                        ; =>  This Inner Loop Header: Depth=2
	global_load_ubyte v2, v27, s[20:21]
	s_waitcnt vmcnt(0)
	v_and_b32_e32 v26, 0xffff, v2
	v_lshlrev_b64 v[2:3], s18, v[26:27]
	s_add_u32 s18, s18, 8
	s_addc_u32 s19, s19, 0
	s_add_u32 s20, s20, 1
	s_addc_u32 s21, s21, 0
	v_or_b32_e32 v8, v2, v8
	s_cmp_lg_u32 s16, s18
	v_or_b32_e32 v9, v3, v9
	s_cbranch_scc1 .LBB7_566
.LBB7_567:                              ;   in Loop: Header=BB7_563 Depth=1
	s_mov_b32 s20, 0
	s_branch .LBB7_569
.LBB7_568:                              ;   in Loop: Header=BB7_563 Depth=1
	s_mov_b64 s[6:7], -1
                                        ; implicit-def: $sgpr20
.LBB7_569:                              ;   in Loop: Header=BB7_563 Depth=1
	s_andn2_b64 vcc, exec, s[6:7]
	s_mov_b64 s[6:7], s[10:11]
	s_cbranch_vccnz .LBB7_571
; %bb.570:                              ;   in Loop: Header=BB7_563 Depth=1
	global_load_dwordx2 v[8:9], v27, s[10:11]
	s_add_i32 s20, s14, -8
	s_add_u32 s6, s10, 8
	s_addc_u32 s7, s11, 0
.LBB7_571:                              ;   in Loop: Header=BB7_563 Depth=1
	s_cmp_gt_u32 s20, 7
	s_cbranch_scc1 .LBB7_575
; %bb.572:                              ;   in Loop: Header=BB7_563 Depth=1
	s_cmp_eq_u32 s20, 0
	s_cbranch_scc1 .LBB7_576
; %bb.573:                              ;   in Loop: Header=BB7_563 Depth=1
	s_mov_b64 s[16:17], 0
	v_pk_mov_b32 v[10:11], 0, 0
	s_mov_b64 s[18:19], 0
.LBB7_574:                              ;   Parent Loop BB7_563 Depth=1
                                        ; =>  This Inner Loop Header: Depth=2
	s_add_u32 s22, s6, s18
	s_addc_u32 s23, s7, s19
	global_load_ubyte v2, v27, s[22:23]
	s_add_u32 s18, s18, 1
	s_addc_u32 s19, s19, 0
	s_waitcnt vmcnt(0)
	v_and_b32_e32 v26, 0xffff, v2
	v_lshlrev_b64 v[2:3], s16, v[26:27]
	s_add_u32 s16, s16, 8
	s_addc_u32 s17, s17, 0
	v_or_b32_e32 v10, v2, v10
	s_cmp_lg_u32 s20, s18
	v_or_b32_e32 v11, v3, v11
	s_cbranch_scc1 .LBB7_574
	s_branch .LBB7_577
.LBB7_575:                              ;   in Loop: Header=BB7_563 Depth=1
	s_mov_b64 s[16:17], -1
                                        ; implicit-def: $vgpr10_vgpr11
                                        ; implicit-def: $sgpr21
	s_branch .LBB7_578
.LBB7_576:                              ;   in Loop: Header=BB7_563 Depth=1
	v_pk_mov_b32 v[10:11], 0, 0
.LBB7_577:                              ;   in Loop: Header=BB7_563 Depth=1
	s_mov_b64 s[16:17], 0
	s_mov_b32 s21, 0
.LBB7_578:                              ;   in Loop: Header=BB7_563 Depth=1
	s_andn2_b64 vcc, exec, s[16:17]
	s_cbranch_vccnz .LBB7_580
; %bb.579:                              ;   in Loop: Header=BB7_563 Depth=1
	global_load_dwordx2 v[10:11], v27, s[6:7]
	s_add_i32 s21, s20, -8
	s_add_u32 s6, s6, 8
	s_addc_u32 s7, s7, 0
.LBB7_580:                              ;   in Loop: Header=BB7_563 Depth=1
	s_cmp_gt_u32 s21, 7
	s_cbranch_scc1 .LBB7_584
; %bb.581:                              ;   in Loop: Header=BB7_563 Depth=1
	s_cmp_eq_u32 s21, 0
	s_cbranch_scc1 .LBB7_585
; %bb.582:                              ;   in Loop: Header=BB7_563 Depth=1
	s_mov_b64 s[16:17], 0
	v_pk_mov_b32 v[12:13], 0, 0
	s_mov_b64 s[18:19], 0
.LBB7_583:                              ;   Parent Loop BB7_563 Depth=1
                                        ; =>  This Inner Loop Header: Depth=2
	s_add_u32 s22, s6, s18
	s_addc_u32 s23, s7, s19
	global_load_ubyte v2, v27, s[22:23]
	s_add_u32 s18, s18, 1
	s_addc_u32 s19, s19, 0
	s_waitcnt vmcnt(0)
	v_and_b32_e32 v26, 0xffff, v2
	v_lshlrev_b64 v[2:3], s16, v[26:27]
	s_add_u32 s16, s16, 8
	s_addc_u32 s17, s17, 0
	v_or_b32_e32 v12, v2, v12
	s_cmp_lg_u32 s21, s18
	v_or_b32_e32 v13, v3, v13
	s_cbranch_scc1 .LBB7_583
	s_branch .LBB7_586
.LBB7_584:                              ;   in Loop: Header=BB7_563 Depth=1
	s_mov_b64 s[16:17], -1
                                        ; implicit-def: $sgpr20
	s_branch .LBB7_587
.LBB7_585:                              ;   in Loop: Header=BB7_563 Depth=1
	v_pk_mov_b32 v[12:13], 0, 0
.LBB7_586:                              ;   in Loop: Header=BB7_563 Depth=1
	s_mov_b64 s[16:17], 0
	s_mov_b32 s20, 0
.LBB7_587:                              ;   in Loop: Header=BB7_563 Depth=1
	s_andn2_b64 vcc, exec, s[16:17]
	s_cbranch_vccnz .LBB7_589
; %bb.588:                              ;   in Loop: Header=BB7_563 Depth=1
	global_load_dwordx2 v[12:13], v27, s[6:7]
	s_add_i32 s20, s21, -8
	s_add_u32 s6, s6, 8
	s_addc_u32 s7, s7, 0
.LBB7_589:                              ;   in Loop: Header=BB7_563 Depth=1
	s_cmp_gt_u32 s20, 7
	s_cbranch_scc1 .LBB7_593
; %bb.590:                              ;   in Loop: Header=BB7_563 Depth=1
	s_cmp_eq_u32 s20, 0
	s_cbranch_scc1 .LBB7_594
; %bb.591:                              ;   in Loop: Header=BB7_563 Depth=1
	s_mov_b64 s[16:17], 0
	v_pk_mov_b32 v[14:15], 0, 0
	s_mov_b64 s[18:19], 0
.LBB7_592:                              ;   Parent Loop BB7_563 Depth=1
                                        ; =>  This Inner Loop Header: Depth=2
	s_add_u32 s22, s6, s18
	s_addc_u32 s23, s7, s19
	global_load_ubyte v2, v27, s[22:23]
	s_add_u32 s18, s18, 1
	s_addc_u32 s19, s19, 0
	s_waitcnt vmcnt(0)
	v_and_b32_e32 v26, 0xffff, v2
	v_lshlrev_b64 v[2:3], s16, v[26:27]
	s_add_u32 s16, s16, 8
	s_addc_u32 s17, s17, 0
	v_or_b32_e32 v14, v2, v14
	s_cmp_lg_u32 s20, s18
	v_or_b32_e32 v15, v3, v15
	s_cbranch_scc1 .LBB7_592
	s_branch .LBB7_595
.LBB7_593:                              ;   in Loop: Header=BB7_563 Depth=1
	s_mov_b64 s[16:17], -1
                                        ; implicit-def: $vgpr14_vgpr15
                                        ; implicit-def: $sgpr21
	s_branch .LBB7_596
.LBB7_594:                              ;   in Loop: Header=BB7_563 Depth=1
	v_pk_mov_b32 v[14:15], 0, 0
.LBB7_595:                              ;   in Loop: Header=BB7_563 Depth=1
	s_mov_b64 s[16:17], 0
	s_mov_b32 s21, 0
.LBB7_596:                              ;   in Loop: Header=BB7_563 Depth=1
	s_andn2_b64 vcc, exec, s[16:17]
	s_cbranch_vccnz .LBB7_598
; %bb.597:                              ;   in Loop: Header=BB7_563 Depth=1
	global_load_dwordx2 v[14:15], v27, s[6:7]
	s_add_i32 s21, s20, -8
	s_add_u32 s6, s6, 8
	s_addc_u32 s7, s7, 0
.LBB7_598:                              ;   in Loop: Header=BB7_563 Depth=1
	s_cmp_gt_u32 s21, 7
	s_cbranch_scc1 .LBB7_602
; %bb.599:                              ;   in Loop: Header=BB7_563 Depth=1
	s_cmp_eq_u32 s21, 0
	s_cbranch_scc1 .LBB7_603
; %bb.600:                              ;   in Loop: Header=BB7_563 Depth=1
	s_mov_b64 s[16:17], 0
	v_pk_mov_b32 v[16:17], 0, 0
	s_mov_b64 s[18:19], 0
.LBB7_601:                              ;   Parent Loop BB7_563 Depth=1
                                        ; =>  This Inner Loop Header: Depth=2
	s_add_u32 s22, s6, s18
	s_addc_u32 s23, s7, s19
	global_load_ubyte v2, v27, s[22:23]
	s_add_u32 s18, s18, 1
	s_addc_u32 s19, s19, 0
	s_waitcnt vmcnt(0)
	v_and_b32_e32 v26, 0xffff, v2
	v_lshlrev_b64 v[2:3], s16, v[26:27]
	s_add_u32 s16, s16, 8
	s_addc_u32 s17, s17, 0
	v_or_b32_e32 v16, v2, v16
	s_cmp_lg_u32 s21, s18
	v_or_b32_e32 v17, v3, v17
	s_cbranch_scc1 .LBB7_601
	s_branch .LBB7_604
.LBB7_602:                              ;   in Loop: Header=BB7_563 Depth=1
	s_mov_b64 s[16:17], -1
                                        ; implicit-def: $sgpr20
	s_branch .LBB7_605
.LBB7_603:                              ;   in Loop: Header=BB7_563 Depth=1
	v_pk_mov_b32 v[16:17], 0, 0
.LBB7_604:                              ;   in Loop: Header=BB7_563 Depth=1
	s_mov_b64 s[16:17], 0
	s_mov_b32 s20, 0
.LBB7_605:                              ;   in Loop: Header=BB7_563 Depth=1
	s_andn2_b64 vcc, exec, s[16:17]
	s_cbranch_vccnz .LBB7_607
; %bb.606:                              ;   in Loop: Header=BB7_563 Depth=1
	global_load_dwordx2 v[16:17], v27, s[6:7]
	s_add_i32 s20, s21, -8
	s_add_u32 s6, s6, 8
	s_addc_u32 s7, s7, 0
.LBB7_607:                              ;   in Loop: Header=BB7_563 Depth=1
	s_cmp_gt_u32 s20, 7
	s_cbranch_scc1 .LBB7_611
; %bb.608:                              ;   in Loop: Header=BB7_563 Depth=1
	s_cmp_eq_u32 s20, 0
	s_cbranch_scc1 .LBB7_612
; %bb.609:                              ;   in Loop: Header=BB7_563 Depth=1
	s_mov_b64 s[16:17], 0
	v_pk_mov_b32 v[18:19], 0, 0
	s_mov_b64 s[18:19], 0
.LBB7_610:                              ;   Parent Loop BB7_563 Depth=1
                                        ; =>  This Inner Loop Header: Depth=2
	s_add_u32 s22, s6, s18
	s_addc_u32 s23, s7, s19
	global_load_ubyte v2, v27, s[22:23]
	s_add_u32 s18, s18, 1
	s_addc_u32 s19, s19, 0
	s_waitcnt vmcnt(0)
	v_and_b32_e32 v26, 0xffff, v2
	v_lshlrev_b64 v[2:3], s16, v[26:27]
	s_add_u32 s16, s16, 8
	s_addc_u32 s17, s17, 0
	v_or_b32_e32 v18, v2, v18
	s_cmp_lg_u32 s20, s18
	v_or_b32_e32 v19, v3, v19
	s_cbranch_scc1 .LBB7_610
	s_branch .LBB7_613
.LBB7_611:                              ;   in Loop: Header=BB7_563 Depth=1
	s_mov_b64 s[16:17], -1
                                        ; implicit-def: $vgpr18_vgpr19
                                        ; implicit-def: $sgpr21
	s_branch .LBB7_614
.LBB7_612:                              ;   in Loop: Header=BB7_563 Depth=1
	v_pk_mov_b32 v[18:19], 0, 0
.LBB7_613:                              ;   in Loop: Header=BB7_563 Depth=1
	s_mov_b64 s[16:17], 0
	s_mov_b32 s21, 0
.LBB7_614:                              ;   in Loop: Header=BB7_563 Depth=1
	s_andn2_b64 vcc, exec, s[16:17]
	s_cbranch_vccnz .LBB7_616
; %bb.615:                              ;   in Loop: Header=BB7_563 Depth=1
	global_load_dwordx2 v[18:19], v27, s[6:7]
	s_add_i32 s21, s20, -8
	s_add_u32 s6, s6, 8
	s_addc_u32 s7, s7, 0
.LBB7_616:                              ;   in Loop: Header=BB7_563 Depth=1
	s_cmp_gt_u32 s21, 7
	s_cbranch_scc1 .LBB7_620
; %bb.617:                              ;   in Loop: Header=BB7_563 Depth=1
	s_cmp_eq_u32 s21, 0
	s_cbranch_scc1 .LBB7_621
; %bb.618:                              ;   in Loop: Header=BB7_563 Depth=1
	s_mov_b64 s[16:17], 0
	v_pk_mov_b32 v[20:21], 0, 0
	s_mov_b64 s[18:19], s[6:7]
.LBB7_619:                              ;   Parent Loop BB7_563 Depth=1
                                        ; =>  This Inner Loop Header: Depth=2
	global_load_ubyte v2, v27, s[18:19]
	s_add_i32 s21, s21, -1
	s_waitcnt vmcnt(0)
	v_and_b32_e32 v26, 0xffff, v2
	v_lshlrev_b64 v[2:3], s16, v[26:27]
	s_add_u32 s16, s16, 8
	s_addc_u32 s17, s17, 0
	s_add_u32 s18, s18, 1
	s_addc_u32 s19, s19, 0
	v_or_b32_e32 v20, v2, v20
	s_cmp_lg_u32 s21, 0
	v_or_b32_e32 v21, v3, v21
	s_cbranch_scc1 .LBB7_619
	s_branch .LBB7_622
.LBB7_620:                              ;   in Loop: Header=BB7_563 Depth=1
	s_mov_b64 s[16:17], -1
	s_branch .LBB7_623
.LBB7_621:                              ;   in Loop: Header=BB7_563 Depth=1
	v_pk_mov_b32 v[20:21], 0, 0
.LBB7_622:                              ;   in Loop: Header=BB7_563 Depth=1
	s_mov_b64 s[16:17], 0
.LBB7_623:                              ;   in Loop: Header=BB7_563 Depth=1
	s_andn2_b64 vcc, exec, s[16:17]
	s_cbranch_vccnz .LBB7_625
; %bb.624:                              ;   in Loop: Header=BB7_563 Depth=1
	global_load_dwordx2 v[20:21], v27, s[6:7]
.LBB7_625:                              ;   in Loop: Header=BB7_563 Depth=1
	v_readfirstlane_b32 s6, v33
	v_cmp_eq_u32_e64 s[6:7], s6, v33
	v_pk_mov_b32 v[2:3], 0, 0
	s_and_saveexec_b64 s[16:17], s[6:7]
	s_cbranch_execz .LBB7_631
; %bb.626:                              ;   in Loop: Header=BB7_563 Depth=1
	global_load_dwordx2 v[24:25], v27, s[8:9] offset:24 glc
	s_waitcnt vmcnt(0)
	buffer_invl2
	buffer_wbinvl1_vol
	global_load_dwordx2 v[2:3], v27, s[8:9] offset:40
	global_load_dwordx2 v[22:23], v27, s[8:9]
	s_waitcnt vmcnt(1)
	v_and_b32_e32 v2, v2, v24
	v_and_b32_e32 v3, v3, v25
	v_mul_lo_u32 v3, v3, 24
	v_mul_hi_u32 v26, v2, 24
	v_mul_lo_u32 v2, v2, 24
	v_add_u32_e32 v3, v26, v3
	s_waitcnt vmcnt(0)
	v_add_co_u32_e32 v2, vcc, v22, v2
	v_addc_co_u32_e32 v3, vcc, v23, v3, vcc
	global_load_dwordx2 v[22:23], v[2:3], off glc
	s_waitcnt vmcnt(0)
	global_atomic_cmpswap_x2 v[2:3], v27, v[22:25], s[8:9] offset:24 glc
	s_waitcnt vmcnt(0)
	buffer_invl2
	buffer_wbinvl1_vol
	v_cmp_ne_u64_e32 vcc, v[2:3], v[24:25]
	s_and_saveexec_b64 s[18:19], vcc
	s_cbranch_execz .LBB7_630
; %bb.627:                              ;   in Loop: Header=BB7_563 Depth=1
	s_mov_b64 s[20:21], 0
.LBB7_628:                              ;   Parent Loop BB7_563 Depth=1
                                        ; =>  This Inner Loop Header: Depth=2
	s_sleep 1
	global_load_dwordx2 v[22:23], v27, s[8:9] offset:40
	global_load_dwordx2 v[28:29], v27, s[8:9]
	v_pk_mov_b32 v[24:25], v[2:3], v[2:3] op_sel:[0,1]
	s_waitcnt vmcnt(1)
	v_and_b32_e32 v2, v22, v24
	s_waitcnt vmcnt(0)
	v_mad_u64_u32 v[2:3], s[22:23], v2, 24, v[28:29]
	v_and_b32_e32 v23, v23, v25
	v_mov_b32_e32 v22, v3
	v_mad_u64_u32 v[22:23], s[22:23], v23, 24, v[22:23]
	v_mov_b32_e32 v3, v22
	global_load_dwordx2 v[22:23], v[2:3], off glc
	s_waitcnt vmcnt(0)
	global_atomic_cmpswap_x2 v[2:3], v27, v[22:25], s[8:9] offset:24 glc
	s_waitcnt vmcnt(0)
	buffer_invl2
	buffer_wbinvl1_vol
	v_cmp_eq_u64_e32 vcc, v[2:3], v[24:25]
	s_or_b64 s[20:21], vcc, s[20:21]
	s_andn2_b64 exec, exec, s[20:21]
	s_cbranch_execnz .LBB7_628
; %bb.629:                              ;   in Loop: Header=BB7_563 Depth=1
	s_or_b64 exec, exec, s[20:21]
.LBB7_630:                              ;   in Loop: Header=BB7_563 Depth=1
	s_or_b64 exec, exec, s[18:19]
.LBB7_631:                              ;   in Loop: Header=BB7_563 Depth=1
	s_or_b64 exec, exec, s[16:17]
	global_load_dwordx2 v[28:29], v27, s[8:9] offset:40
	global_load_dwordx4 v[22:25], v27, s[8:9]
	v_readfirstlane_b32 s16, v2
	v_readfirstlane_b32 s17, v3
	s_mov_b64 s[18:19], exec
	s_waitcnt vmcnt(1)
	v_readfirstlane_b32 s20, v28
	v_readfirstlane_b32 s21, v29
	s_and_b64 s[20:21], s[16:17], s[20:21]
	s_mul_i32 s22, s21, 24
	s_mul_hi_u32 s23, s20, 24
	s_mul_i32 s26, s20, 24
	s_add_i32 s22, s23, s22
	v_mov_b32_e32 v2, s22
	s_waitcnt vmcnt(0)
	v_add_co_u32_e32 v28, vcc, s26, v22
	v_addc_co_u32_e32 v29, vcc, v23, v2, vcc
	s_and_saveexec_b64 s[22:23], s[6:7]
	s_cbranch_execz .LBB7_633
; %bb.632:                              ;   in Loop: Header=BB7_563 Depth=1
	v_pk_mov_b32 v[2:3], s[18:19], s[18:19] op_sel:[0,1]
	global_store_dwordx4 v[28:29], v[2:5], off offset:8
.LBB7_633:                              ;   in Loop: Header=BB7_563 Depth=1
	s_or_b64 exec, exec, s[22:23]
	s_lshl_b64 s[18:19], s[20:21], 12
	v_mov_b32_e32 v3, s19
	v_add_co_u32_e32 v2, vcc, s18, v24
	v_addc_co_u32_e32 v3, vcc, v25, v3, vcc
	v_or_b32_e32 v24, 2, v6
	v_cmp_gt_u64_e64 vcc, s[12:13], 56
	s_lshl_b32 s18, s14, 2
	v_cndmask_b32_e32 v6, v24, v6, vcc
	s_add_i32 s18, s18, 28
	s_and_b32 s18, s18, 0x1e0
	v_and_b32_e32 v6, 0xffffff1f, v6
	v_or_b32_e32 v6, s18, v6
	v_readfirstlane_b32 s18, v2
	v_readfirstlane_b32 s19, v3
	s_nop 4
	global_store_dwordx4 v32, v[6:9], s[18:19]
	global_store_dwordx4 v32, v[10:13], s[18:19] offset:16
	global_store_dwordx4 v32, v[14:17], s[18:19] offset:32
	;; [unrolled: 1-line block ×3, first 2 shown]
	s_and_saveexec_b64 s[18:19], s[6:7]
	s_cbranch_execz .LBB7_641
; %bb.634:                              ;   in Loop: Header=BB7_563 Depth=1
	global_load_dwordx2 v[14:15], v27, s[8:9] offset:32 glc
	global_load_dwordx2 v[6:7], v27, s[8:9] offset:40
	v_mov_b32_e32 v12, s16
	v_mov_b32_e32 v13, s17
	s_waitcnt vmcnt(0)
	v_readfirstlane_b32 s20, v6
	v_readfirstlane_b32 s21, v7
	s_and_b64 s[20:21], s[20:21], s[16:17]
	s_mul_i32 s21, s21, 24
	s_mul_hi_u32 s22, s20, 24
	s_mul_i32 s20, s20, 24
	s_add_i32 s21, s22, s21
	v_mov_b32_e32 v6, s21
	v_add_co_u32_e32 v10, vcc, s20, v22
	v_addc_co_u32_e32 v11, vcc, v23, v6, vcc
	global_store_dwordx2 v[10:11], v[14:15], off
	buffer_wbl2
	s_waitcnt vmcnt(0)
	global_atomic_cmpswap_x2 v[8:9], v27, v[12:15], s[8:9] offset:32 glc
	s_waitcnt vmcnt(0)
	v_cmp_ne_u64_e32 vcc, v[8:9], v[14:15]
	s_and_saveexec_b64 s[20:21], vcc
	s_cbranch_execz .LBB7_637
; %bb.635:                              ;   in Loop: Header=BB7_563 Depth=1
	s_mov_b64 s[22:23], 0
.LBB7_636:                              ;   Parent Loop BB7_563 Depth=1
                                        ; =>  This Inner Loop Header: Depth=2
	s_sleep 1
	global_store_dwordx2 v[10:11], v[8:9], off
	v_mov_b32_e32 v6, s16
	v_mov_b32_e32 v7, s17
	buffer_wbl2
	s_waitcnt vmcnt(0)
	global_atomic_cmpswap_x2 v[6:7], v27, v[6:9], s[8:9] offset:32 glc
	s_waitcnt vmcnt(0)
	v_cmp_eq_u64_e32 vcc, v[6:7], v[8:9]
	s_or_b64 s[22:23], vcc, s[22:23]
	v_pk_mov_b32 v[8:9], v[6:7], v[6:7] op_sel:[0,1]
	s_andn2_b64 exec, exec, s[22:23]
	s_cbranch_execnz .LBB7_636
.LBB7_637:                              ;   in Loop: Header=BB7_563 Depth=1
	s_or_b64 exec, exec, s[20:21]
	global_load_dwordx2 v[6:7], v27, s[8:9] offset:16
	s_mov_b64 s[22:23], exec
	v_mbcnt_lo_u32_b32 v8, s22, 0
	v_mbcnt_hi_u32_b32 v8, s23, v8
	v_cmp_eq_u32_e32 vcc, 0, v8
	s_and_saveexec_b64 s[20:21], vcc
	s_cbranch_execz .LBB7_639
; %bb.638:                              ;   in Loop: Header=BB7_563 Depth=1
	s_bcnt1_i32_b64 s22, s[22:23]
	v_mov_b32_e32 v26, s22
	buffer_wbl2
	s_waitcnt vmcnt(0)
	global_atomic_add_x2 v[6:7], v[26:27], off offset:8
.LBB7_639:                              ;   in Loop: Header=BB7_563 Depth=1
	s_or_b64 exec, exec, s[20:21]
	s_waitcnt vmcnt(0)
	global_load_dwordx2 v[8:9], v[6:7], off offset:16
	s_waitcnt vmcnt(0)
	v_cmp_eq_u64_e32 vcc, 0, v[8:9]
	s_cbranch_vccnz .LBB7_641
; %bb.640:                              ;   in Loop: Header=BB7_563 Depth=1
	global_load_dword v26, v[6:7], off offset:24
	s_waitcnt vmcnt(0)
	v_and_b32_e32 v6, 0xffffff, v26
	v_readfirstlane_b32 m0, v6
	buffer_wbl2
	global_store_dwordx2 v[8:9], v[26:27], off
	s_sendmsg sendmsg(MSG_INTERRUPT)
.LBB7_641:                              ;   in Loop: Header=BB7_563 Depth=1
	s_or_b64 exec, exec, s[18:19]
	v_add_co_u32_e32 v2, vcc, v2, v32
	v_addc_co_u32_e32 v3, vcc, 0, v3, vcc
	s_branch .LBB7_643
.LBB7_642:                              ;   in Loop: Header=BB7_563 Depth=1
	s_branch .LBB7_647
.LBB7_643:                              ;   Parent Loop BB7_563 Depth=1
                                        ; =>  This Inner Loop Header: Depth=2
	v_mov_b32_e32 v6, 1
	s_and_saveexec_b64 s[18:19], s[6:7]
	s_cbranch_execz .LBB7_645
; %bb.644:                              ;   in Loop: Header=BB7_643 Depth=2
	global_load_dword v6, v[28:29], off offset:20 glc
	s_waitcnt vmcnt(0)
	buffer_invl2
	buffer_wbinvl1_vol
	v_and_b32_e32 v6, 1, v6
.LBB7_645:                              ;   in Loop: Header=BB7_643 Depth=2
	s_or_b64 exec, exec, s[18:19]
	v_readfirstlane_b32 s18, v6
	s_cmp_eq_u32 s18, 0
	s_cbranch_scc1 .LBB7_642
; %bb.646:                              ;   in Loop: Header=BB7_643 Depth=2
	s_sleep 1
	s_cbranch_execnz .LBB7_643
.LBB7_647:                              ;   in Loop: Header=BB7_563 Depth=1
	global_load_dwordx4 v[6:9], v[2:3], off
	s_and_saveexec_b64 s[18:19], s[6:7]
	s_cbranch_execz .LBB7_562
; %bb.648:                              ;   in Loop: Header=BB7_563 Depth=1
	global_load_dwordx2 v[2:3], v27, s[8:9] offset:40
	global_load_dwordx2 v[12:13], v27, s[8:9] offset:24 glc
	global_load_dwordx2 v[14:15], v27, s[8:9]
	s_waitcnt vmcnt(3)
	v_mov_b32_e32 v9, s17
	s_waitcnt vmcnt(2)
	v_add_co_u32_e32 v11, vcc, 1, v2
	v_addc_co_u32_e32 v16, vcc, 0, v3, vcc
	v_add_co_u32_e32 v8, vcc, s16, v11
	v_addc_co_u32_e32 v9, vcc, v16, v9, vcc
	v_cmp_eq_u64_e32 vcc, 0, v[8:9]
	v_cndmask_b32_e32 v9, v9, v16, vcc
	v_cndmask_b32_e32 v8, v8, v11, vcc
	v_and_b32_e32 v3, v9, v3
	v_and_b32_e32 v2, v8, v2
	v_mul_lo_u32 v3, v3, 24
	v_mul_hi_u32 v11, v2, 24
	v_mul_lo_u32 v2, v2, 24
	v_add_u32_e32 v3, v11, v3
	s_waitcnt vmcnt(0)
	v_add_co_u32_e32 v2, vcc, v14, v2
	v_addc_co_u32_e32 v3, vcc, v15, v3, vcc
	v_mov_b32_e32 v10, v12
	global_store_dwordx2 v[2:3], v[12:13], off
	v_mov_b32_e32 v11, v13
	buffer_wbl2
	s_waitcnt vmcnt(0)
	global_atomic_cmpswap_x2 v[10:11], v27, v[8:11], s[8:9] offset:24 glc
	s_waitcnt vmcnt(0)
	v_cmp_ne_u64_e32 vcc, v[10:11], v[12:13]
	s_and_b64 exec, exec, vcc
	s_cbranch_execz .LBB7_562
; %bb.649:                              ;   in Loop: Header=BB7_563 Depth=1
	s_mov_b64 s[6:7], 0
.LBB7_650:                              ;   Parent Loop BB7_563 Depth=1
                                        ; =>  This Inner Loop Header: Depth=2
	s_sleep 1
	global_store_dwordx2 v[2:3], v[10:11], off
	buffer_wbl2
	s_waitcnt vmcnt(0)
	global_atomic_cmpswap_x2 v[12:13], v27, v[8:11], s[8:9] offset:24 glc
	s_waitcnt vmcnt(0)
	v_cmp_eq_u64_e32 vcc, v[12:13], v[10:11]
	s_or_b64 s[6:7], vcc, s[6:7]
	v_pk_mov_b32 v[10:11], v[12:13], v[12:13] op_sel:[0,1]
	s_andn2_b64 exec, exec, s[6:7]
	s_cbranch_execnz .LBB7_650
	s_branch .LBB7_562
.LBB7_651:
	s_mov_b64 s[6:7], 0
.LBB7_652:
	s_and_b64 vcc, exec, s[6:7]
	s_cbranch_vccz .LBB7_679
; %bb.653:
	v_readfirstlane_b32 s4, v33
	v_cmp_eq_u32_e64 s[4:5], s4, v33
	s_waitcnt vmcnt(0)
	v_pk_mov_b32 v[8:9], 0, 0
	s_and_saveexec_b64 s[6:7], s[4:5]
	s_cbranch_execz .LBB7_659
; %bb.654:
	v_mov_b32_e32 v2, 0
	global_load_dwordx2 v[6:7], v2, s[8:9] offset:24 glc
	s_waitcnt vmcnt(0)
	buffer_invl2
	buffer_wbinvl1_vol
	global_load_dwordx2 v[4:5], v2, s[8:9] offset:40
	global_load_dwordx2 v[8:9], v2, s[8:9]
	s_waitcnt vmcnt(1)
	v_and_b32_e32 v3, v4, v6
	v_and_b32_e32 v4, v5, v7
	v_mul_lo_u32 v4, v4, 24
	v_mul_hi_u32 v5, v3, 24
	v_mul_lo_u32 v3, v3, 24
	v_add_u32_e32 v5, v5, v4
	s_waitcnt vmcnt(0)
	v_add_co_u32_e32 v4, vcc, v8, v3
	v_addc_co_u32_e32 v5, vcc, v9, v5, vcc
	global_load_dwordx2 v[4:5], v[4:5], off glc
	s_waitcnt vmcnt(0)
	global_atomic_cmpswap_x2 v[8:9], v2, v[4:7], s[8:9] offset:24 glc
	s_waitcnt vmcnt(0)
	buffer_invl2
	buffer_wbinvl1_vol
	v_cmp_ne_u64_e32 vcc, v[8:9], v[6:7]
	s_and_saveexec_b64 s[10:11], vcc
	s_cbranch_execz .LBB7_658
; %bb.655:
	s_mov_b64 s[12:13], 0
.LBB7_656:                              ; =>This Inner Loop Header: Depth=1
	s_sleep 1
	global_load_dwordx2 v[4:5], v2, s[8:9] offset:40
	global_load_dwordx2 v[10:11], v2, s[8:9]
	v_pk_mov_b32 v[6:7], v[8:9], v[8:9] op_sel:[0,1]
	s_waitcnt vmcnt(1)
	v_and_b32_e32 v4, v4, v6
	v_and_b32_e32 v3, v5, v7
	s_waitcnt vmcnt(0)
	v_mad_u64_u32 v[4:5], s[14:15], v4, 24, v[10:11]
	v_mov_b32_e32 v8, v5
	v_mad_u64_u32 v[8:9], s[14:15], v3, 24, v[8:9]
	v_mov_b32_e32 v5, v8
	global_load_dwordx2 v[4:5], v[4:5], off glc
	s_waitcnt vmcnt(0)
	global_atomic_cmpswap_x2 v[8:9], v2, v[4:7], s[8:9] offset:24 glc
	s_waitcnt vmcnt(0)
	buffer_invl2
	buffer_wbinvl1_vol
	v_cmp_eq_u64_e32 vcc, v[8:9], v[6:7]
	s_or_b64 s[12:13], vcc, s[12:13]
	s_andn2_b64 exec, exec, s[12:13]
	s_cbranch_execnz .LBB7_656
; %bb.657:
	s_or_b64 exec, exec, s[12:13]
.LBB7_658:
	s_or_b64 exec, exec, s[10:11]
.LBB7_659:
	s_or_b64 exec, exec, s[6:7]
	v_mov_b32_e32 v2, 0
	global_load_dwordx2 v[10:11], v2, s[8:9] offset:40
	global_load_dwordx4 v[4:7], v2, s[8:9]
	v_readfirstlane_b32 s6, v8
	v_readfirstlane_b32 s7, v9
	s_mov_b64 s[10:11], exec
	s_waitcnt vmcnt(1)
	v_readfirstlane_b32 s12, v10
	v_readfirstlane_b32 s13, v11
	s_and_b64 s[12:13], s[6:7], s[12:13]
	s_mul_i32 s14, s13, 24
	s_mul_hi_u32 s15, s12, 24
	s_mul_i32 s16, s12, 24
	s_add_i32 s14, s15, s14
	v_mov_b32_e32 v3, s14
	s_waitcnt vmcnt(0)
	v_add_co_u32_e32 v8, vcc, s16, v4
	v_addc_co_u32_e32 v9, vcc, v5, v3, vcc
	s_and_saveexec_b64 s[14:15], s[4:5]
	s_cbranch_execz .LBB7_661
; %bb.660:
	v_pk_mov_b32 v[10:11], s[10:11], s[10:11] op_sel:[0,1]
	v_mov_b32_e32 v12, 2
	v_mov_b32_e32 v13, 1
	global_store_dwordx4 v[8:9], v[10:13], off offset:8
.LBB7_661:
	s_or_b64 exec, exec, s[14:15]
	s_lshl_b64 s[10:11], s[12:13], 12
	v_mov_b32_e32 v3, s11
	v_add_co_u32_e32 v6, vcc, s10, v6
	v_addc_co_u32_e32 v7, vcc, v7, v3, vcc
	s_movk_i32 s10, 0xff1d
	s_mov_b32 s12, 0
	v_and_or_b32 v0, v0, s10, 34
	v_mov_b32_e32 v3, v2
	v_readfirstlane_b32 s10, v6
	v_readfirstlane_b32 s11, v7
	s_mov_b32 s13, s12
	s_mov_b32 s14, s12
	;; [unrolled: 1-line block ×3, first 2 shown]
	s_nop 1
	global_store_dwordx4 v32, v[0:3], s[10:11]
	s_nop 0
	v_pk_mov_b32 v[0:1], s[12:13], s[12:13] op_sel:[0,1]
	v_pk_mov_b32 v[2:3], s[14:15], s[14:15] op_sel:[0,1]
	global_store_dwordx4 v32, v[0:3], s[10:11] offset:16
	global_store_dwordx4 v32, v[0:3], s[10:11] offset:32
	;; [unrolled: 1-line block ×3, first 2 shown]
	s_and_saveexec_b64 s[10:11], s[4:5]
	s_cbranch_execz .LBB7_669
; %bb.662:
	v_mov_b32_e32 v6, 0
	global_load_dwordx2 v[12:13], v6, s[8:9] offset:32 glc
	global_load_dwordx2 v[0:1], v6, s[8:9] offset:40
	v_mov_b32_e32 v10, s6
	v_mov_b32_e32 v11, s7
	s_waitcnt vmcnt(0)
	v_readfirstlane_b32 s12, v0
	v_readfirstlane_b32 s13, v1
	s_and_b64 s[12:13], s[12:13], s[6:7]
	s_mul_i32 s13, s13, 24
	s_mul_hi_u32 s14, s12, 24
	s_mul_i32 s12, s12, 24
	s_add_i32 s13, s14, s13
	v_mov_b32_e32 v0, s13
	v_add_co_u32_e32 v4, vcc, s12, v4
	v_addc_co_u32_e32 v5, vcc, v5, v0, vcc
	global_store_dwordx2 v[4:5], v[12:13], off
	buffer_wbl2
	s_waitcnt vmcnt(0)
	global_atomic_cmpswap_x2 v[2:3], v6, v[10:13], s[8:9] offset:32 glc
	s_waitcnt vmcnt(0)
	v_cmp_ne_u64_e32 vcc, v[2:3], v[12:13]
	s_and_saveexec_b64 s[12:13], vcc
	s_cbranch_execz .LBB7_665
; %bb.663:
	s_mov_b64 s[14:15], 0
.LBB7_664:                              ; =>This Inner Loop Header: Depth=1
	s_sleep 1
	global_store_dwordx2 v[4:5], v[2:3], off
	v_mov_b32_e32 v0, s6
	v_mov_b32_e32 v1, s7
	buffer_wbl2
	s_waitcnt vmcnt(0)
	global_atomic_cmpswap_x2 v[0:1], v6, v[0:3], s[8:9] offset:32 glc
	s_waitcnt vmcnt(0)
	v_cmp_eq_u64_e32 vcc, v[0:1], v[2:3]
	s_or_b64 s[14:15], vcc, s[14:15]
	v_pk_mov_b32 v[2:3], v[0:1], v[0:1] op_sel:[0,1]
	s_andn2_b64 exec, exec, s[14:15]
	s_cbranch_execnz .LBB7_664
.LBB7_665:
	s_or_b64 exec, exec, s[12:13]
	v_mov_b32_e32 v3, 0
	global_load_dwordx2 v[0:1], v3, s[8:9] offset:16
	s_mov_b64 s[12:13], exec
	v_mbcnt_lo_u32_b32 v2, s12, 0
	v_mbcnt_hi_u32_b32 v2, s13, v2
	v_cmp_eq_u32_e32 vcc, 0, v2
	s_and_saveexec_b64 s[14:15], vcc
	s_cbranch_execz .LBB7_667
; %bb.666:
	s_bcnt1_i32_b64 s12, s[12:13]
	v_mov_b32_e32 v2, s12
	buffer_wbl2
	s_waitcnt vmcnt(0)
	global_atomic_add_x2 v[0:1], v[2:3], off offset:8
.LBB7_667:
	s_or_b64 exec, exec, s[14:15]
	s_waitcnt vmcnt(0)
	global_load_dwordx2 v[2:3], v[0:1], off offset:16
	s_waitcnt vmcnt(0)
	v_cmp_eq_u64_e32 vcc, 0, v[2:3]
	s_cbranch_vccnz .LBB7_669
; %bb.668:
	global_load_dword v0, v[0:1], off offset:24
	v_mov_b32_e32 v1, 0
	buffer_wbl2
	s_waitcnt vmcnt(0)
	global_store_dwordx2 v[2:3], v[0:1], off
	v_and_b32_e32 v0, 0xffffff, v0
	v_readfirstlane_b32 m0, v0
	s_sendmsg sendmsg(MSG_INTERRUPT)
.LBB7_669:
	s_or_b64 exec, exec, s[10:11]
	s_branch .LBB7_671
.LBB7_670:
	s_branch .LBB7_675
.LBB7_671:                              ; =>This Inner Loop Header: Depth=1
	v_mov_b32_e32 v0, 1
	s_and_saveexec_b64 s[10:11], s[4:5]
	s_cbranch_execz .LBB7_673
; %bb.672:                              ;   in Loop: Header=BB7_671 Depth=1
	global_load_dword v0, v[8:9], off offset:20 glc
	s_waitcnt vmcnt(0)
	buffer_invl2
	buffer_wbinvl1_vol
	v_and_b32_e32 v0, 1, v0
.LBB7_673:                              ;   in Loop: Header=BB7_671 Depth=1
	s_or_b64 exec, exec, s[10:11]
	v_readfirstlane_b32 s10, v0
	s_cmp_eq_u32 s10, 0
	s_cbranch_scc1 .LBB7_670
; %bb.674:                              ;   in Loop: Header=BB7_671 Depth=1
	s_sleep 1
	s_cbranch_execnz .LBB7_671
.LBB7_675:
	s_and_saveexec_b64 s[10:11], s[4:5]
	s_cbranch_execz .LBB7_678
; %bb.676:
	v_mov_b32_e32 v6, 0
	global_load_dwordx2 v[4:5], v6, s[8:9] offset:40
	global_load_dwordx2 v[8:9], v6, s[8:9] offset:24 glc
	global_load_dwordx2 v[10:11], v6, s[8:9]
	v_mov_b32_e32 v1, s7
	s_mov_b64 s[4:5], 0
	s_waitcnt vmcnt(2)
	v_add_co_u32_e32 v3, vcc, 1, v4
	v_addc_co_u32_e32 v7, vcc, 0, v5, vcc
	v_add_co_u32_e32 v0, vcc, s6, v3
	v_addc_co_u32_e32 v1, vcc, v7, v1, vcc
	v_cmp_eq_u64_e32 vcc, 0, v[0:1]
	v_cndmask_b32_e32 v1, v1, v7, vcc
	v_cndmask_b32_e32 v0, v0, v3, vcc
	v_and_b32_e32 v3, v1, v5
	v_and_b32_e32 v4, v0, v4
	v_mul_lo_u32 v3, v3, 24
	v_mul_hi_u32 v5, v4, 24
	v_mul_lo_u32 v4, v4, 24
	v_add_u32_e32 v3, v5, v3
	s_waitcnt vmcnt(0)
	v_add_co_u32_e32 v4, vcc, v10, v4
	v_addc_co_u32_e32 v5, vcc, v11, v3, vcc
	v_mov_b32_e32 v2, v8
	global_store_dwordx2 v[4:5], v[8:9], off
	v_mov_b32_e32 v3, v9
	buffer_wbl2
	s_waitcnt vmcnt(0)
	global_atomic_cmpswap_x2 v[2:3], v6, v[0:3], s[8:9] offset:24 glc
	s_waitcnt vmcnt(0)
	v_cmp_ne_u64_e32 vcc, v[2:3], v[8:9]
	s_and_b64 exec, exec, vcc
	s_cbranch_execz .LBB7_678
.LBB7_677:                              ; =>This Inner Loop Header: Depth=1
	s_sleep 1
	global_store_dwordx2 v[4:5], v[2:3], off
	buffer_wbl2
	s_waitcnt vmcnt(0)
	global_atomic_cmpswap_x2 v[8:9], v6, v[0:3], s[8:9] offset:24 glc
	s_waitcnt vmcnt(0)
	v_cmp_eq_u64_e32 vcc, v[8:9], v[2:3]
	s_or_b64 s[4:5], vcc, s[4:5]
	v_pk_mov_b32 v[2:3], v[8:9], v[8:9] op_sel:[0,1]
	s_andn2_b64 exec, exec, s[4:5]
	s_cbranch_execnz .LBB7_677
.LBB7_678:
	s_or_b64 exec, exec, s[10:11]
	v_readlane_b32 s4, v70, 10
	v_readlane_b32 s58, v70, 8
	;; [unrolled: 1-line block ×4, first 2 shown]
.LBB7_679:
	s_mov_b64 s[26:27], exec
	s_trap 2
	s_branch .LBB7_63
.LBB7_680:
	v_writelane_b32 v70, s4, 14
	v_writelane_b32 v70, s5, 15
	v_readlane_b32 s4, v70, 10
	v_readlane_b32 s5, v70, 11
	s_add_u32 s8, s4, 0x78
	s_addc_u32 s9, s5, 0
	v_mov_b32_e32 v0, v40
	v_mov_b32_e32 v1, v41
	s_getpc_b64 s[4:5]
	s_add_u32 s4, s4, __ockl_dm_alloc@rel32@lo+4
	s_addc_u32 s5, s5, __ockl_dm_alloc@rel32@hi+12
	s_swappc_b64 s[30:31], s[4:5]
	s_mov_b64 s[6:7], 0
	v_cmp_ne_u64_e32 vcc, 0, v[0:1]
	s_and_saveexec_b64 s[4:5], vcc
	s_xor_b64 s[24:25], exec, s[4:5]
	s_cbranch_execnz .LBB7_683
.LBB7_681:
	s_or_saveexec_b64 s[24:25], s[24:25]
	v_readlane_b32 s4, v70, 2
	v_readlane_b32 s5, v70, 3
	s_xor_b64 exec, exec, s[24:25]
	s_cbranch_execnz .LBB7_700
.LBB7_682:
	s_or_b64 exec, exec, s[24:25]
	v_readlane_b32 s6, v70, 2
	v_readlane_b32 s7, v70, 3
	s_andn2_b64 s[6:7], s[6:7], exec
	s_and_b64 s[4:5], s[4:5], exec
	s_or_b64 s[10:11], s[6:7], s[4:5]
	v_readlane_b32 s4, v70, 14
                                        ; implicit-def: $vgpr60_vgpr61
                                        ; implicit-def: $vgpr64_vgpr65
                                        ; implicit-def: $vgpr44_vgpr45
                                        ; implicit-def: $vgpr46_vgpr47
                                        ; implicit-def: $vgpr42
                                        ; implicit-def: $vgpr43
	v_readlane_b32 s5, v70, 15
	s_branch .LBB7_189
.LBB7_683:
	v_mov_b32_e32 v2, 0
	v_mov_b32_e32 v3, v2
	v_pk_mov_b32 v[4:5], v[0:1], v[0:1] op_sel:[0,1]
.LBB7_684:                              ; =>This Inner Loop Header: Depth=1
	v_add_co_u32_e32 v66, vcc, 1, v66
	v_addc_co_u32_e32 v67, vcc, 0, v67, vcc
	global_store_dwordx2 v[4:5], v[2:3], off
	v_add_co_u32_e32 v4, vcc, 8, v4
	v_cmp_eq_u64_e64 s[4:5], 0, v[66:67]
	s_or_b64 s[6:7], s[4:5], s[6:7]
	v_addc_co_u32_e32 v5, vcc, 0, v5, vcc
	s_andn2_b64 exec, exec, s[6:7]
	s_cbranch_execnz .LBB7_684
; %bb.685:
	s_or_b64 exec, exec, s[6:7]
	v_cmp_lt_i64_e64 s[4:5], v[60:61], v[64:65]
	s_and_saveexec_b64 s[10:11], s[4:5]
	s_cbranch_execz .LBB7_816
; %bb.686:
	s_mov_b64 s[12:13], 0
	v_pk_mov_b32 v[2:3], v[44:45], v[44:45] op_sel:[0,1]
	v_pk_mov_b32 v[6:7], v[46:47], v[46:47] op_sel:[0,1]
	s_branch .LBB7_688
.LBB7_687:                              ;   in Loop: Header=BB7_688 Depth=1
	s_or_b64 exec, exec, s[14:15]
	s_and_b64 s[6:7], exec, vcc
	v_add_co_u32_e32 v2, vcc, 0x80, v2
	s_or_b64 s[12:13], s[6:7], s[12:13]
	v_addc_co_u32_e32 v3, vcc, 0, v3, vcc
	v_pk_mov_b32 v[6:7], v[4:5], v[4:5] op_sel:[0,1]
	s_andn2_b64 exec, exec, s[12:13]
	s_cbranch_execz .LBB7_816
.LBB7_688:                              ; =>This Loop Header: Depth=1
                                        ;     Child Loop BB7_691 Depth 2
                                        ;       Child Loop BB7_694 Depth 3
                                        ;       Child Loop BB7_699 Depth 3
	v_add_co_u32_e32 v4, vcc, 0x80, v6
	v_addc_co_u32_e32 v5, vcc, 0, v7, vcc
	v_sub_co_u32_e32 v8, vcc, v42, v4
	v_subb_co_u32_e32 v9, vcc, v43, v5, vcc
	v_cmp_lt_i64_e64 s[6:7], 0, v[8:9]
	v_add_co_u32_e64 v10, s[8:9], 4, v6
	v_cmp_gt_i64_e32 vcc, 1, v[8:9]
	v_cndmask_b32_e64 v9, v43, v5, s[6:7]
	v_cndmask_b32_e64 v8, v42, v4, s[6:7]
	v_addc_co_u32_e64 v11, s[8:9], 0, v7, s[8:9]
	v_cmp_ne_u64_e64 s[6:7], v[6:7], v[8:9]
	v_cmp_ne_u64_e64 s[8:9], v[10:11], v[8:9]
	s_and_b64 s[6:7], s[6:7], s[8:9]
	s_and_saveexec_b64 s[14:15], s[6:7]
	s_cbranch_execz .LBB7_687
; %bb.689:                              ;   in Loop: Header=BB7_688 Depth=1
	s_mov_b64 s[16:17], -4
	s_mov_b64 s[18:19], 0
	v_pk_mov_b32 v[12:13], v[6:7], v[6:7] op_sel:[0,1]
	v_pk_mov_b32 v[16:17], v[2:3], v[2:3] op_sel:[0,1]
	s_branch .LBB7_691
.LBB7_690:                              ;   in Loop: Header=BB7_691 Depth=2
	s_or_b64 exec, exec, s[8:9]
	v_add_co_u32_e64 v10, s[6:7], 4, v10
	v_addc_co_u32_e64 v11, s[6:7], 0, v11, s[6:7]
	v_add_co_u32_e64 v12, s[6:7], 4, v12
	v_addc_co_u32_e64 v13, s[6:7], 0, v13, s[6:7]
	s_add_u32 s16, s16, -4
	s_addc_u32 s17, s17, -1
	v_cmp_eq_u64_e64 s[6:7], v[10:11], v[8:9]
	s_or_b64 s[18:19], s[6:7], s[18:19]
	v_pk_mov_b32 v[16:17], v[14:15], v[14:15] op_sel:[0,1]
	s_waitcnt vmcnt(0)
	global_store_dword v[20:21], v23, off
	global_store_dword v[18:19], v22, off
	s_andn2_b64 exec, exec, s[18:19]
	s_cbranch_execz .LBB7_687
.LBB7_691:                              ;   Parent Loop BB7_688 Depth=1
                                        ; =>  This Loop Header: Depth=2
                                        ;       Child Loop BB7_694 Depth 3
                                        ;       Child Loop BB7_699 Depth 3
	global_load_dword v22, v[16:17], off offset:4
	global_load_dword v18, v[2:3], off
	global_load_dword v23, v[10:11], off
	v_add_co_u32_e64 v14, s[6:7], 4, v16
	v_addc_co_u32_e64 v15, s[6:7], 0, v17, s[6:7]
                                        ; implicit-def: $vgpr20_vgpr21
	s_waitcnt vmcnt(1)
	v_cmp_le_i32_e64 s[6:7], v22, v18
                                        ; implicit-def: $vgpr18_vgpr19
	s_and_saveexec_b64 s[8:9], s[6:7]
	s_xor_b64 s[20:21], exec, s[8:9]
	s_cbranch_execz .LBB7_697
; %bb.692:                              ;   in Loop: Header=BB7_691 Depth=2
	global_load_dword v20, v[16:17], off
	v_pk_mov_b32 v[18:19], v[14:15], v[14:15] op_sel:[0,1]
	s_waitcnt vmcnt(0)
	v_cmp_gt_i32_e64 s[6:7], v22, v20
	v_pk_mov_b32 v[20:21], v[10:11], v[10:11] op_sel:[0,1]
	s_and_saveexec_b64 s[22:23], s[6:7]
	s_cbranch_execz .LBB7_696
; %bb.693:                              ;   in Loop: Header=BB7_691 Depth=2
	s_mov_b64 s[26:27], 0
	s_mov_b64 s[28:29], 0
.LBB7_694:                              ;   Parent Loop BB7_688 Depth=1
                                        ;     Parent Loop BB7_691 Depth=2
                                        ; =>    This Inner Loop Header: Depth=3
	v_mov_b32_e32 v20, s29
	v_add_co_u32_e64 v18, s[6:7], s28, v10
	v_addc_co_u32_e64 v19, s[6:7], v11, v20, s[6:7]
	global_load_dword v21, v[18:19], off offset:-4
	v_add_co_u32_e64 v24, s[6:7], s28, v16
	v_addc_co_u32_e64 v25, s[6:7], v17, v20, s[6:7]
	s_add_u32 s28, s28, -4
	s_addc_u32 s29, s29, -1
	v_add_co_u32_e64 v28, s[6:7], s28, v16
	v_add_co_u32_e64 v20, s[8:9], s28, v10
	s_waitcnt vmcnt(0)
	global_store_dword v[18:19], v21, off
	global_load_dwordx2 v[26:27], v[24:25], off offset:-4
	v_mov_b32_e32 v19, s29
	v_mov_b32_e32 v18, s29
	v_addc_co_u32_e64 v19, s[6:7], v17, v19, s[6:7]
	v_addc_co_u32_e64 v21, s[8:9], v11, v18, s[8:9]
	v_add_co_u32_e64 v18, s[6:7], 4, v28
	v_addc_co_u32_e64 v19, s[6:7], 0, v19, s[6:7]
	s_waitcnt vmcnt(0)
	v_cmp_le_i32_e64 s[6:7], v22, v26
	s_or_b64 s[26:27], s[6:7], s[26:27]
	global_store_dword v[24:25], v27, off offset:4
	s_andn2_b64 exec, exec, s[26:27]
	s_cbranch_execnz .LBB7_694
; %bb.695:                              ;   in Loop: Header=BB7_691 Depth=2
	s_or_b64 exec, exec, s[26:27]
.LBB7_696:                              ;   in Loop: Header=BB7_691 Depth=2
	s_or_b64 exec, exec, s[22:23]
                                        ; implicit-def: $vgpr16_vgpr17
.LBB7_697:                              ;   in Loop: Header=BB7_691 Depth=2
	s_andn2_saveexec_b64 s[8:9], s[20:21]
	s_cbranch_execz .LBB7_690
; %bb.698:                              ;   in Loop: Header=BB7_691 Depth=2
	s_mov_b64 s[20:21], 0
.LBB7_699:                              ;   Parent Loop BB7_688 Depth=1
                                        ;     Parent Loop BB7_691 Depth=2
                                        ; =>    This Inner Loop Header: Depth=3
	v_mov_b32_e32 v20, s21
	v_add_co_u32_e64 v18, s[6:7], s20, v12
	v_addc_co_u32_e64 v19, s[6:7], v13, v20, s[6:7]
	global_load_dword v21, v[18:19], off
	v_add_co_u32_e64 v24, s[6:7], s20, v16
	v_addc_co_u32_e64 v25, s[6:7], v17, v20, s[6:7]
	s_add_u32 s20, s20, -4
	s_addc_u32 s21, s21, -1
	s_cmp_eq_u64 s[16:17], s[20:21]
	s_waitcnt vmcnt(0)
	global_store_dword v[18:19], v21, off offset:4
	global_load_dword v26, v[24:25], off
	v_pk_mov_b32 v[18:19], v[2:3], v[2:3] op_sel:[0,1]
	v_pk_mov_b32 v[20:21], v[6:7], v[6:7] op_sel:[0,1]
	s_waitcnt vmcnt(0)
	global_store_dword v[24:25], v26, off offset:4
	s_cbranch_scc0 .LBB7_699
	s_branch .LBB7_690
.LBB7_700:
	v_readlane_b32 s4, v70, 10
	v_readlane_b32 s5, v70, 11
	s_add_u32 s8, s4, 0x78
	s_addc_u32 s9, s5, 0
	s_getpc_b64 s[4:5]
	s_add_u32 s4, s4, __ockl_dm_dealloc@rel32@lo+4
	s_addc_u32 s5, s5, __ockl_dm_dealloc@rel32@hi+12
	s_swappc_b64 s[30:31], s[4:5]
	s_load_dwordx2 s[6:7], s[98:99], 0x50
	v_mbcnt_lo_u32_b32 v0, -1, 0
	v_mbcnt_hi_u32_b32 v33, -1, v0
	v_readfirstlane_b32 s4, v33
	v_cmp_eq_u32_e64 s[4:5], s4, v33
	v_pk_mov_b32 v[6:7], 0, 0
	s_and_saveexec_b64 s[8:9], s[4:5]
	s_cbranch_execz .LBB7_706
; %bb.701:
	v_mov_b32_e32 v0, 0
	s_waitcnt lgkmcnt(0)
	global_load_dwordx2 v[4:5], v0, s[6:7] offset:24 glc
	s_waitcnt vmcnt(0)
	buffer_invl2
	buffer_wbinvl1_vol
	global_load_dwordx2 v[2:3], v0, s[6:7] offset:40
	global_load_dwordx2 v[6:7], v0, s[6:7]
	s_waitcnt vmcnt(1)
	v_and_b32_e32 v1, v2, v4
	v_and_b32_e32 v2, v3, v5
	v_mul_lo_u32 v2, v2, 24
	v_mul_hi_u32 v3, v1, 24
	v_mul_lo_u32 v1, v1, 24
	v_add_u32_e32 v3, v3, v2
	s_waitcnt vmcnt(0)
	v_add_co_u32_e32 v2, vcc, v6, v1
	v_addc_co_u32_e32 v3, vcc, v7, v3, vcc
	global_load_dwordx2 v[2:3], v[2:3], off glc
	s_waitcnt vmcnt(0)
	global_atomic_cmpswap_x2 v[6:7], v0, v[2:5], s[6:7] offset:24 glc
	s_waitcnt vmcnt(0)
	buffer_invl2
	buffer_wbinvl1_vol
	v_cmp_ne_u64_e32 vcc, v[6:7], v[4:5]
	s_and_saveexec_b64 s[10:11], vcc
	s_cbranch_execz .LBB7_705
; %bb.702:
	s_mov_b64 s[12:13], 0
.LBB7_703:                              ; =>This Inner Loop Header: Depth=1
	s_sleep 1
	global_load_dwordx2 v[2:3], v0, s[6:7] offset:40
	global_load_dwordx2 v[8:9], v0, s[6:7]
	v_pk_mov_b32 v[4:5], v[6:7], v[6:7] op_sel:[0,1]
	s_waitcnt vmcnt(1)
	v_and_b32_e32 v2, v2, v4
	v_and_b32_e32 v1, v3, v5
	s_waitcnt vmcnt(0)
	v_mad_u64_u32 v[2:3], s[14:15], v2, 24, v[8:9]
	v_mov_b32_e32 v6, v3
	v_mad_u64_u32 v[6:7], s[14:15], v1, 24, v[6:7]
	v_mov_b32_e32 v3, v6
	global_load_dwordx2 v[2:3], v[2:3], off glc
	s_waitcnt vmcnt(0)
	global_atomic_cmpswap_x2 v[6:7], v0, v[2:5], s[6:7] offset:24 glc
	s_waitcnt vmcnt(0)
	buffer_invl2
	buffer_wbinvl1_vol
	v_cmp_eq_u64_e32 vcc, v[6:7], v[4:5]
	s_or_b64 s[12:13], vcc, s[12:13]
	s_andn2_b64 exec, exec, s[12:13]
	s_cbranch_execnz .LBB7_703
; %bb.704:
	s_or_b64 exec, exec, s[12:13]
.LBB7_705:
	s_or_b64 exec, exec, s[10:11]
.LBB7_706:
	s_or_b64 exec, exec, s[8:9]
	v_mov_b32_e32 v5, 0
	s_waitcnt lgkmcnt(0)
	global_load_dwordx2 v[8:9], v5, s[6:7] offset:40
	global_load_dwordx4 v[0:3], v5, s[6:7]
	v_readfirstlane_b32 s8, v6
	v_readfirstlane_b32 s9, v7
	s_mov_b64 s[10:11], exec
	s_waitcnt vmcnt(1)
	v_readfirstlane_b32 s12, v8
	v_readfirstlane_b32 s13, v9
	s_and_b64 s[12:13], s[8:9], s[12:13]
	s_mul_i32 s14, s13, 24
	s_mul_hi_u32 s15, s12, 24
	s_mul_i32 s16, s12, 24
	s_add_i32 s14, s15, s14
	v_mov_b32_e32 v4, s14
	s_waitcnt vmcnt(0)
	v_add_co_u32_e32 v8, vcc, s16, v0
	v_addc_co_u32_e32 v9, vcc, v1, v4, vcc
	s_and_saveexec_b64 s[14:15], s[4:5]
	s_cbranch_execz .LBB7_708
; %bb.707:
	v_pk_mov_b32 v[10:11], s[10:11], s[10:11] op_sel:[0,1]
	v_mov_b32_e32 v12, 2
	v_mov_b32_e32 v13, 1
	global_store_dwordx4 v[8:9], v[10:13], off offset:8
.LBB7_708:
	s_or_b64 exec, exec, s[14:15]
	s_lshl_b64 s[10:11], s[12:13], 12
	v_mov_b32_e32 v4, s11
	v_add_co_u32_e32 v2, vcc, s10, v2
	v_addc_co_u32_e32 v3, vcc, v3, v4, vcc
	s_mov_b32 s12, 0
	v_lshlrev_b32_e32 v32, 6, v33
	v_add_co_u32_e32 v10, vcc, v2, v32
	v_mov_b32_e32 v4, 33
	v_mov_b32_e32 v6, v5
	;; [unrolled: 1-line block ×3, first 2 shown]
	v_readfirstlane_b32 s10, v2
	v_readfirstlane_b32 s11, v3
	s_mov_b32 s13, s12
	v_addc_co_u32_e32 v11, vcc, 0, v3, vcc
	s_mov_b32 s14, s12
	s_mov_b32 s15, s12
	s_nop 0
	global_store_dwordx4 v32, v[4:7], s[10:11]
	v_pk_mov_b32 v[2:3], s[12:13], s[12:13] op_sel:[0,1]
	v_pk_mov_b32 v[4:5], s[14:15], s[14:15] op_sel:[0,1]
	global_store_dwordx4 v32, v[2:5], s[10:11] offset:16
	global_store_dwordx4 v32, v[2:5], s[10:11] offset:32
	;; [unrolled: 1-line block ×3, first 2 shown]
	s_and_saveexec_b64 s[10:11], s[4:5]
	s_cbranch_execz .LBB7_716
; %bb.709:
	v_mov_b32_e32 v6, 0
	global_load_dwordx2 v[14:15], v6, s[6:7] offset:32 glc
	global_load_dwordx2 v[2:3], v6, s[6:7] offset:40
	v_mov_b32_e32 v12, s8
	v_mov_b32_e32 v13, s9
	s_waitcnt vmcnt(0)
	v_and_b32_e32 v2, s8, v2
	v_and_b32_e32 v3, s9, v3
	v_mul_lo_u32 v3, v3, 24
	v_mul_hi_u32 v4, v2, 24
	v_mul_lo_u32 v2, v2, 24
	v_add_u32_e32 v3, v4, v3
	v_add_co_u32_e32 v4, vcc, v0, v2
	v_addc_co_u32_e32 v5, vcc, v1, v3, vcc
	global_store_dwordx2 v[4:5], v[14:15], off
	buffer_wbl2
	s_waitcnt vmcnt(0)
	global_atomic_cmpswap_x2 v[2:3], v6, v[12:15], s[6:7] offset:32 glc
	s_waitcnt vmcnt(0)
	v_cmp_ne_u64_e32 vcc, v[2:3], v[14:15]
	s_and_saveexec_b64 s[12:13], vcc
	s_cbranch_execz .LBB7_712
; %bb.710:
	s_mov_b64 s[14:15], 0
.LBB7_711:                              ; =>This Inner Loop Header: Depth=1
	s_sleep 1
	global_store_dwordx2 v[4:5], v[2:3], off
	v_mov_b32_e32 v0, s8
	v_mov_b32_e32 v1, s9
	buffer_wbl2
	s_waitcnt vmcnt(0)
	global_atomic_cmpswap_x2 v[0:1], v6, v[0:3], s[6:7] offset:32 glc
	s_waitcnt vmcnt(0)
	v_cmp_eq_u64_e32 vcc, v[0:1], v[2:3]
	s_or_b64 s[14:15], vcc, s[14:15]
	v_pk_mov_b32 v[2:3], v[0:1], v[0:1] op_sel:[0,1]
	s_andn2_b64 exec, exec, s[14:15]
	s_cbranch_execnz .LBB7_711
.LBB7_712:
	s_or_b64 exec, exec, s[12:13]
	v_mov_b32_e32 v3, 0
	global_load_dwordx2 v[0:1], v3, s[6:7] offset:16
	s_mov_b64 s[12:13], exec
	v_mbcnt_lo_u32_b32 v2, s12, 0
	v_mbcnt_hi_u32_b32 v2, s13, v2
	v_cmp_eq_u32_e32 vcc, 0, v2
	s_and_saveexec_b64 s[14:15], vcc
	s_cbranch_execz .LBB7_714
; %bb.713:
	s_bcnt1_i32_b64 s12, s[12:13]
	v_mov_b32_e32 v2, s12
	buffer_wbl2
	s_waitcnt vmcnt(0)
	global_atomic_add_x2 v[0:1], v[2:3], off offset:8
.LBB7_714:
	s_or_b64 exec, exec, s[14:15]
	s_waitcnt vmcnt(0)
	global_load_dwordx2 v[2:3], v[0:1], off offset:16
	s_waitcnt vmcnt(0)
	v_cmp_eq_u64_e32 vcc, 0, v[2:3]
	s_cbranch_vccnz .LBB7_716
; %bb.715:
	global_load_dword v0, v[0:1], off offset:24
	v_mov_b32_e32 v1, 0
	buffer_wbl2
	s_waitcnt vmcnt(0)
	global_store_dwordx2 v[2:3], v[0:1], off
	v_and_b32_e32 v0, 0xffffff, v0
	v_readfirstlane_b32 m0, v0
	s_sendmsg sendmsg(MSG_INTERRUPT)
.LBB7_716:
	s_or_b64 exec, exec, s[10:11]
	s_branch .LBB7_718
.LBB7_717:
	s_branch .LBB7_722
.LBB7_718:                              ; =>This Inner Loop Header: Depth=1
	v_mov_b32_e32 v0, 1
	s_and_saveexec_b64 s[10:11], s[4:5]
	s_cbranch_execz .LBB7_720
; %bb.719:                              ;   in Loop: Header=BB7_718 Depth=1
	global_load_dword v0, v[8:9], off offset:20 glc
	s_waitcnt vmcnt(0)
	buffer_invl2
	buffer_wbinvl1_vol
	v_and_b32_e32 v0, 1, v0
.LBB7_720:                              ;   in Loop: Header=BB7_718 Depth=1
	s_or_b64 exec, exec, s[10:11]
	v_readfirstlane_b32 s10, v0
	s_cmp_eq_u32 s10, 0
	s_cbranch_scc1 .LBB7_717
; %bb.721:                              ;   in Loop: Header=BB7_718 Depth=1
	s_sleep 1
	s_cbranch_execnz .LBB7_718
.LBB7_722:
	global_load_dwordx2 v[4:5], v[10:11], off
	s_and_saveexec_b64 s[10:11], s[4:5]
	s_cbranch_execz .LBB7_725
; %bb.723:
	v_mov_b32_e32 v8, 0
	global_load_dwordx2 v[6:7], v8, s[6:7] offset:40
	global_load_dwordx2 v[10:11], v8, s[6:7] offset:24 glc
	global_load_dwordx2 v[12:13], v8, s[6:7]
	v_mov_b32_e32 v1, s9
	s_mov_b64 s[4:5], 0
	s_waitcnt vmcnt(2)
	v_add_co_u32_e32 v3, vcc, 1, v6
	v_addc_co_u32_e32 v9, vcc, 0, v7, vcc
	v_add_co_u32_e32 v0, vcc, s8, v3
	v_addc_co_u32_e32 v1, vcc, v9, v1, vcc
	v_cmp_eq_u64_e32 vcc, 0, v[0:1]
	v_cndmask_b32_e32 v1, v1, v9, vcc
	v_cndmask_b32_e32 v0, v0, v3, vcc
	v_and_b32_e32 v3, v1, v7
	v_and_b32_e32 v6, v0, v6
	v_mul_lo_u32 v3, v3, 24
	v_mul_hi_u32 v7, v6, 24
	v_mul_lo_u32 v6, v6, 24
	v_add_u32_e32 v3, v7, v3
	s_waitcnt vmcnt(0)
	v_add_co_u32_e32 v6, vcc, v12, v6
	v_addc_co_u32_e32 v7, vcc, v13, v3, vcc
	v_mov_b32_e32 v2, v10
	global_store_dwordx2 v[6:7], v[10:11], off
	v_mov_b32_e32 v3, v11
	buffer_wbl2
	s_waitcnt vmcnt(0)
	global_atomic_cmpswap_x2 v[2:3], v8, v[0:3], s[6:7] offset:24 glc
	s_waitcnt vmcnt(0)
	v_cmp_ne_u64_e32 vcc, v[2:3], v[10:11]
	s_and_b64 exec, exec, vcc
	s_cbranch_execz .LBB7_725
.LBB7_724:                              ; =>This Inner Loop Header: Depth=1
	s_sleep 1
	global_store_dwordx2 v[6:7], v[2:3], off
	buffer_wbl2
	s_waitcnt vmcnt(0)
	global_atomic_cmpswap_x2 v[10:11], v8, v[0:3], s[6:7] offset:24 glc
	s_waitcnt vmcnt(0)
	v_cmp_eq_u64_e32 vcc, v[10:11], v[2:3]
	s_or_b64 s[4:5], vcc, s[4:5]
	v_pk_mov_b32 v[2:3], v[10:11], v[10:11] op_sel:[0,1]
	s_andn2_b64 exec, exec, s[4:5]
	s_cbranch_execnz .LBB7_724
.LBB7_725:
	s_or_b64 exec, exec, s[10:11]
	s_getpc_b64 s[8:9]
	s_add_u32 s8, s8, .str.19@rel32@lo+4
	s_addc_u32 s9, s9, .str.19@rel32@hi+12
	s_cmp_lg_u64 s[8:9], 0
	s_cbranch_scc0 .LBB7_862
; %bb.726:
	s_waitcnt vmcnt(0)
	v_and_b32_e32 v26, 2, v4
	v_mov_b32_e32 v29, 0
	v_and_b32_e32 v0, -3, v4
	v_mov_b32_e32 v1, v5
	s_mov_b64 s[10:11], 4
	v_mov_b32_e32 v8, 2
	v_mov_b32_e32 v9, 1
	s_branch .LBB7_728
.LBB7_727:                              ;   in Loop: Header=BB7_728 Depth=1
	s_or_b64 exec, exec, s[16:17]
	s_sub_u32 s10, s10, s12
	s_subb_u32 s11, s11, s13
	s_add_u32 s8, s8, s12
	s_addc_u32 s9, s9, s13
	s_cmp_lg_u64 s[10:11], 0
	s_cbranch_scc0 .LBB7_863
.LBB7_728:                              ; =>This Loop Header: Depth=1
                                        ;     Child Loop BB7_731 Depth 2
                                        ;     Child Loop BB7_739 Depth 2
	;; [unrolled: 1-line block ×11, first 2 shown]
	v_cmp_lt_u64_e64 s[4:5], s[10:11], 56
	s_and_b64 s[4:5], s[4:5], exec
	v_cmp_gt_u64_e64 s[4:5], s[10:11], 7
	s_cselect_b32 s13, s11, 0
	s_cselect_b32 s12, s10, 56
	s_and_b64 vcc, exec, s[4:5]
	s_cbranch_vccnz .LBB7_733
; %bb.729:                              ;   in Loop: Header=BB7_728 Depth=1
	s_mov_b64 s[4:5], 0
	s_cmp_eq_u64 s[10:11], 0
	s_waitcnt vmcnt(0)
	v_pk_mov_b32 v[2:3], 0, 0
	s_cbranch_scc1 .LBB7_732
; %bb.730:                              ;   in Loop: Header=BB7_728 Depth=1
	s_lshl_b64 s[14:15], s[12:13], 3
	s_mov_b64 s[16:17], 0
	v_pk_mov_b32 v[2:3], 0, 0
	s_mov_b64 s[18:19], s[8:9]
.LBB7_731:                              ;   Parent Loop BB7_728 Depth=1
                                        ; =>  This Inner Loop Header: Depth=2
	global_load_ubyte v6, v29, s[18:19]
	s_waitcnt vmcnt(0)
	v_and_b32_e32 v28, 0xffff, v6
	v_lshlrev_b64 v[6:7], s16, v[28:29]
	s_add_u32 s16, s16, 8
	s_addc_u32 s17, s17, 0
	s_add_u32 s18, s18, 1
	s_addc_u32 s19, s19, 0
	v_or_b32_e32 v2, v6, v2
	s_cmp_lg_u32 s14, s16
	v_or_b32_e32 v3, v7, v3
	s_cbranch_scc1 .LBB7_731
.LBB7_732:                              ;   in Loop: Header=BB7_728 Depth=1
	s_mov_b32 s18, 0
	s_branch .LBB7_734
.LBB7_733:                              ;   in Loop: Header=BB7_728 Depth=1
	s_mov_b64 s[4:5], -1
                                        ; implicit-def: $vgpr2_vgpr3
                                        ; implicit-def: $sgpr18
.LBB7_734:                              ;   in Loop: Header=BB7_728 Depth=1
	s_andn2_b64 vcc, exec, s[4:5]
	s_mov_b64 s[4:5], s[8:9]
	s_cbranch_vccnz .LBB7_736
; %bb.735:                              ;   in Loop: Header=BB7_728 Depth=1
	global_load_dwordx2 v[2:3], v29, s[8:9]
	s_add_i32 s18, s12, -8
	s_add_u32 s4, s8, 8
	s_addc_u32 s5, s9, 0
.LBB7_736:                              ;   in Loop: Header=BB7_728 Depth=1
	s_cmp_gt_u32 s18, 7
	s_cbranch_scc1 .LBB7_740
; %bb.737:                              ;   in Loop: Header=BB7_728 Depth=1
	s_cmp_eq_u32 s18, 0
	s_cbranch_scc1 .LBB7_741
; %bb.738:                              ;   in Loop: Header=BB7_728 Depth=1
	s_mov_b64 s[14:15], 0
	v_pk_mov_b32 v[10:11], 0, 0
	s_mov_b64 s[16:17], 0
.LBB7_739:                              ;   Parent Loop BB7_728 Depth=1
                                        ; =>  This Inner Loop Header: Depth=2
	s_add_u32 s20, s4, s16
	s_addc_u32 s21, s5, s17
	global_load_ubyte v6, v29, s[20:21]
	s_add_u32 s16, s16, 1
	s_addc_u32 s17, s17, 0
	s_waitcnt vmcnt(0)
	v_and_b32_e32 v28, 0xffff, v6
	v_lshlrev_b64 v[6:7], s14, v[28:29]
	s_add_u32 s14, s14, 8
	s_addc_u32 s15, s15, 0
	v_or_b32_e32 v10, v6, v10
	s_cmp_lg_u32 s18, s16
	v_or_b32_e32 v11, v7, v11
	s_cbranch_scc1 .LBB7_739
	s_branch .LBB7_742
.LBB7_740:                              ;   in Loop: Header=BB7_728 Depth=1
	s_mov_b64 s[14:15], -1
                                        ; implicit-def: $vgpr10_vgpr11
                                        ; implicit-def: $sgpr19
	s_branch .LBB7_743
.LBB7_741:                              ;   in Loop: Header=BB7_728 Depth=1
	v_pk_mov_b32 v[10:11], 0, 0
.LBB7_742:                              ;   in Loop: Header=BB7_728 Depth=1
	s_mov_b64 s[14:15], 0
	s_mov_b32 s19, 0
.LBB7_743:                              ;   in Loop: Header=BB7_728 Depth=1
	s_andn2_b64 vcc, exec, s[14:15]
	s_cbranch_vccnz .LBB7_745
; %bb.744:                              ;   in Loop: Header=BB7_728 Depth=1
	global_load_dwordx2 v[10:11], v29, s[4:5]
	s_add_i32 s19, s18, -8
	s_add_u32 s4, s4, 8
	s_addc_u32 s5, s5, 0
.LBB7_745:                              ;   in Loop: Header=BB7_728 Depth=1
	s_cmp_gt_u32 s19, 7
	s_cbranch_scc1 .LBB7_749
; %bb.746:                              ;   in Loop: Header=BB7_728 Depth=1
	s_cmp_eq_u32 s19, 0
	s_cbranch_scc1 .LBB7_750
; %bb.747:                              ;   in Loop: Header=BB7_728 Depth=1
	s_mov_b64 s[14:15], 0
	v_pk_mov_b32 v[12:13], 0, 0
	s_mov_b64 s[16:17], 0
.LBB7_748:                              ;   Parent Loop BB7_728 Depth=1
                                        ; =>  This Inner Loop Header: Depth=2
	s_add_u32 s20, s4, s16
	s_addc_u32 s21, s5, s17
	global_load_ubyte v6, v29, s[20:21]
	s_add_u32 s16, s16, 1
	s_addc_u32 s17, s17, 0
	s_waitcnt vmcnt(0)
	v_and_b32_e32 v28, 0xffff, v6
	v_lshlrev_b64 v[6:7], s14, v[28:29]
	s_add_u32 s14, s14, 8
	s_addc_u32 s15, s15, 0
	v_or_b32_e32 v12, v6, v12
	s_cmp_lg_u32 s19, s16
	v_or_b32_e32 v13, v7, v13
	s_cbranch_scc1 .LBB7_748
	s_branch .LBB7_751
.LBB7_749:                              ;   in Loop: Header=BB7_728 Depth=1
	s_mov_b64 s[14:15], -1
                                        ; implicit-def: $sgpr18
	s_branch .LBB7_752
.LBB7_750:                              ;   in Loop: Header=BB7_728 Depth=1
	v_pk_mov_b32 v[12:13], 0, 0
.LBB7_751:                              ;   in Loop: Header=BB7_728 Depth=1
	s_mov_b64 s[14:15], 0
	s_mov_b32 s18, 0
.LBB7_752:                              ;   in Loop: Header=BB7_728 Depth=1
	s_andn2_b64 vcc, exec, s[14:15]
	s_cbranch_vccnz .LBB7_754
; %bb.753:                              ;   in Loop: Header=BB7_728 Depth=1
	global_load_dwordx2 v[12:13], v29, s[4:5]
	s_add_i32 s18, s19, -8
	s_add_u32 s4, s4, 8
	s_addc_u32 s5, s5, 0
.LBB7_754:                              ;   in Loop: Header=BB7_728 Depth=1
	s_cmp_gt_u32 s18, 7
	s_cbranch_scc1 .LBB7_758
; %bb.755:                              ;   in Loop: Header=BB7_728 Depth=1
	s_cmp_eq_u32 s18, 0
	s_cbranch_scc1 .LBB7_759
; %bb.756:                              ;   in Loop: Header=BB7_728 Depth=1
	s_mov_b64 s[14:15], 0
	v_pk_mov_b32 v[14:15], 0, 0
	s_mov_b64 s[16:17], 0
.LBB7_757:                              ;   Parent Loop BB7_728 Depth=1
                                        ; =>  This Inner Loop Header: Depth=2
	s_add_u32 s20, s4, s16
	s_addc_u32 s21, s5, s17
	global_load_ubyte v6, v29, s[20:21]
	s_add_u32 s16, s16, 1
	s_addc_u32 s17, s17, 0
	s_waitcnt vmcnt(0)
	v_and_b32_e32 v28, 0xffff, v6
	v_lshlrev_b64 v[6:7], s14, v[28:29]
	s_add_u32 s14, s14, 8
	s_addc_u32 s15, s15, 0
	v_or_b32_e32 v14, v6, v14
	s_cmp_lg_u32 s18, s16
	v_or_b32_e32 v15, v7, v15
	s_cbranch_scc1 .LBB7_757
	s_branch .LBB7_760
.LBB7_758:                              ;   in Loop: Header=BB7_728 Depth=1
	s_mov_b64 s[14:15], -1
                                        ; implicit-def: $vgpr14_vgpr15
                                        ; implicit-def: $sgpr19
	s_branch .LBB7_761
.LBB7_759:                              ;   in Loop: Header=BB7_728 Depth=1
	v_pk_mov_b32 v[14:15], 0, 0
.LBB7_760:                              ;   in Loop: Header=BB7_728 Depth=1
	s_mov_b64 s[14:15], 0
	s_mov_b32 s19, 0
.LBB7_761:                              ;   in Loop: Header=BB7_728 Depth=1
	s_andn2_b64 vcc, exec, s[14:15]
	s_cbranch_vccnz .LBB7_763
; %bb.762:                              ;   in Loop: Header=BB7_728 Depth=1
	global_load_dwordx2 v[14:15], v29, s[4:5]
	s_add_i32 s19, s18, -8
	s_add_u32 s4, s4, 8
	s_addc_u32 s5, s5, 0
.LBB7_763:                              ;   in Loop: Header=BB7_728 Depth=1
	s_cmp_gt_u32 s19, 7
	s_cbranch_scc1 .LBB7_767
; %bb.764:                              ;   in Loop: Header=BB7_728 Depth=1
	s_cmp_eq_u32 s19, 0
	s_cbranch_scc1 .LBB7_768
; %bb.765:                              ;   in Loop: Header=BB7_728 Depth=1
	s_mov_b64 s[14:15], 0
	v_pk_mov_b32 v[16:17], 0, 0
	s_mov_b64 s[16:17], 0
.LBB7_766:                              ;   Parent Loop BB7_728 Depth=1
                                        ; =>  This Inner Loop Header: Depth=2
	s_add_u32 s20, s4, s16
	s_addc_u32 s21, s5, s17
	global_load_ubyte v6, v29, s[20:21]
	s_add_u32 s16, s16, 1
	s_addc_u32 s17, s17, 0
	s_waitcnt vmcnt(0)
	v_and_b32_e32 v28, 0xffff, v6
	v_lshlrev_b64 v[6:7], s14, v[28:29]
	s_add_u32 s14, s14, 8
	s_addc_u32 s15, s15, 0
	v_or_b32_e32 v16, v6, v16
	s_cmp_lg_u32 s19, s16
	v_or_b32_e32 v17, v7, v17
	s_cbranch_scc1 .LBB7_766
	s_branch .LBB7_769
.LBB7_767:                              ;   in Loop: Header=BB7_728 Depth=1
	s_mov_b64 s[14:15], -1
                                        ; implicit-def: $sgpr18
	s_branch .LBB7_770
.LBB7_768:                              ;   in Loop: Header=BB7_728 Depth=1
	v_pk_mov_b32 v[16:17], 0, 0
.LBB7_769:                              ;   in Loop: Header=BB7_728 Depth=1
	s_mov_b64 s[14:15], 0
	s_mov_b32 s18, 0
.LBB7_770:                              ;   in Loop: Header=BB7_728 Depth=1
	s_andn2_b64 vcc, exec, s[14:15]
	s_cbranch_vccnz .LBB7_772
; %bb.771:                              ;   in Loop: Header=BB7_728 Depth=1
	global_load_dwordx2 v[16:17], v29, s[4:5]
	s_add_i32 s18, s19, -8
	s_add_u32 s4, s4, 8
	s_addc_u32 s5, s5, 0
.LBB7_772:                              ;   in Loop: Header=BB7_728 Depth=1
	s_cmp_gt_u32 s18, 7
	s_cbranch_scc1 .LBB7_776
; %bb.773:                              ;   in Loop: Header=BB7_728 Depth=1
	s_cmp_eq_u32 s18, 0
	s_cbranch_scc1 .LBB7_777
; %bb.774:                              ;   in Loop: Header=BB7_728 Depth=1
	s_mov_b64 s[14:15], 0
	v_pk_mov_b32 v[18:19], 0, 0
	s_mov_b64 s[16:17], 0
.LBB7_775:                              ;   Parent Loop BB7_728 Depth=1
                                        ; =>  This Inner Loop Header: Depth=2
	s_add_u32 s20, s4, s16
	s_addc_u32 s21, s5, s17
	global_load_ubyte v6, v29, s[20:21]
	s_add_u32 s16, s16, 1
	s_addc_u32 s17, s17, 0
	s_waitcnt vmcnt(0)
	v_and_b32_e32 v28, 0xffff, v6
	v_lshlrev_b64 v[6:7], s14, v[28:29]
	s_add_u32 s14, s14, 8
	s_addc_u32 s15, s15, 0
	v_or_b32_e32 v18, v6, v18
	s_cmp_lg_u32 s18, s16
	v_or_b32_e32 v19, v7, v19
	s_cbranch_scc1 .LBB7_775
	s_branch .LBB7_778
.LBB7_776:                              ;   in Loop: Header=BB7_728 Depth=1
	s_mov_b64 s[14:15], -1
                                        ; implicit-def: $vgpr18_vgpr19
                                        ; implicit-def: $sgpr19
	s_branch .LBB7_779
.LBB7_777:                              ;   in Loop: Header=BB7_728 Depth=1
	v_pk_mov_b32 v[18:19], 0, 0
.LBB7_778:                              ;   in Loop: Header=BB7_728 Depth=1
	s_mov_b64 s[14:15], 0
	s_mov_b32 s19, 0
.LBB7_779:                              ;   in Loop: Header=BB7_728 Depth=1
	s_andn2_b64 vcc, exec, s[14:15]
	s_cbranch_vccnz .LBB7_781
; %bb.780:                              ;   in Loop: Header=BB7_728 Depth=1
	global_load_dwordx2 v[18:19], v29, s[4:5]
	s_add_i32 s19, s18, -8
	s_add_u32 s4, s4, 8
	s_addc_u32 s5, s5, 0
.LBB7_781:                              ;   in Loop: Header=BB7_728 Depth=1
	s_cmp_gt_u32 s19, 7
	s_cbranch_scc1 .LBB7_785
; %bb.782:                              ;   in Loop: Header=BB7_728 Depth=1
	s_cmp_eq_u32 s19, 0
	s_cbranch_scc1 .LBB7_786
; %bb.783:                              ;   in Loop: Header=BB7_728 Depth=1
	s_mov_b64 s[14:15], 0
	v_pk_mov_b32 v[20:21], 0, 0
	s_mov_b64 s[16:17], s[4:5]
.LBB7_784:                              ;   Parent Loop BB7_728 Depth=1
                                        ; =>  This Inner Loop Header: Depth=2
	global_load_ubyte v6, v29, s[16:17]
	s_add_i32 s19, s19, -1
	s_waitcnt vmcnt(0)
	v_and_b32_e32 v28, 0xffff, v6
	v_lshlrev_b64 v[6:7], s14, v[28:29]
	s_add_u32 s14, s14, 8
	s_addc_u32 s15, s15, 0
	s_add_u32 s16, s16, 1
	s_addc_u32 s17, s17, 0
	v_or_b32_e32 v20, v6, v20
	s_cmp_lg_u32 s19, 0
	v_or_b32_e32 v21, v7, v21
	s_cbranch_scc1 .LBB7_784
	s_branch .LBB7_787
.LBB7_785:                              ;   in Loop: Header=BB7_728 Depth=1
	s_mov_b64 s[14:15], -1
	s_branch .LBB7_788
.LBB7_786:                              ;   in Loop: Header=BB7_728 Depth=1
	v_pk_mov_b32 v[20:21], 0, 0
.LBB7_787:                              ;   in Loop: Header=BB7_728 Depth=1
	s_mov_b64 s[14:15], 0
.LBB7_788:                              ;   in Loop: Header=BB7_728 Depth=1
	s_andn2_b64 vcc, exec, s[14:15]
	s_cbranch_vccnz .LBB7_790
; %bb.789:                              ;   in Loop: Header=BB7_728 Depth=1
	global_load_dwordx2 v[20:21], v29, s[4:5]
.LBB7_790:                              ;   in Loop: Header=BB7_728 Depth=1
	v_readfirstlane_b32 s4, v33
	v_cmp_eq_u32_e64 s[4:5], s4, v33
	v_pk_mov_b32 v[6:7], 0, 0
	s_and_saveexec_b64 s[14:15], s[4:5]
	s_cbranch_execz .LBB7_796
; %bb.791:                              ;   in Loop: Header=BB7_728 Depth=1
	global_load_dwordx2 v[24:25], v29, s[6:7] offset:24 glc
	s_waitcnt vmcnt(0)
	buffer_invl2
	buffer_wbinvl1_vol
	global_load_dwordx2 v[6:7], v29, s[6:7] offset:40
	global_load_dwordx2 v[22:23], v29, s[6:7]
	s_waitcnt vmcnt(1)
	v_and_b32_e32 v6, v6, v24
	v_and_b32_e32 v7, v7, v25
	v_mul_lo_u32 v7, v7, 24
	v_mul_hi_u32 v27, v6, 24
	v_mul_lo_u32 v6, v6, 24
	v_add_u32_e32 v7, v27, v7
	s_waitcnt vmcnt(0)
	v_add_co_u32_e32 v6, vcc, v22, v6
	v_addc_co_u32_e32 v7, vcc, v23, v7, vcc
	global_load_dwordx2 v[22:23], v[6:7], off glc
	s_waitcnt vmcnt(0)
	global_atomic_cmpswap_x2 v[6:7], v29, v[22:25], s[6:7] offset:24 glc
	s_waitcnt vmcnt(0)
	buffer_invl2
	buffer_wbinvl1_vol
	v_cmp_ne_u64_e32 vcc, v[6:7], v[24:25]
	s_and_saveexec_b64 s[16:17], vcc
	s_cbranch_execz .LBB7_795
; %bb.792:                              ;   in Loop: Header=BB7_728 Depth=1
	s_mov_b64 s[18:19], 0
.LBB7_793:                              ;   Parent Loop BB7_728 Depth=1
                                        ; =>  This Inner Loop Header: Depth=2
	s_sleep 1
	global_load_dwordx2 v[22:23], v29, s[6:7] offset:40
	global_load_dwordx2 v[30:31], v29, s[6:7]
	v_pk_mov_b32 v[24:25], v[6:7], v[6:7] op_sel:[0,1]
	s_waitcnt vmcnt(1)
	v_and_b32_e32 v6, v22, v24
	s_waitcnt vmcnt(0)
	v_mad_u64_u32 v[6:7], s[20:21], v6, 24, v[30:31]
	v_and_b32_e32 v23, v23, v25
	v_mov_b32_e32 v22, v7
	v_mad_u64_u32 v[22:23], s[20:21], v23, 24, v[22:23]
	v_mov_b32_e32 v7, v22
	global_load_dwordx2 v[22:23], v[6:7], off glc
	s_waitcnt vmcnt(0)
	global_atomic_cmpswap_x2 v[6:7], v29, v[22:25], s[6:7] offset:24 glc
	s_waitcnt vmcnt(0)
	buffer_invl2
	buffer_wbinvl1_vol
	v_cmp_eq_u64_e32 vcc, v[6:7], v[24:25]
	s_or_b64 s[18:19], vcc, s[18:19]
	s_andn2_b64 exec, exec, s[18:19]
	s_cbranch_execnz .LBB7_793
; %bb.794:                              ;   in Loop: Header=BB7_728 Depth=1
	s_or_b64 exec, exec, s[18:19]
.LBB7_795:                              ;   in Loop: Header=BB7_728 Depth=1
	s_or_b64 exec, exec, s[16:17]
.LBB7_796:                              ;   in Loop: Header=BB7_728 Depth=1
	s_or_b64 exec, exec, s[14:15]
	global_load_dwordx2 v[30:31], v29, s[6:7] offset:40
	global_load_dwordx4 v[22:25], v29, s[6:7]
	v_readfirstlane_b32 s14, v6
	v_readfirstlane_b32 s15, v7
	s_mov_b64 s[16:17], exec
	s_waitcnt vmcnt(1)
	v_readfirstlane_b32 s18, v30
	v_readfirstlane_b32 s19, v31
	s_and_b64 s[18:19], s[14:15], s[18:19]
	s_mul_i32 s20, s19, 24
	s_mul_hi_u32 s21, s18, 24
	s_mul_i32 s22, s18, 24
	s_add_i32 s20, s21, s20
	v_mov_b32_e32 v6, s20
	s_waitcnt vmcnt(0)
	v_add_co_u32_e32 v30, vcc, s22, v22
	v_addc_co_u32_e32 v31, vcc, v23, v6, vcc
	s_and_saveexec_b64 s[20:21], s[4:5]
	s_cbranch_execz .LBB7_798
; %bb.797:                              ;   in Loop: Header=BB7_728 Depth=1
	v_pk_mov_b32 v[6:7], s[16:17], s[16:17] op_sel:[0,1]
	global_store_dwordx4 v[30:31], v[6:9], off offset:8
.LBB7_798:                              ;   in Loop: Header=BB7_728 Depth=1
	s_or_b64 exec, exec, s[20:21]
	s_lshl_b64 s[16:17], s[18:19], 12
	v_mov_b32_e32 v7, s17
	v_add_co_u32_e32 v6, vcc, s16, v24
	v_addc_co_u32_e32 v7, vcc, v25, v7, vcc
	v_or_b32_e32 v25, v0, v26
	v_cmp_gt_u64_e64 vcc, s[10:11], 56
	s_lshl_b32 s16, s12, 2
	v_cndmask_b32_e32 v0, v25, v0, vcc
	s_add_i32 s16, s16, 28
	v_or_b32_e32 v24, 0, v1
	s_and_b32 s16, s16, 0x1e0
	v_and_b32_e32 v0, 0xffffff1f, v0
	v_cndmask_b32_e32 v1, v24, v1, vcc
	v_or_b32_e32 v0, s16, v0
	v_readfirstlane_b32 s16, v6
	v_readfirstlane_b32 s17, v7
	s_nop 4
	global_store_dwordx4 v32, v[0:3], s[16:17]
	global_store_dwordx4 v32, v[10:13], s[16:17] offset:16
	global_store_dwordx4 v32, v[14:17], s[16:17] offset:32
	;; [unrolled: 1-line block ×3, first 2 shown]
	s_and_saveexec_b64 s[16:17], s[4:5]
	s_cbranch_execz .LBB7_806
; %bb.799:                              ;   in Loop: Header=BB7_728 Depth=1
	global_load_dwordx2 v[14:15], v29, s[6:7] offset:32 glc
	global_load_dwordx2 v[0:1], v29, s[6:7] offset:40
	v_mov_b32_e32 v12, s14
	v_mov_b32_e32 v13, s15
	s_waitcnt vmcnt(0)
	v_readfirstlane_b32 s18, v0
	v_readfirstlane_b32 s19, v1
	s_and_b64 s[18:19], s[18:19], s[14:15]
	s_mul_i32 s19, s19, 24
	s_mul_hi_u32 s20, s18, 24
	s_mul_i32 s18, s18, 24
	s_add_i32 s19, s20, s19
	v_mov_b32_e32 v0, s19
	v_add_co_u32_e32 v10, vcc, s18, v22
	v_addc_co_u32_e32 v11, vcc, v23, v0, vcc
	global_store_dwordx2 v[10:11], v[14:15], off
	buffer_wbl2
	s_waitcnt vmcnt(0)
	global_atomic_cmpswap_x2 v[2:3], v29, v[12:15], s[6:7] offset:32 glc
	s_waitcnt vmcnt(0)
	v_cmp_ne_u64_e32 vcc, v[2:3], v[14:15]
	s_and_saveexec_b64 s[18:19], vcc
	s_cbranch_execz .LBB7_802
; %bb.800:                              ;   in Loop: Header=BB7_728 Depth=1
	s_mov_b64 s[20:21], 0
.LBB7_801:                              ;   Parent Loop BB7_728 Depth=1
                                        ; =>  This Inner Loop Header: Depth=2
	s_sleep 1
	global_store_dwordx2 v[10:11], v[2:3], off
	v_mov_b32_e32 v0, s14
	v_mov_b32_e32 v1, s15
	buffer_wbl2
	s_waitcnt vmcnt(0)
	global_atomic_cmpswap_x2 v[0:1], v29, v[0:3], s[6:7] offset:32 glc
	s_waitcnt vmcnt(0)
	v_cmp_eq_u64_e32 vcc, v[0:1], v[2:3]
	s_or_b64 s[20:21], vcc, s[20:21]
	v_pk_mov_b32 v[2:3], v[0:1], v[0:1] op_sel:[0,1]
	s_andn2_b64 exec, exec, s[20:21]
	s_cbranch_execnz .LBB7_801
.LBB7_802:                              ;   in Loop: Header=BB7_728 Depth=1
	s_or_b64 exec, exec, s[18:19]
	global_load_dwordx2 v[0:1], v29, s[6:7] offset:16
	s_mov_b64 s[20:21], exec
	v_mbcnt_lo_u32_b32 v2, s20, 0
	v_mbcnt_hi_u32_b32 v2, s21, v2
	v_cmp_eq_u32_e32 vcc, 0, v2
	s_and_saveexec_b64 s[18:19], vcc
	s_cbranch_execz .LBB7_804
; %bb.803:                              ;   in Loop: Header=BB7_728 Depth=1
	s_bcnt1_i32_b64 s20, s[20:21]
	v_mov_b32_e32 v28, s20
	buffer_wbl2
	s_waitcnt vmcnt(0)
	global_atomic_add_x2 v[0:1], v[28:29], off offset:8
.LBB7_804:                              ;   in Loop: Header=BB7_728 Depth=1
	s_or_b64 exec, exec, s[18:19]
	s_waitcnt vmcnt(0)
	global_load_dwordx2 v[2:3], v[0:1], off offset:16
	s_waitcnt vmcnt(0)
	v_cmp_eq_u64_e32 vcc, 0, v[2:3]
	s_cbranch_vccnz .LBB7_806
; %bb.805:                              ;   in Loop: Header=BB7_728 Depth=1
	global_load_dword v28, v[0:1], off offset:24
	s_waitcnt vmcnt(0)
	v_and_b32_e32 v0, 0xffffff, v28
	v_readfirstlane_b32 m0, v0
	buffer_wbl2
	global_store_dwordx2 v[2:3], v[28:29], off
	s_sendmsg sendmsg(MSG_INTERRUPT)
.LBB7_806:                              ;   in Loop: Header=BB7_728 Depth=1
	s_or_b64 exec, exec, s[16:17]
	v_add_co_u32_e32 v0, vcc, v6, v32
	v_addc_co_u32_e32 v1, vcc, 0, v7, vcc
	s_branch .LBB7_808
.LBB7_807:                              ;   in Loop: Header=BB7_728 Depth=1
	s_branch .LBB7_812
.LBB7_808:                              ;   Parent Loop BB7_728 Depth=1
                                        ; =>  This Inner Loop Header: Depth=2
	v_mov_b32_e32 v2, 1
	s_and_saveexec_b64 s[16:17], s[4:5]
	s_cbranch_execz .LBB7_810
; %bb.809:                              ;   in Loop: Header=BB7_808 Depth=2
	global_load_dword v2, v[30:31], off offset:20 glc
	s_waitcnt vmcnt(0)
	buffer_invl2
	buffer_wbinvl1_vol
	v_and_b32_e32 v2, 1, v2
.LBB7_810:                              ;   in Loop: Header=BB7_808 Depth=2
	s_or_b64 exec, exec, s[16:17]
	v_readfirstlane_b32 s16, v2
	s_cmp_eq_u32 s16, 0
	s_cbranch_scc1 .LBB7_807
; %bb.811:                              ;   in Loop: Header=BB7_808 Depth=2
	s_sleep 1
	s_cbranch_execnz .LBB7_808
.LBB7_812:                              ;   in Loop: Header=BB7_728 Depth=1
	global_load_dwordx4 v[0:3], v[0:1], off
	s_and_saveexec_b64 s[16:17], s[4:5]
	s_cbranch_execz .LBB7_727
; %bb.813:                              ;   in Loop: Header=BB7_728 Depth=1
	global_load_dwordx2 v[2:3], v29, s[6:7] offset:40
	global_load_dwordx2 v[6:7], v29, s[6:7] offset:24 glc
	global_load_dwordx2 v[14:15], v29, s[6:7]
	v_mov_b32_e32 v11, s15
	s_waitcnt vmcnt(2)
	v_add_co_u32_e32 v13, vcc, 1, v2
	v_addc_co_u32_e32 v16, vcc, 0, v3, vcc
	v_add_co_u32_e32 v10, vcc, s14, v13
	v_addc_co_u32_e32 v11, vcc, v16, v11, vcc
	v_cmp_eq_u64_e32 vcc, 0, v[10:11]
	v_cndmask_b32_e32 v11, v11, v16, vcc
	v_cndmask_b32_e32 v10, v10, v13, vcc
	v_and_b32_e32 v3, v11, v3
	v_and_b32_e32 v2, v10, v2
	v_mul_lo_u32 v3, v3, 24
	v_mul_hi_u32 v13, v2, 24
	v_mul_lo_u32 v2, v2, 24
	v_add_u32_e32 v3, v13, v3
	s_waitcnt vmcnt(0)
	v_add_co_u32_e32 v2, vcc, v14, v2
	v_addc_co_u32_e32 v3, vcc, v15, v3, vcc
	v_mov_b32_e32 v12, v6
	global_store_dwordx2 v[2:3], v[6:7], off
	v_mov_b32_e32 v13, v7
	buffer_wbl2
	s_waitcnt vmcnt(0)
	global_atomic_cmpswap_x2 v[12:13], v29, v[10:13], s[6:7] offset:24 glc
	s_waitcnt vmcnt(0)
	v_cmp_ne_u64_e32 vcc, v[12:13], v[6:7]
	s_and_b64 exec, exec, vcc
	s_cbranch_execz .LBB7_727
; %bb.814:                              ;   in Loop: Header=BB7_728 Depth=1
	s_mov_b64 s[4:5], 0
.LBB7_815:                              ;   Parent Loop BB7_728 Depth=1
                                        ; =>  This Inner Loop Header: Depth=2
	s_sleep 1
	global_store_dwordx2 v[2:3], v[12:13], off
	buffer_wbl2
	s_waitcnt vmcnt(0)
	global_atomic_cmpswap_x2 v[6:7], v29, v[10:13], s[6:7] offset:24 glc
	s_waitcnt vmcnt(0)
	v_cmp_eq_u64_e32 vcc, v[6:7], v[12:13]
	s_or_b64 s[4:5], vcc, s[4:5]
	v_pk_mov_b32 v[12:13], v[6:7], v[6:7] op_sel:[0,1]
	s_andn2_b64 exec, exec, s[4:5]
	s_cbranch_execnz .LBB7_815
	s_branch .LBB7_727
.LBB7_816:
	s_or_b64 exec, exec, s[10:11]
	v_add_co_u32_e32 v2, vcc, v0, v40
	v_and_b32_e32 v4, 2.0, v59
	v_addc_co_u32_e32 v3, vcc, v1, v41, vcc
	v_cmp_ne_u32_e64 s[6:7], 0, v4
	s_mov_b64 s[18:19], -1
	s_mov_b64 s[14:15], 32
	s_mov_b64 s[12:13], 0
                                        ; implicit-def: $sgpr16_sgpr17
	s_branch .LBB7_819
.LBB7_817:                              ;   in Loop: Header=BB7_819 Depth=1
	s_or_b64 exec, exec, s[10:11]
.LBB7_818:                              ;   in Loop: Header=BB7_819 Depth=1
	s_lshl_b64 s[14:15], s[14:15], 1
	s_xor_b64 s[8:9], s[18:19], -1
	v_cmp_ge_i64_e32 vcc, s[14:15], v[56:57]
	s_or_b64 s[12:13], vcc, s[12:13]
	s_andn2_b64 s[10:11], s[16:17], exec
	s_and_b64 s[16:17], s[18:19], exec
	s_or_b64 s[16:17], s[10:11], s[16:17]
	s_mov_b64 s[18:19], s[8:9]
	s_andn2_b64 exec, exec, s[12:13]
	s_cbranch_execz .LBB7_858
.LBB7_819:                              ; =>This Loop Header: Depth=1
                                        ;     Child Loop BB7_823 Depth 2
                                        ;       Child Loop BB7_826 Depth 3
                                        ;       Child Loop BB7_832 Depth 3
	;; [unrolled: 1-line block ×3, first 2 shown]
                                        ;     Child Loop BB7_843 Depth 2
                                        ;       Child Loop BB7_846 Depth 3
                                        ;       Child Loop BB7_852 Depth 3
	;; [unrolled: 1-line block ×3, first 2 shown]
	s_andn2_b64 vcc, exec, s[18:19]
	s_mov_b64 s[8:9], -1
	s_cbranch_vccz .LBB7_839
; %bb.820:                              ;   in Loop: Header=BB7_819 Depth=1
	s_and_saveexec_b64 s[20:21], s[6:7]
	s_cbranch_execz .LBB7_838
; %bb.821:                              ;   in Loop: Header=BB7_819 Depth=1
	s_lshl_b64 s[22:23], s[14:15], 3
	s_mov_b64 s[26:27], 0
	v_mov_b32_e32 v22, s23
	v_pk_mov_b32 v[4:5], v[46:47], v[46:47] op_sel:[0,1]
	v_pk_mov_b32 v[6:7], v[44:45], v[44:45] op_sel:[0,1]
	;; [unrolled: 1-line block ×3, first 2 shown]
	s_branch .LBB7_823
.LBB7_822:                              ;   in Loop: Header=BB7_823 Depth=2
	s_or_b64 exec, exec, s[8:9]
	v_mov_b32_e32 v10, s23
	v_add_co_u32_e32 v14, vcc, s22, v24
	v_addc_co_u32_e32 v15, vcc, v23, v10, vcc
	v_add_co_u32_e32 v4, vcc, s22, v4
	v_addc_co_u32_e32 v5, vcc, v5, v10, vcc
	v_sub_co_u32_e32 v8, vcc, v14, v2
	v_subb_co_u32_e32 v9, vcc, v15, v3, vcc
	v_cmp_lt_i64_e32 vcc, -1, v[8:9]
	s_or_b64 s[26:27], vcc, s[26:27]
	v_add_co_u32_e32 v6, vcc, s22, v6
	v_addc_co_u32_e32 v7, vcc, v7, v10, vcc
	s_andn2_b64 exec, exec, s[26:27]
	s_cbranch_execz .LBB7_838
.LBB7_823:                              ;   Parent Loop BB7_819 Depth=1
                                        ; =>  This Loop Header: Depth=2
                                        ;       Child Loop BB7_826 Depth 3
                                        ;       Child Loop BB7_832 Depth 3
	;; [unrolled: 1-line block ×3, first 2 shown]
	v_add_co_u32_e32 v24, vcc, s22, v14
	v_addc_co_u32_e32 v23, vcc, v15, v22, vcc
	v_sub_co_u32_e32 v8, vcc, v24, v2
	v_subb_co_u32_e32 v9, vcc, v23, v3, vcc
	v_cmp_gt_i64_e32 vcc, 0, v[8:9]
	v_cndmask_b32_e32 v12, v2, v24, vcc
	v_cndmask_b32_e32 v13, v3, v23, vcc
	v_add_co_u32_e32 v10, vcc, s22, v12
	v_addc_co_u32_e32 v11, vcc, v13, v22, vcc
	v_sub_co_u32_e32 v8, vcc, v10, v2
	v_subb_co_u32_e32 v9, vcc, v11, v3, vcc
	v_cmp_gt_i64_e32 vcc, 0, v[8:9]
	v_cndmask_b32_e32 v9, v3, v11, vcc
	v_cndmask_b32_e32 v8, v2, v10, vcc
	v_cmp_ne_u64_e32 vcc, v[14:15], v[12:13]
	v_cmp_ne_u64_e64 s[8:9], v[12:13], v[8:9]
	s_and_b64 s[8:9], vcc, s[8:9]
	v_pk_mov_b32 v[10:11], v[12:13], v[12:13] op_sel:[0,1]
	v_pk_mov_b32 v[16:17], v[6:7], v[6:7] op_sel:[0,1]
	;; [unrolled: 1-line block ×3, first 2 shown]
	s_and_saveexec_b64 s[28:29], s[8:9]
	s_cbranch_execz .LBB7_830
; %bb.824:                              ;   in Loop: Header=BB7_823 Depth=2
	s_mov_b64 s[30:31], 0
	s_mov_b64 s[34:35], 0
	v_pk_mov_b32 v[10:11], v[12:13], v[12:13] op_sel:[0,1]
	s_branch .LBB7_826
.LBB7_825:                              ;   in Loop: Header=BB7_826 Depth=3
	s_or_b64 exec, exec, s[8:9]
	global_load_dword v28, v[16:17], off
	v_mov_b32_e32 v16, s35
	v_cmp_eq_u64_e32 vcc, v[20:21], v[12:13]
	v_cmp_eq_u64_e64 s[8:9], v[10:11], v[8:9]
	v_add_co_u32_e64 v14, s[10:11], s34, v6
	v_addc_co_u32_e64 v15, s[10:11], v7, v16, s[10:11]
	s_or_b64 s[8:9], vcc, s[8:9]
	v_add_co_u32_e64 v26, s[10:11], s34, v4
	s_add_u32 s34, s34, 4
	s_addc_u32 s35, s35, 0
	v_addc_co_u32_e64 v27, s[10:11], v5, v16, s[10:11]
	v_mov_b32_e32 v17, s35
	v_add_co_u32_e32 v16, vcc, s34, v6
	v_addc_co_u32_e32 v17, vcc, v7, v17, vcc
	v_mov_b32_e32 v19, s35
	s_and_b64 s[8:9], exec, s[8:9]
	v_add_co_u32_e32 v18, vcc, s34, v4
	v_addc_co_u32_e32 v19, vcc, v5, v19, vcc
	s_or_b64 s[30:31], s[8:9], s[30:31]
	s_waitcnt vmcnt(0)
	global_store_dword v[26:27], v28, off
	global_store_dword v[14:15], v25, off
	v_pk_mov_b32 v[14:15], v[20:21], v[20:21] op_sel:[0,1]
	s_andn2_b64 exec, exec, s[30:31]
	s_cbranch_execz .LBB7_834
.LBB7_826:                              ;   Parent Loop BB7_819 Depth=1
                                        ;     Parent Loop BB7_823 Depth=2
                                        ; =>    This Inner Loop Header: Depth=3
	global_load_dword v18, v[10:11], off offset:4
	global_load_dword v25, v[14:15], off offset:4
                                        ; implicit-def: $vgpr20_vgpr21
	s_waitcnt vmcnt(0)
	v_cmp_le_i32_e32 vcc, v18, v25
	s_and_saveexec_b64 s[8:9], vcc
	s_xor_b64 s[8:9], exec, s[8:9]
; %bb.827:                              ;   in Loop: Header=BB7_826 Depth=3
	v_add_co_u32_e32 v20, vcc, 8, v14
	v_addc_co_u32_e32 v21, vcc, 0, v15, vcc
                                        ; implicit-def: $vgpr18
; %bb.828:                              ;   in Loop: Header=BB7_826 Depth=3
	s_or_saveexec_b64 s[8:9], s[8:9]
	v_pk_mov_b32 v[16:17], v[14:15], v[14:15] op_sel:[0,1]
	s_xor_b64 exec, exec, s[8:9]
	s_cbranch_execz .LBB7_825
; %bb.829:                              ;   in Loop: Header=BB7_826 Depth=3
	v_add_co_u32_e32 v20, vcc, 8, v10
	v_addc_co_u32_e32 v21, vcc, 0, v11, vcc
	v_pk_mov_b32 v[16:17], v[10:11], v[10:11] op_sel:[0,1]
	v_mov_b32_e32 v25, v18
	v_pk_mov_b32 v[10:11], v[20:21], v[20:21] op_sel:[0,1]
	v_pk_mov_b32 v[20:21], v[14:15], v[14:15] op_sel:[0,1]
	s_branch .LBB7_825
.LBB7_830:                              ;   in Loop: Header=BB7_823 Depth=2
	s_or_b64 exec, exec, s[28:29]
	v_cmp_ne_u64_e32 vcc, v[14:15], v[12:13]
	s_and_saveexec_b64 s[8:9], vcc
	s_cbranch_execz .LBB7_835
.LBB7_831:                              ;   in Loop: Header=BB7_823 Depth=2
	s_mov_b64 s[10:11], 0
.LBB7_832:                              ;   Parent Loop BB7_819 Depth=1
                                        ;     Parent Loop BB7_823 Depth=2
                                        ; =>    This Inner Loop Header: Depth=3
	global_load_dwordx2 v[20:21], v[14:15], off
	v_add_co_u32_e32 v14, vcc, 8, v14
	v_addc_co_u32_e32 v15, vcc, 0, v15, vcc
	v_cmp_eq_u64_e32 vcc, v[14:15], v[12:13]
	s_or_b64 s[10:11], vcc, s[10:11]
	s_waitcnt vmcnt(0)
	global_store_dword v[18:19], v20, off
	global_store_dword v[16:17], v21, off
	v_add_co_u32_e32 v18, vcc, 4, v18
	v_addc_co_u32_e32 v19, vcc, 0, v19, vcc
	v_add_co_u32_e32 v16, vcc, 4, v16
	v_addc_co_u32_e32 v17, vcc, 0, v17, vcc
	s_andn2_b64 exec, exec, s[10:11]
	s_cbranch_execnz .LBB7_832
; %bb.833:                              ;   in Loop: Header=BB7_823 Depth=2
	s_or_b64 exec, exec, s[10:11]
	s_or_b64 exec, exec, s[8:9]
	v_cmp_ne_u64_e32 vcc, v[10:11], v[8:9]
	s_and_saveexec_b64 s[8:9], vcc
	s_cbranch_execz .LBB7_822
	s_branch .LBB7_836
.LBB7_834:                              ;   in Loop: Header=BB7_823 Depth=2
	s_or_b64 exec, exec, s[30:31]
	v_pk_mov_b32 v[14:15], v[20:21], v[20:21] op_sel:[0,1]
	s_or_b64 exec, exec, s[28:29]
	v_cmp_ne_u64_e32 vcc, v[14:15], v[12:13]
	s_and_saveexec_b64 s[8:9], vcc
	s_cbranch_execnz .LBB7_831
.LBB7_835:                              ;   in Loop: Header=BB7_823 Depth=2
	s_or_b64 exec, exec, s[8:9]
	v_cmp_ne_u64_e32 vcc, v[10:11], v[8:9]
	s_and_saveexec_b64 s[8:9], vcc
	s_cbranch_execz .LBB7_822
.LBB7_836:                              ;   in Loop: Header=BB7_823 Depth=2
	s_mov_b64 s[10:11], 0
.LBB7_837:                              ;   Parent Loop BB7_819 Depth=1
                                        ;     Parent Loop BB7_823 Depth=2
                                        ; =>    This Inner Loop Header: Depth=3
	global_load_dwordx2 v[12:13], v[10:11], off
	v_add_co_u32_e32 v10, vcc, 8, v10
	v_addc_co_u32_e32 v11, vcc, 0, v11, vcc
	v_cmp_eq_u64_e32 vcc, v[10:11], v[8:9]
	s_or_b64 s[10:11], vcc, s[10:11]
	s_waitcnt vmcnt(0)
	global_store_dword v[18:19], v12, off
	global_store_dword v[16:17], v13, off
	v_add_co_u32_e32 v18, vcc, 4, v18
	v_addc_co_u32_e32 v19, vcc, 0, v19, vcc
	v_add_co_u32_e32 v16, vcc, 4, v16
	v_addc_co_u32_e32 v17, vcc, 0, v17, vcc
	s_andn2_b64 exec, exec, s[10:11]
	s_cbranch_execnz .LBB7_837
	s_branch .LBB7_822
.LBB7_838:                              ;   in Loop: Header=BB7_819 Depth=1
	s_or_b64 exec, exec, s[20:21]
	s_mov_b64 s[8:9], 0
.LBB7_839:                              ;   in Loop: Header=BB7_819 Depth=1
	s_andn2_b64 vcc, exec, s[8:9]
	s_cbranch_vccnz .LBB7_818
; %bb.840:                              ;   in Loop: Header=BB7_819 Depth=1
	s_and_saveexec_b64 s[10:11], s[4:5]
	s_cbranch_execz .LBB7_817
; %bb.841:                              ;   in Loop: Header=BB7_819 Depth=1
	s_lshl_b64 s[8:9], s[14:15], 1
	s_lshl_b64 s[20:21], s[14:15], 2
	s_mov_b64 s[22:23], 0
	s_lshl_b64 s[26:27], s[8:9], 3
	v_pk_mov_b32 v[8:9], v[44:45], v[44:45] op_sel:[0,1]
	v_pk_mov_b32 v[16:17], v[46:47], v[46:47] op_sel:[0,1]
	v_pk_mov_b32 v[4:5], v[0:1], v[0:1] op_sel:[0,1]
	s_branch .LBB7_843
.LBB7_842:                              ;   in Loop: Header=BB7_843 Depth=2
	s_or_b64 exec, exec, s[8:9]
	v_mov_b32_e32 v6, s21
	v_add_co_u32_e32 v16, vcc, s20, v28
	v_addc_co_u32_e32 v17, vcc, v29, v6, vcc
	v_add_co_u32_e32 v8, vcc, s20, v26
	v_addc_co_u32_e32 v9, vcc, v27, v6, vcc
	v_sub_co_u32_e32 v6, vcc, v42, v16
	v_subb_co_u32_e32 v7, vcc, v43, v17, vcc
	v_cmp_gt_i64_e32 vcc, 1, v[6:7]
	v_mov_b32_e32 v10, s27
	s_or_b64 s[22:23], vcc, s[22:23]
	v_add_co_u32_e32 v4, vcc, s26, v4
	v_addc_co_u32_e32 v5, vcc, v5, v10, vcc
	s_andn2_b64 exec, exec, s[22:23]
	s_cbranch_execz .LBB7_817
.LBB7_843:                              ;   Parent Loop BB7_819 Depth=1
                                        ; =>  This Loop Header: Depth=2
                                        ;       Child Loop BB7_846 Depth 3
                                        ;       Child Loop BB7_852 Depth 3
	;; [unrolled: 1-line block ×3, first 2 shown]
	v_mov_b32_e32 v10, s21
	v_add_co_u32_e32 v28, vcc, s20, v16
	v_addc_co_u32_e32 v29, vcc, v17, v10, vcc
	v_add_co_u32_e32 v26, vcc, s20, v8
	v_addc_co_u32_e32 v27, vcc, v9, v10, vcc
	v_sub_co_u32_e32 v6, vcc, v42, v28
	v_subb_co_u32_e32 v7, vcc, v43, v29, vcc
	v_cmp_lt_i64_e32 vcc, 0, v[6:7]
	v_cndmask_b32_e32 v18, v42, v28, vcc
	v_cndmask_b32_e32 v19, v43, v29, vcc
	;; [unrolled: 1-line block ×4, first 2 shown]
	v_add_co_u32_e32 v12, vcc, s20, v18
	v_addc_co_u32_e32 v13, vcc, v19, v10, vcc
	v_sub_co_u32_e32 v10, vcc, v42, v12
	v_subb_co_u32_e32 v11, vcc, v43, v13, vcc
	v_cmp_lt_i64_e32 vcc, 0, v[10:11]
	v_cndmask_b32_e32 v11, v43, v13, vcc
	v_cndmask_b32_e32 v10, v42, v12, vcc
	v_cmp_ne_u64_e32 vcc, v[16:17], v[18:19]
	v_cmp_ne_u64_e64 s[8:9], v[18:19], v[10:11]
	s_and_b64 s[8:9], vcc, s[8:9]
	v_pk_mov_b32 v[14:15], v[18:19], v[18:19] op_sel:[0,1]
	v_pk_mov_b32 v[12:13], v[4:5], v[4:5] op_sel:[0,1]
	s_and_saveexec_b64 s[28:29], s[8:9]
	s_cbranch_execz .LBB7_850
; %bb.844:                              ;   in Loop: Header=BB7_843 Depth=2
	s_mov_b64 s[30:31], 0
	v_pk_mov_b32 v[14:15], v[18:19], v[18:19] op_sel:[0,1]
	v_pk_mov_b32 v[12:13], v[4:5], v[4:5] op_sel:[0,1]
	s_branch .LBB7_846
.LBB7_845:                              ;   in Loop: Header=BB7_846 Depth=3
	s_or_b64 exec, exec, s[8:9]
	global_load_dword v22, v[24:25], off
	v_cmp_eq_u64_e32 vcc, v[20:21], v[18:19]
	v_cmp_eq_u64_e64 s[8:9], v[14:15], v[10:11]
	s_or_b64 s[8:9], vcc, s[8:9]
	s_and_b64 s[8:9], exec, s[8:9]
	s_or_b64 s[30:31], s[8:9], s[30:31]
	v_pk_mov_b32 v[16:17], v[20:21], v[20:21] op_sel:[0,1]
	s_waitcnt vmcnt(0)
	global_store_dwordx2 v[12:13], v[22:23], off
	v_add_co_u32_e32 v12, vcc, 8, v12
	v_addc_co_u32_e32 v13, vcc, 0, v13, vcc
	s_andn2_b64 exec, exec, s[30:31]
	s_cbranch_execz .LBB7_854
.LBB7_846:                              ;   Parent Loop BB7_819 Depth=1
                                        ;     Parent Loop BB7_843 Depth=2
                                        ; =>    This Inner Loop Header: Depth=3
	global_load_dword v22, v[6:7], off
	global_load_dword v23, v[8:9], off
                                        ; implicit-def: $vgpr20_vgpr21
	s_waitcnt vmcnt(0)
	v_cmp_le_i32_e32 vcc, v22, v23
	s_and_saveexec_b64 s[8:9], vcc
	s_xor_b64 s[8:9], exec, s[8:9]
; %bb.847:                              ;   in Loop: Header=BB7_846 Depth=3
	v_add_co_u32_e32 v20, vcc, 4, v16
	v_addc_co_u32_e32 v21, vcc, 0, v17, vcc
	v_add_co_u32_e32 v8, vcc, 4, v8
	v_addc_co_u32_e32 v9, vcc, 0, v9, vcc
                                        ; implicit-def: $vgpr22
; %bb.848:                              ;   in Loop: Header=BB7_846 Depth=3
	s_or_saveexec_b64 s[8:9], s[8:9]
	v_pk_mov_b32 v[24:25], v[16:17], v[16:17] op_sel:[0,1]
	s_xor_b64 exec, exec, s[8:9]
	s_cbranch_execz .LBB7_845
; %bb.849:                              ;   in Loop: Header=BB7_846 Depth=3
	v_add_co_u32_e32 v20, vcc, 4, v14
	v_addc_co_u32_e32 v21, vcc, 0, v15, vcc
	v_add_co_u32_e32 v6, vcc, 4, v6
	v_addc_co_u32_e32 v7, vcc, 0, v7, vcc
	v_pk_mov_b32 v[24:25], v[14:15], v[14:15] op_sel:[0,1]
	v_mov_b32_e32 v23, v22
	v_pk_mov_b32 v[14:15], v[20:21], v[20:21] op_sel:[0,1]
	v_pk_mov_b32 v[20:21], v[16:17], v[16:17] op_sel:[0,1]
	s_branch .LBB7_845
.LBB7_850:                              ;   in Loop: Header=BB7_843 Depth=2
	s_or_b64 exec, exec, s[28:29]
	v_cmp_ne_u64_e32 vcc, v[16:17], v[18:19]
	s_and_saveexec_b64 s[8:9], vcc
	s_cbranch_execz .LBB7_855
.LBB7_851:                              ;   in Loop: Header=BB7_843 Depth=2
	s_mov_b64 s[28:29], 0
.LBB7_852:                              ;   Parent Loop BB7_819 Depth=1
                                        ;     Parent Loop BB7_843 Depth=2
                                        ; =>    This Inner Loop Header: Depth=3
	global_load_dword v20, v[16:17], off
	global_load_dword v21, v[8:9], off
	v_add_co_u32_e32 v16, vcc, 4, v16
	v_addc_co_u32_e32 v17, vcc, 0, v17, vcc
	v_add_co_u32_e32 v8, vcc, 4, v8
	v_addc_co_u32_e32 v9, vcc, 0, v9, vcc
	v_cmp_eq_u64_e32 vcc, v[16:17], v[18:19]
	s_or_b64 s[28:29], vcc, s[28:29]
	s_waitcnt vmcnt(0)
	global_store_dwordx2 v[12:13], v[20:21], off
	v_add_co_u32_e32 v12, vcc, 8, v12
	v_addc_co_u32_e32 v13, vcc, 0, v13, vcc
	s_andn2_b64 exec, exec, s[28:29]
	s_cbranch_execnz .LBB7_852
; %bb.853:                              ;   in Loop: Header=BB7_843 Depth=2
	s_or_b64 exec, exec, s[28:29]
	s_or_b64 exec, exec, s[8:9]
	v_cmp_ne_u64_e32 vcc, v[14:15], v[10:11]
	s_and_saveexec_b64 s[8:9], vcc
	s_cbranch_execz .LBB7_842
	s_branch .LBB7_856
.LBB7_854:                              ;   in Loop: Header=BB7_843 Depth=2
	s_or_b64 exec, exec, s[30:31]
	v_pk_mov_b32 v[16:17], v[20:21], v[20:21] op_sel:[0,1]
	s_or_b64 exec, exec, s[28:29]
	v_cmp_ne_u64_e32 vcc, v[16:17], v[18:19]
	s_and_saveexec_b64 s[8:9], vcc
	s_cbranch_execnz .LBB7_851
.LBB7_855:                              ;   in Loop: Header=BB7_843 Depth=2
	s_or_b64 exec, exec, s[8:9]
	v_cmp_ne_u64_e32 vcc, v[14:15], v[10:11]
	s_and_saveexec_b64 s[8:9], vcc
	s_cbranch_execz .LBB7_842
.LBB7_856:                              ;   in Loop: Header=BB7_843 Depth=2
	s_mov_b64 s[28:29], 0
.LBB7_857:                              ;   Parent Loop BB7_819 Depth=1
                                        ;     Parent Loop BB7_843 Depth=2
                                        ; =>    This Inner Loop Header: Depth=3
	global_load_dword v8, v[14:15], off
	global_load_dword v9, v[6:7], off
	v_add_co_u32_e32 v14, vcc, 4, v14
	v_addc_co_u32_e32 v15, vcc, 0, v15, vcc
	v_add_co_u32_e32 v6, vcc, 4, v6
	v_addc_co_u32_e32 v7, vcc, 0, v7, vcc
	v_cmp_eq_u64_e32 vcc, v[14:15], v[10:11]
	s_or_b64 s[28:29], vcc, s[28:29]
	s_waitcnt vmcnt(0)
	global_store_dwordx2 v[12:13], v[8:9], off
	v_add_co_u32_e32 v12, vcc, 8, v12
	v_addc_co_u32_e32 v13, vcc, 0, v13, vcc
	s_andn2_b64 exec, exec, s[28:29]
	s_cbranch_execnz .LBB7_857
	s_branch .LBB7_842
.LBB7_858:
	s_or_b64 exec, exec, s[12:13]
	s_and_saveexec_b64 s[4:5], s[16:17]
	s_cbranch_execz .LBB7_861
; %bb.859:
	s_mov_b64 s[6:7], 0
	v_pk_mov_b32 v[4:5], v[0:1], v[0:1] op_sel:[0,1]
.LBB7_860:                              ; =>This Inner Loop Header: Depth=1
	global_load_dwordx2 v[6:7], v[4:5], off
	v_add_co_u32_e32 v4, vcc, 8, v4
	v_addc_co_u32_e32 v5, vcc, 0, v5, vcc
	v_cmp_eq_u64_e32 vcc, v[4:5], v[2:3]
	s_or_b64 s[6:7], vcc, s[6:7]
	s_waitcnt vmcnt(0)
	global_store_dword v[46:47], v6, off
	global_store_dword v[44:45], v7, off
	v_add_co_u32_e32 v46, vcc, 4, v46
	v_addc_co_u32_e32 v47, vcc, 0, v47, vcc
	v_add_co_u32_e32 v44, vcc, 4, v44
	v_addc_co_u32_e32 v45, vcc, 0, v45, vcc
	s_andn2_b64 exec, exec, s[6:7]
	s_cbranch_execnz .LBB7_860
.LBB7_861:
	s_or_b64 exec, exec, s[4:5]
	v_readlane_b32 s4, v70, 10
	v_readlane_b32 s5, v70, 11
	s_add_u32 s8, s4, 0x78
	s_addc_u32 s9, s5, 0
	s_getpc_b64 s[4:5]
	s_add_u32 s4, s4, __ockl_dm_dealloc@rel32@lo+4
	s_addc_u32 s5, s5, __ockl_dm_dealloc@rel32@hi+12
	s_swappc_b64 s[30:31], s[4:5]
                                        ; implicit-def: $vgpr0_vgpr1
	s_branch .LBB7_681
.LBB7_862:
	s_mov_b64 s[4:5], -1
                                        ; implicit-def: $vgpr0_vgpr1
	s_branch .LBB7_864
.LBB7_863:
	s_mov_b64 s[4:5], 0
.LBB7_864:
	s_and_b64 vcc, exec, s[4:5]
	s_cbranch_vccz .LBB7_891
; %bb.865:
	v_readfirstlane_b32 s4, v33
	v_cmp_eq_u32_e64 s[4:5], s4, v33
	v_pk_mov_b32 v[8:9], 0, 0
	s_and_saveexec_b64 s[8:9], s[4:5]
	s_cbranch_execz .LBB7_871
; %bb.866:
	s_waitcnt vmcnt(0)
	v_mov_b32_e32 v0, 0
	global_load_dwordx2 v[10:11], v0, s[6:7] offset:24 glc
	s_waitcnt vmcnt(0)
	buffer_invl2
	buffer_wbinvl1_vol
	global_load_dwordx2 v[2:3], v0, s[6:7] offset:40
	global_load_dwordx2 v[6:7], v0, s[6:7]
	s_waitcnt vmcnt(1)
	v_and_b32_e32 v1, v2, v10
	v_and_b32_e32 v2, v3, v11
	v_mul_lo_u32 v2, v2, 24
	v_mul_hi_u32 v3, v1, 24
	v_mul_lo_u32 v1, v1, 24
	v_add_u32_e32 v3, v3, v2
	s_waitcnt vmcnt(0)
	v_add_co_u32_e32 v2, vcc, v6, v1
	v_addc_co_u32_e32 v3, vcc, v7, v3, vcc
	global_load_dwordx2 v[8:9], v[2:3], off glc
	s_waitcnt vmcnt(0)
	global_atomic_cmpswap_x2 v[8:9], v0, v[8:11], s[6:7] offset:24 glc
	s_waitcnt vmcnt(0)
	buffer_invl2
	buffer_wbinvl1_vol
	v_cmp_ne_u64_e32 vcc, v[8:9], v[10:11]
	s_and_saveexec_b64 s[10:11], vcc
	s_cbranch_execz .LBB7_870
; %bb.867:
	s_mov_b64 s[12:13], 0
.LBB7_868:                              ; =>This Inner Loop Header: Depth=1
	s_sleep 1
	global_load_dwordx2 v[2:3], v0, s[6:7] offset:40
	global_load_dwordx2 v[6:7], v0, s[6:7]
	v_pk_mov_b32 v[10:11], v[8:9], v[8:9] op_sel:[0,1]
	s_waitcnt vmcnt(1)
	v_and_b32_e32 v2, v2, v10
	v_and_b32_e32 v1, v3, v11
	s_waitcnt vmcnt(0)
	v_mad_u64_u32 v[2:3], s[14:15], v2, 24, v[6:7]
	v_mov_b32_e32 v6, v3
	v_mad_u64_u32 v[6:7], s[14:15], v1, 24, v[6:7]
	v_mov_b32_e32 v3, v6
	global_load_dwordx2 v[8:9], v[2:3], off glc
	s_waitcnt vmcnt(0)
	global_atomic_cmpswap_x2 v[8:9], v0, v[8:11], s[6:7] offset:24 glc
	s_waitcnt vmcnt(0)
	buffer_invl2
	buffer_wbinvl1_vol
	v_cmp_eq_u64_e32 vcc, v[8:9], v[10:11]
	s_or_b64 s[12:13], vcc, s[12:13]
	s_andn2_b64 exec, exec, s[12:13]
	s_cbranch_execnz .LBB7_868
; %bb.869:
	s_or_b64 exec, exec, s[12:13]
.LBB7_870:
	s_or_b64 exec, exec, s[10:11]
.LBB7_871:
	s_or_b64 exec, exec, s[8:9]
	v_mov_b32_e32 v6, 0
	global_load_dwordx2 v[10:11], v6, s[6:7] offset:40
	global_load_dwordx4 v[0:3], v6, s[6:7]
	v_readfirstlane_b32 s8, v8
	v_readfirstlane_b32 s9, v9
	s_mov_b64 s[10:11], exec
	s_waitcnt vmcnt(1)
	v_readfirstlane_b32 s12, v10
	v_readfirstlane_b32 s13, v11
	s_and_b64 s[12:13], s[8:9], s[12:13]
	s_mul_i32 s14, s13, 24
	s_mul_hi_u32 s15, s12, 24
	s_mul_i32 s16, s12, 24
	s_add_i32 s14, s15, s14
	v_mov_b32_e32 v7, s14
	s_waitcnt vmcnt(0)
	v_add_co_u32_e32 v8, vcc, s16, v0
	v_addc_co_u32_e32 v9, vcc, v1, v7, vcc
	s_and_saveexec_b64 s[14:15], s[4:5]
	s_cbranch_execz .LBB7_873
; %bb.872:
	v_pk_mov_b32 v[10:11], s[10:11], s[10:11] op_sel:[0,1]
	v_mov_b32_e32 v12, 2
	v_mov_b32_e32 v13, 1
	global_store_dwordx4 v[8:9], v[10:13], off offset:8
.LBB7_873:
	s_or_b64 exec, exec, s[14:15]
	s_lshl_b64 s[10:11], s[12:13], 12
	v_mov_b32_e32 v7, s11
	v_add_co_u32_e32 v2, vcc, s10, v2
	v_addc_co_u32_e32 v3, vcc, v3, v7, vcc
	s_movk_i32 s10, 0xff1f
	s_mov_b32 s12, 0
	v_and_or_b32 v4, v4, s10, 32
	v_add_co_u32_e32 v10, vcc, v2, v32
	v_mov_b32_e32 v7, v6
	v_readfirstlane_b32 s10, v2
	v_readfirstlane_b32 s11, v3
	s_mov_b32 s13, s12
	v_addc_co_u32_e32 v11, vcc, 0, v3, vcc
	s_mov_b32 s14, s12
	s_mov_b32 s15, s12
	s_nop 0
	global_store_dwordx4 v32, v[4:7], s[10:11]
	v_pk_mov_b32 v[2:3], s[12:13], s[12:13] op_sel:[0,1]
	v_pk_mov_b32 v[4:5], s[14:15], s[14:15] op_sel:[0,1]
	global_store_dwordx4 v32, v[2:5], s[10:11] offset:16
	global_store_dwordx4 v32, v[2:5], s[10:11] offset:32
	;; [unrolled: 1-line block ×3, first 2 shown]
	s_and_saveexec_b64 s[10:11], s[4:5]
	s_cbranch_execz .LBB7_881
; %bb.874:
	v_mov_b32_e32 v6, 0
	global_load_dwordx2 v[14:15], v6, s[6:7] offset:32 glc
	global_load_dwordx2 v[2:3], v6, s[6:7] offset:40
	v_mov_b32_e32 v12, s8
	v_mov_b32_e32 v13, s9
	s_waitcnt vmcnt(0)
	v_readfirstlane_b32 s12, v2
	v_readfirstlane_b32 s13, v3
	s_and_b64 s[12:13], s[12:13], s[8:9]
	s_mul_i32 s13, s13, 24
	s_mul_hi_u32 s14, s12, 24
	s_mul_i32 s12, s12, 24
	s_add_i32 s13, s14, s13
	v_mov_b32_e32 v2, s13
	v_add_co_u32_e32 v4, vcc, s12, v0
	v_addc_co_u32_e32 v5, vcc, v1, v2, vcc
	global_store_dwordx2 v[4:5], v[14:15], off
	buffer_wbl2
	s_waitcnt vmcnt(0)
	global_atomic_cmpswap_x2 v[2:3], v6, v[12:15], s[6:7] offset:32 glc
	s_waitcnt vmcnt(0)
	v_cmp_ne_u64_e32 vcc, v[2:3], v[14:15]
	s_and_saveexec_b64 s[12:13], vcc
	s_cbranch_execz .LBB7_877
; %bb.875:
	s_mov_b64 s[14:15], 0
.LBB7_876:                              ; =>This Inner Loop Header: Depth=1
	s_sleep 1
	global_store_dwordx2 v[4:5], v[2:3], off
	v_mov_b32_e32 v0, s8
	v_mov_b32_e32 v1, s9
	buffer_wbl2
	s_waitcnt vmcnt(0)
	global_atomic_cmpswap_x2 v[0:1], v6, v[0:3], s[6:7] offset:32 glc
	s_waitcnt vmcnt(0)
	v_cmp_eq_u64_e32 vcc, v[0:1], v[2:3]
	s_or_b64 s[14:15], vcc, s[14:15]
	v_pk_mov_b32 v[2:3], v[0:1], v[0:1] op_sel:[0,1]
	s_andn2_b64 exec, exec, s[14:15]
	s_cbranch_execnz .LBB7_876
.LBB7_877:
	s_or_b64 exec, exec, s[12:13]
	v_mov_b32_e32 v3, 0
	global_load_dwordx2 v[0:1], v3, s[6:7] offset:16
	s_mov_b64 s[12:13], exec
	v_mbcnt_lo_u32_b32 v2, s12, 0
	v_mbcnt_hi_u32_b32 v2, s13, v2
	v_cmp_eq_u32_e32 vcc, 0, v2
	s_and_saveexec_b64 s[14:15], vcc
	s_cbranch_execz .LBB7_879
; %bb.878:
	s_bcnt1_i32_b64 s12, s[12:13]
	v_mov_b32_e32 v2, s12
	buffer_wbl2
	s_waitcnt vmcnt(0)
	global_atomic_add_x2 v[0:1], v[2:3], off offset:8
.LBB7_879:
	s_or_b64 exec, exec, s[14:15]
	s_waitcnt vmcnt(0)
	global_load_dwordx2 v[2:3], v[0:1], off offset:16
	s_waitcnt vmcnt(0)
	v_cmp_eq_u64_e32 vcc, 0, v[2:3]
	s_cbranch_vccnz .LBB7_881
; %bb.880:
	global_load_dword v0, v[0:1], off offset:24
	v_mov_b32_e32 v1, 0
	buffer_wbl2
	s_waitcnt vmcnt(0)
	global_store_dwordx2 v[2:3], v[0:1], off
	v_and_b32_e32 v0, 0xffffff, v0
	v_readfirstlane_b32 m0, v0
	s_sendmsg sendmsg(MSG_INTERRUPT)
.LBB7_881:
	s_or_b64 exec, exec, s[10:11]
	s_branch .LBB7_883
.LBB7_882:
	s_branch .LBB7_887
.LBB7_883:                              ; =>This Inner Loop Header: Depth=1
	v_mov_b32_e32 v0, 1
	s_and_saveexec_b64 s[10:11], s[4:5]
	s_cbranch_execz .LBB7_885
; %bb.884:                              ;   in Loop: Header=BB7_883 Depth=1
	global_load_dword v0, v[8:9], off offset:20 glc
	s_waitcnt vmcnt(0)
	buffer_invl2
	buffer_wbinvl1_vol
	v_and_b32_e32 v0, 1, v0
.LBB7_885:                              ;   in Loop: Header=BB7_883 Depth=1
	s_or_b64 exec, exec, s[10:11]
	v_readfirstlane_b32 s10, v0
	s_cmp_eq_u32 s10, 0
	s_cbranch_scc1 .LBB7_882
; %bb.886:                              ;   in Loop: Header=BB7_883 Depth=1
	s_sleep 1
	s_cbranch_execnz .LBB7_883
.LBB7_887:
	global_load_dwordx2 v[0:1], v[10:11], off
	s_and_saveexec_b64 s[10:11], s[4:5]
	s_cbranch_execz .LBB7_890
; %bb.888:
	v_mov_b32_e32 v8, 0
	global_load_dwordx2 v[6:7], v8, s[6:7] offset:40
	global_load_dwordx2 v[10:11], v8, s[6:7] offset:24 glc
	global_load_dwordx2 v[12:13], v8, s[6:7]
	v_mov_b32_e32 v3, s9
	s_mov_b64 s[4:5], 0
	s_waitcnt vmcnt(2)
	v_add_co_u32_e32 v5, vcc, 1, v6
	v_addc_co_u32_e32 v9, vcc, 0, v7, vcc
	v_add_co_u32_e32 v2, vcc, s8, v5
	v_addc_co_u32_e32 v3, vcc, v9, v3, vcc
	v_cmp_eq_u64_e32 vcc, 0, v[2:3]
	v_cndmask_b32_e32 v3, v3, v9, vcc
	v_cndmask_b32_e32 v2, v2, v5, vcc
	v_and_b32_e32 v5, v3, v7
	v_and_b32_e32 v6, v2, v6
	v_mul_lo_u32 v5, v5, 24
	v_mul_hi_u32 v7, v6, 24
	v_mul_lo_u32 v6, v6, 24
	v_add_u32_e32 v5, v7, v5
	s_waitcnt vmcnt(0)
	v_add_co_u32_e32 v6, vcc, v12, v6
	v_addc_co_u32_e32 v7, vcc, v13, v5, vcc
	v_mov_b32_e32 v4, v10
	global_store_dwordx2 v[6:7], v[10:11], off
	v_mov_b32_e32 v5, v11
	buffer_wbl2
	s_waitcnt vmcnt(0)
	global_atomic_cmpswap_x2 v[4:5], v8, v[2:5], s[6:7] offset:24 glc
	s_waitcnt vmcnt(0)
	v_cmp_ne_u64_e32 vcc, v[4:5], v[10:11]
	s_and_b64 exec, exec, vcc
	s_cbranch_execz .LBB7_890
.LBB7_889:                              ; =>This Inner Loop Header: Depth=1
	s_sleep 1
	global_store_dwordx2 v[6:7], v[4:5], off
	buffer_wbl2
	s_waitcnt vmcnt(0)
	global_atomic_cmpswap_x2 v[10:11], v8, v[2:5], s[6:7] offset:24 glc
	s_waitcnt vmcnt(0)
	v_cmp_eq_u64_e32 vcc, v[10:11], v[4:5]
	s_or_b64 s[4:5], vcc, s[4:5]
	v_pk_mov_b32 v[4:5], v[10:11], v[10:11] op_sel:[0,1]
	s_andn2_b64 exec, exec, s[4:5]
	s_cbranch_execnz .LBB7_889
.LBB7_890:
	s_or_b64 exec, exec, s[10:11]
.LBB7_891:
	s_getpc_b64 s[8:9]
	s_add_u32 s8, s8, .str.18@rel32@lo+4
	s_addc_u32 s9, s9, .str.18@rel32@hi+12
	s_cmp_lg_u64 s[8:9], 0
	s_mov_b64 s[4:5], -1
	s_cbranch_scc0 .LBB7_983
; %bb.892:
	s_waitcnt vmcnt(0)
	v_and_b32_e32 v6, -3, v0
	v_mov_b32_e32 v7, v1
	s_mov_b64 s[10:11], 56
	v_mov_b32_e32 v27, 0
	v_mov_b32_e32 v4, 2
	v_mov_b32_e32 v5, 1
	s_branch .LBB7_894
.LBB7_893:                              ;   in Loop: Header=BB7_894 Depth=1
	s_or_b64 exec, exec, s[16:17]
	s_sub_u32 s10, s10, s12
	s_subb_u32 s11, s11, s13
	s_add_u32 s8, s8, s12
	s_addc_u32 s9, s9, s13
	s_cmp_lg_u64 s[10:11], 0
	s_cbranch_scc0 .LBB7_982
.LBB7_894:                              ; =>This Loop Header: Depth=1
                                        ;     Child Loop BB7_897 Depth 2
                                        ;     Child Loop BB7_905 Depth 2
	;; [unrolled: 1-line block ×11, first 2 shown]
	v_cmp_lt_u64_e64 s[4:5], s[10:11], 56
	s_and_b64 s[4:5], s[4:5], exec
	v_cmp_gt_u64_e64 s[4:5], s[10:11], 7
	s_cselect_b32 s13, s11, 0
	s_cselect_b32 s12, s10, 56
	s_and_b64 vcc, exec, s[4:5]
	s_cbranch_vccnz .LBB7_899
; %bb.895:                              ;   in Loop: Header=BB7_894 Depth=1
	s_mov_b64 s[4:5], 0
	s_cmp_eq_u64 s[10:11], 0
	s_waitcnt vmcnt(0)
	v_pk_mov_b32 v[8:9], 0, 0
	s_cbranch_scc1 .LBB7_898
; %bb.896:                              ;   in Loop: Header=BB7_894 Depth=1
	s_lshl_b64 s[14:15], s[12:13], 3
	s_mov_b64 s[16:17], 0
	v_pk_mov_b32 v[8:9], 0, 0
	s_mov_b64 s[18:19], s[8:9]
.LBB7_897:                              ;   Parent Loop BB7_894 Depth=1
                                        ; =>  This Inner Loop Header: Depth=2
	global_load_ubyte v2, v27, s[18:19]
	s_waitcnt vmcnt(0)
	v_and_b32_e32 v26, 0xffff, v2
	v_lshlrev_b64 v[2:3], s16, v[26:27]
	s_add_u32 s16, s16, 8
	s_addc_u32 s17, s17, 0
	s_add_u32 s18, s18, 1
	s_addc_u32 s19, s19, 0
	v_or_b32_e32 v8, v2, v8
	s_cmp_lg_u32 s14, s16
	v_or_b32_e32 v9, v3, v9
	s_cbranch_scc1 .LBB7_897
.LBB7_898:                              ;   in Loop: Header=BB7_894 Depth=1
	s_mov_b32 s18, 0
	s_branch .LBB7_900
.LBB7_899:                              ;   in Loop: Header=BB7_894 Depth=1
	s_mov_b64 s[4:5], -1
                                        ; implicit-def: $sgpr18
.LBB7_900:                              ;   in Loop: Header=BB7_894 Depth=1
	s_andn2_b64 vcc, exec, s[4:5]
	s_mov_b64 s[4:5], s[8:9]
	s_cbranch_vccnz .LBB7_902
; %bb.901:                              ;   in Loop: Header=BB7_894 Depth=1
	global_load_dwordx2 v[8:9], v27, s[8:9]
	s_add_i32 s18, s12, -8
	s_add_u32 s4, s8, 8
	s_addc_u32 s5, s9, 0
.LBB7_902:                              ;   in Loop: Header=BB7_894 Depth=1
	s_cmp_gt_u32 s18, 7
	s_cbranch_scc1 .LBB7_906
; %bb.903:                              ;   in Loop: Header=BB7_894 Depth=1
	s_cmp_eq_u32 s18, 0
	s_cbranch_scc1 .LBB7_907
; %bb.904:                              ;   in Loop: Header=BB7_894 Depth=1
	s_mov_b64 s[14:15], 0
	v_pk_mov_b32 v[10:11], 0, 0
	s_mov_b64 s[16:17], 0
.LBB7_905:                              ;   Parent Loop BB7_894 Depth=1
                                        ; =>  This Inner Loop Header: Depth=2
	s_add_u32 s20, s4, s16
	s_addc_u32 s21, s5, s17
	global_load_ubyte v2, v27, s[20:21]
	s_add_u32 s16, s16, 1
	s_addc_u32 s17, s17, 0
	s_waitcnt vmcnt(0)
	v_and_b32_e32 v26, 0xffff, v2
	v_lshlrev_b64 v[2:3], s14, v[26:27]
	s_add_u32 s14, s14, 8
	s_addc_u32 s15, s15, 0
	v_or_b32_e32 v10, v2, v10
	s_cmp_lg_u32 s18, s16
	v_or_b32_e32 v11, v3, v11
	s_cbranch_scc1 .LBB7_905
	s_branch .LBB7_908
.LBB7_906:                              ;   in Loop: Header=BB7_894 Depth=1
	s_mov_b64 s[14:15], -1
                                        ; implicit-def: $vgpr10_vgpr11
                                        ; implicit-def: $sgpr19
	s_branch .LBB7_909
.LBB7_907:                              ;   in Loop: Header=BB7_894 Depth=1
	v_pk_mov_b32 v[10:11], 0, 0
.LBB7_908:                              ;   in Loop: Header=BB7_894 Depth=1
	s_mov_b64 s[14:15], 0
	s_mov_b32 s19, 0
.LBB7_909:                              ;   in Loop: Header=BB7_894 Depth=1
	s_andn2_b64 vcc, exec, s[14:15]
	s_cbranch_vccnz .LBB7_911
; %bb.910:                              ;   in Loop: Header=BB7_894 Depth=1
	global_load_dwordx2 v[10:11], v27, s[4:5]
	s_add_i32 s19, s18, -8
	s_add_u32 s4, s4, 8
	s_addc_u32 s5, s5, 0
.LBB7_911:                              ;   in Loop: Header=BB7_894 Depth=1
	s_cmp_gt_u32 s19, 7
	s_cbranch_scc1 .LBB7_915
; %bb.912:                              ;   in Loop: Header=BB7_894 Depth=1
	s_cmp_eq_u32 s19, 0
	s_cbranch_scc1 .LBB7_916
; %bb.913:                              ;   in Loop: Header=BB7_894 Depth=1
	s_mov_b64 s[14:15], 0
	v_pk_mov_b32 v[12:13], 0, 0
	s_mov_b64 s[16:17], 0
.LBB7_914:                              ;   Parent Loop BB7_894 Depth=1
                                        ; =>  This Inner Loop Header: Depth=2
	s_add_u32 s20, s4, s16
	s_addc_u32 s21, s5, s17
	global_load_ubyte v2, v27, s[20:21]
	s_add_u32 s16, s16, 1
	s_addc_u32 s17, s17, 0
	s_waitcnt vmcnt(0)
	v_and_b32_e32 v26, 0xffff, v2
	v_lshlrev_b64 v[2:3], s14, v[26:27]
	s_add_u32 s14, s14, 8
	s_addc_u32 s15, s15, 0
	v_or_b32_e32 v12, v2, v12
	s_cmp_lg_u32 s19, s16
	v_or_b32_e32 v13, v3, v13
	s_cbranch_scc1 .LBB7_914
	s_branch .LBB7_917
.LBB7_915:                              ;   in Loop: Header=BB7_894 Depth=1
	s_mov_b64 s[14:15], -1
                                        ; implicit-def: $sgpr18
	s_branch .LBB7_918
.LBB7_916:                              ;   in Loop: Header=BB7_894 Depth=1
	v_pk_mov_b32 v[12:13], 0, 0
.LBB7_917:                              ;   in Loop: Header=BB7_894 Depth=1
	s_mov_b64 s[14:15], 0
	s_mov_b32 s18, 0
.LBB7_918:                              ;   in Loop: Header=BB7_894 Depth=1
	s_andn2_b64 vcc, exec, s[14:15]
	s_cbranch_vccnz .LBB7_920
; %bb.919:                              ;   in Loop: Header=BB7_894 Depth=1
	global_load_dwordx2 v[12:13], v27, s[4:5]
	s_add_i32 s18, s19, -8
	s_add_u32 s4, s4, 8
	s_addc_u32 s5, s5, 0
.LBB7_920:                              ;   in Loop: Header=BB7_894 Depth=1
	s_cmp_gt_u32 s18, 7
	s_cbranch_scc1 .LBB7_924
; %bb.921:                              ;   in Loop: Header=BB7_894 Depth=1
	s_cmp_eq_u32 s18, 0
	s_cbranch_scc1 .LBB7_925
; %bb.922:                              ;   in Loop: Header=BB7_894 Depth=1
	s_mov_b64 s[14:15], 0
	v_pk_mov_b32 v[14:15], 0, 0
	s_mov_b64 s[16:17], 0
.LBB7_923:                              ;   Parent Loop BB7_894 Depth=1
                                        ; =>  This Inner Loop Header: Depth=2
	s_add_u32 s20, s4, s16
	s_addc_u32 s21, s5, s17
	global_load_ubyte v2, v27, s[20:21]
	s_add_u32 s16, s16, 1
	s_addc_u32 s17, s17, 0
	s_waitcnt vmcnt(0)
	v_and_b32_e32 v26, 0xffff, v2
	v_lshlrev_b64 v[2:3], s14, v[26:27]
	s_add_u32 s14, s14, 8
	s_addc_u32 s15, s15, 0
	v_or_b32_e32 v14, v2, v14
	s_cmp_lg_u32 s18, s16
	v_or_b32_e32 v15, v3, v15
	s_cbranch_scc1 .LBB7_923
	s_branch .LBB7_926
.LBB7_924:                              ;   in Loop: Header=BB7_894 Depth=1
	s_mov_b64 s[14:15], -1
                                        ; implicit-def: $vgpr14_vgpr15
                                        ; implicit-def: $sgpr19
	s_branch .LBB7_927
.LBB7_925:                              ;   in Loop: Header=BB7_894 Depth=1
	v_pk_mov_b32 v[14:15], 0, 0
.LBB7_926:                              ;   in Loop: Header=BB7_894 Depth=1
	s_mov_b64 s[14:15], 0
	s_mov_b32 s19, 0
.LBB7_927:                              ;   in Loop: Header=BB7_894 Depth=1
	s_andn2_b64 vcc, exec, s[14:15]
	s_cbranch_vccnz .LBB7_929
; %bb.928:                              ;   in Loop: Header=BB7_894 Depth=1
	global_load_dwordx2 v[14:15], v27, s[4:5]
	s_add_i32 s19, s18, -8
	s_add_u32 s4, s4, 8
	s_addc_u32 s5, s5, 0
.LBB7_929:                              ;   in Loop: Header=BB7_894 Depth=1
	s_cmp_gt_u32 s19, 7
	s_cbranch_scc1 .LBB7_933
; %bb.930:                              ;   in Loop: Header=BB7_894 Depth=1
	s_cmp_eq_u32 s19, 0
	s_cbranch_scc1 .LBB7_934
; %bb.931:                              ;   in Loop: Header=BB7_894 Depth=1
	s_mov_b64 s[14:15], 0
	v_pk_mov_b32 v[16:17], 0, 0
	s_mov_b64 s[16:17], 0
.LBB7_932:                              ;   Parent Loop BB7_894 Depth=1
                                        ; =>  This Inner Loop Header: Depth=2
	s_add_u32 s20, s4, s16
	s_addc_u32 s21, s5, s17
	global_load_ubyte v2, v27, s[20:21]
	s_add_u32 s16, s16, 1
	s_addc_u32 s17, s17, 0
	s_waitcnt vmcnt(0)
	v_and_b32_e32 v26, 0xffff, v2
	v_lshlrev_b64 v[2:3], s14, v[26:27]
	s_add_u32 s14, s14, 8
	s_addc_u32 s15, s15, 0
	v_or_b32_e32 v16, v2, v16
	s_cmp_lg_u32 s19, s16
	v_or_b32_e32 v17, v3, v17
	s_cbranch_scc1 .LBB7_932
	s_branch .LBB7_935
.LBB7_933:                              ;   in Loop: Header=BB7_894 Depth=1
	s_mov_b64 s[14:15], -1
                                        ; implicit-def: $sgpr18
	s_branch .LBB7_936
.LBB7_934:                              ;   in Loop: Header=BB7_894 Depth=1
	v_pk_mov_b32 v[16:17], 0, 0
.LBB7_935:                              ;   in Loop: Header=BB7_894 Depth=1
	s_mov_b64 s[14:15], 0
	s_mov_b32 s18, 0
.LBB7_936:                              ;   in Loop: Header=BB7_894 Depth=1
	s_andn2_b64 vcc, exec, s[14:15]
	s_cbranch_vccnz .LBB7_938
; %bb.937:                              ;   in Loop: Header=BB7_894 Depth=1
	global_load_dwordx2 v[16:17], v27, s[4:5]
	s_add_i32 s18, s19, -8
	s_add_u32 s4, s4, 8
	s_addc_u32 s5, s5, 0
.LBB7_938:                              ;   in Loop: Header=BB7_894 Depth=1
	s_cmp_gt_u32 s18, 7
	s_cbranch_scc1 .LBB7_942
; %bb.939:                              ;   in Loop: Header=BB7_894 Depth=1
	s_cmp_eq_u32 s18, 0
	s_cbranch_scc1 .LBB7_943
; %bb.940:                              ;   in Loop: Header=BB7_894 Depth=1
	s_mov_b64 s[14:15], 0
	v_pk_mov_b32 v[18:19], 0, 0
	s_mov_b64 s[16:17], 0
.LBB7_941:                              ;   Parent Loop BB7_894 Depth=1
                                        ; =>  This Inner Loop Header: Depth=2
	s_add_u32 s20, s4, s16
	s_addc_u32 s21, s5, s17
	global_load_ubyte v2, v27, s[20:21]
	s_add_u32 s16, s16, 1
	s_addc_u32 s17, s17, 0
	s_waitcnt vmcnt(0)
	v_and_b32_e32 v26, 0xffff, v2
	v_lshlrev_b64 v[2:3], s14, v[26:27]
	s_add_u32 s14, s14, 8
	s_addc_u32 s15, s15, 0
	v_or_b32_e32 v18, v2, v18
	s_cmp_lg_u32 s18, s16
	v_or_b32_e32 v19, v3, v19
	s_cbranch_scc1 .LBB7_941
	s_branch .LBB7_944
.LBB7_942:                              ;   in Loop: Header=BB7_894 Depth=1
	s_mov_b64 s[14:15], -1
                                        ; implicit-def: $vgpr18_vgpr19
                                        ; implicit-def: $sgpr19
	s_branch .LBB7_945
.LBB7_943:                              ;   in Loop: Header=BB7_894 Depth=1
	v_pk_mov_b32 v[18:19], 0, 0
.LBB7_944:                              ;   in Loop: Header=BB7_894 Depth=1
	s_mov_b64 s[14:15], 0
	s_mov_b32 s19, 0
.LBB7_945:                              ;   in Loop: Header=BB7_894 Depth=1
	s_andn2_b64 vcc, exec, s[14:15]
	s_cbranch_vccnz .LBB7_947
; %bb.946:                              ;   in Loop: Header=BB7_894 Depth=1
	global_load_dwordx2 v[18:19], v27, s[4:5]
	s_add_i32 s19, s18, -8
	s_add_u32 s4, s4, 8
	s_addc_u32 s5, s5, 0
.LBB7_947:                              ;   in Loop: Header=BB7_894 Depth=1
	s_cmp_gt_u32 s19, 7
	s_cbranch_scc1 .LBB7_951
; %bb.948:                              ;   in Loop: Header=BB7_894 Depth=1
	s_cmp_eq_u32 s19, 0
	s_cbranch_scc1 .LBB7_952
; %bb.949:                              ;   in Loop: Header=BB7_894 Depth=1
	s_mov_b64 s[14:15], 0
	v_pk_mov_b32 v[20:21], 0, 0
	s_mov_b64 s[16:17], s[4:5]
.LBB7_950:                              ;   Parent Loop BB7_894 Depth=1
                                        ; =>  This Inner Loop Header: Depth=2
	global_load_ubyte v2, v27, s[16:17]
	s_add_i32 s19, s19, -1
	s_waitcnt vmcnt(0)
	v_and_b32_e32 v26, 0xffff, v2
	v_lshlrev_b64 v[2:3], s14, v[26:27]
	s_add_u32 s14, s14, 8
	s_addc_u32 s15, s15, 0
	s_add_u32 s16, s16, 1
	s_addc_u32 s17, s17, 0
	v_or_b32_e32 v20, v2, v20
	s_cmp_lg_u32 s19, 0
	v_or_b32_e32 v21, v3, v21
	s_cbranch_scc1 .LBB7_950
	s_branch .LBB7_953
.LBB7_951:                              ;   in Loop: Header=BB7_894 Depth=1
	s_mov_b64 s[14:15], -1
	s_branch .LBB7_954
.LBB7_952:                              ;   in Loop: Header=BB7_894 Depth=1
	v_pk_mov_b32 v[20:21], 0, 0
.LBB7_953:                              ;   in Loop: Header=BB7_894 Depth=1
	s_mov_b64 s[14:15], 0
.LBB7_954:                              ;   in Loop: Header=BB7_894 Depth=1
	s_andn2_b64 vcc, exec, s[14:15]
	s_cbranch_vccnz .LBB7_956
; %bb.955:                              ;   in Loop: Header=BB7_894 Depth=1
	global_load_dwordx2 v[20:21], v27, s[4:5]
.LBB7_956:                              ;   in Loop: Header=BB7_894 Depth=1
	v_readfirstlane_b32 s4, v33
	v_cmp_eq_u32_e64 s[4:5], s4, v33
	v_pk_mov_b32 v[2:3], 0, 0
	s_and_saveexec_b64 s[14:15], s[4:5]
	s_cbranch_execz .LBB7_962
; %bb.957:                              ;   in Loop: Header=BB7_894 Depth=1
	global_load_dwordx2 v[24:25], v27, s[6:7] offset:24 glc
	s_waitcnt vmcnt(0)
	buffer_invl2
	buffer_wbinvl1_vol
	global_load_dwordx2 v[2:3], v27, s[6:7] offset:40
	global_load_dwordx2 v[22:23], v27, s[6:7]
	s_waitcnt vmcnt(1)
	v_and_b32_e32 v2, v2, v24
	v_and_b32_e32 v3, v3, v25
	v_mul_lo_u32 v3, v3, 24
	v_mul_hi_u32 v26, v2, 24
	v_mul_lo_u32 v2, v2, 24
	v_add_u32_e32 v3, v26, v3
	s_waitcnt vmcnt(0)
	v_add_co_u32_e32 v2, vcc, v22, v2
	v_addc_co_u32_e32 v3, vcc, v23, v3, vcc
	global_load_dwordx2 v[22:23], v[2:3], off glc
	s_waitcnt vmcnt(0)
	global_atomic_cmpswap_x2 v[2:3], v27, v[22:25], s[6:7] offset:24 glc
	s_waitcnt vmcnt(0)
	buffer_invl2
	buffer_wbinvl1_vol
	v_cmp_ne_u64_e32 vcc, v[2:3], v[24:25]
	s_and_saveexec_b64 s[16:17], vcc
	s_cbranch_execz .LBB7_961
; %bb.958:                              ;   in Loop: Header=BB7_894 Depth=1
	s_mov_b64 s[18:19], 0
.LBB7_959:                              ;   Parent Loop BB7_894 Depth=1
                                        ; =>  This Inner Loop Header: Depth=2
	s_sleep 1
	global_load_dwordx2 v[22:23], v27, s[6:7] offset:40
	global_load_dwordx2 v[28:29], v27, s[6:7]
	v_pk_mov_b32 v[24:25], v[2:3], v[2:3] op_sel:[0,1]
	s_waitcnt vmcnt(1)
	v_and_b32_e32 v2, v22, v24
	s_waitcnt vmcnt(0)
	v_mad_u64_u32 v[2:3], s[20:21], v2, 24, v[28:29]
	v_and_b32_e32 v23, v23, v25
	v_mov_b32_e32 v22, v3
	v_mad_u64_u32 v[22:23], s[20:21], v23, 24, v[22:23]
	v_mov_b32_e32 v3, v22
	global_load_dwordx2 v[22:23], v[2:3], off glc
	s_waitcnt vmcnt(0)
	global_atomic_cmpswap_x2 v[2:3], v27, v[22:25], s[6:7] offset:24 glc
	s_waitcnt vmcnt(0)
	buffer_invl2
	buffer_wbinvl1_vol
	v_cmp_eq_u64_e32 vcc, v[2:3], v[24:25]
	s_or_b64 s[18:19], vcc, s[18:19]
	s_andn2_b64 exec, exec, s[18:19]
	s_cbranch_execnz .LBB7_959
; %bb.960:                              ;   in Loop: Header=BB7_894 Depth=1
	s_or_b64 exec, exec, s[18:19]
.LBB7_961:                              ;   in Loop: Header=BB7_894 Depth=1
	s_or_b64 exec, exec, s[16:17]
.LBB7_962:                              ;   in Loop: Header=BB7_894 Depth=1
	s_or_b64 exec, exec, s[14:15]
	global_load_dwordx2 v[28:29], v27, s[6:7] offset:40
	global_load_dwordx4 v[22:25], v27, s[6:7]
	v_readfirstlane_b32 s14, v2
	v_readfirstlane_b32 s15, v3
	s_mov_b64 s[16:17], exec
	s_waitcnt vmcnt(1)
	v_readfirstlane_b32 s18, v28
	v_readfirstlane_b32 s19, v29
	s_and_b64 s[18:19], s[14:15], s[18:19]
	s_mul_i32 s20, s19, 24
	s_mul_hi_u32 s21, s18, 24
	s_mul_i32 s22, s18, 24
	s_add_i32 s20, s21, s20
	v_mov_b32_e32 v2, s20
	s_waitcnt vmcnt(0)
	v_add_co_u32_e32 v28, vcc, s22, v22
	v_addc_co_u32_e32 v29, vcc, v23, v2, vcc
	s_and_saveexec_b64 s[20:21], s[4:5]
	s_cbranch_execz .LBB7_964
; %bb.963:                              ;   in Loop: Header=BB7_894 Depth=1
	v_pk_mov_b32 v[2:3], s[16:17], s[16:17] op_sel:[0,1]
	global_store_dwordx4 v[28:29], v[2:5], off offset:8
.LBB7_964:                              ;   in Loop: Header=BB7_894 Depth=1
	s_or_b64 exec, exec, s[20:21]
	s_lshl_b64 s[16:17], s[18:19], 12
	v_mov_b32_e32 v3, s17
	v_add_co_u32_e32 v2, vcc, s16, v24
	v_addc_co_u32_e32 v3, vcc, v25, v3, vcc
	v_or_b32_e32 v24, 2, v6
	v_cmp_gt_u64_e64 vcc, s[10:11], 56
	s_lshl_b32 s16, s12, 2
	v_cndmask_b32_e32 v6, v24, v6, vcc
	s_add_i32 s16, s16, 28
	s_and_b32 s16, s16, 0x1e0
	v_and_b32_e32 v6, 0xffffff1f, v6
	v_or_b32_e32 v6, s16, v6
	v_readfirstlane_b32 s16, v2
	v_readfirstlane_b32 s17, v3
	s_nop 4
	global_store_dwordx4 v32, v[6:9], s[16:17]
	global_store_dwordx4 v32, v[10:13], s[16:17] offset:16
	global_store_dwordx4 v32, v[14:17], s[16:17] offset:32
	;; [unrolled: 1-line block ×3, first 2 shown]
	s_and_saveexec_b64 s[16:17], s[4:5]
	s_cbranch_execz .LBB7_972
; %bb.965:                              ;   in Loop: Header=BB7_894 Depth=1
	global_load_dwordx2 v[14:15], v27, s[6:7] offset:32 glc
	global_load_dwordx2 v[6:7], v27, s[6:7] offset:40
	v_mov_b32_e32 v12, s14
	v_mov_b32_e32 v13, s15
	s_waitcnt vmcnt(0)
	v_readfirstlane_b32 s18, v6
	v_readfirstlane_b32 s19, v7
	s_and_b64 s[18:19], s[18:19], s[14:15]
	s_mul_i32 s19, s19, 24
	s_mul_hi_u32 s20, s18, 24
	s_mul_i32 s18, s18, 24
	s_add_i32 s19, s20, s19
	v_mov_b32_e32 v6, s19
	v_add_co_u32_e32 v10, vcc, s18, v22
	v_addc_co_u32_e32 v11, vcc, v23, v6, vcc
	global_store_dwordx2 v[10:11], v[14:15], off
	buffer_wbl2
	s_waitcnt vmcnt(0)
	global_atomic_cmpswap_x2 v[8:9], v27, v[12:15], s[6:7] offset:32 glc
	s_waitcnt vmcnt(0)
	v_cmp_ne_u64_e32 vcc, v[8:9], v[14:15]
	s_and_saveexec_b64 s[18:19], vcc
	s_cbranch_execz .LBB7_968
; %bb.966:                              ;   in Loop: Header=BB7_894 Depth=1
	s_mov_b64 s[20:21], 0
.LBB7_967:                              ;   Parent Loop BB7_894 Depth=1
                                        ; =>  This Inner Loop Header: Depth=2
	s_sleep 1
	global_store_dwordx2 v[10:11], v[8:9], off
	v_mov_b32_e32 v6, s14
	v_mov_b32_e32 v7, s15
	buffer_wbl2
	s_waitcnt vmcnt(0)
	global_atomic_cmpswap_x2 v[6:7], v27, v[6:9], s[6:7] offset:32 glc
	s_waitcnt vmcnt(0)
	v_cmp_eq_u64_e32 vcc, v[6:7], v[8:9]
	s_or_b64 s[20:21], vcc, s[20:21]
	v_pk_mov_b32 v[8:9], v[6:7], v[6:7] op_sel:[0,1]
	s_andn2_b64 exec, exec, s[20:21]
	s_cbranch_execnz .LBB7_967
.LBB7_968:                              ;   in Loop: Header=BB7_894 Depth=1
	s_or_b64 exec, exec, s[18:19]
	global_load_dwordx2 v[6:7], v27, s[6:7] offset:16
	s_mov_b64 s[20:21], exec
	v_mbcnt_lo_u32_b32 v8, s20, 0
	v_mbcnt_hi_u32_b32 v8, s21, v8
	v_cmp_eq_u32_e32 vcc, 0, v8
	s_and_saveexec_b64 s[18:19], vcc
	s_cbranch_execz .LBB7_970
; %bb.969:                              ;   in Loop: Header=BB7_894 Depth=1
	s_bcnt1_i32_b64 s20, s[20:21]
	v_mov_b32_e32 v26, s20
	buffer_wbl2
	s_waitcnt vmcnt(0)
	global_atomic_add_x2 v[6:7], v[26:27], off offset:8
.LBB7_970:                              ;   in Loop: Header=BB7_894 Depth=1
	s_or_b64 exec, exec, s[18:19]
	s_waitcnt vmcnt(0)
	global_load_dwordx2 v[8:9], v[6:7], off offset:16
	s_waitcnt vmcnt(0)
	v_cmp_eq_u64_e32 vcc, 0, v[8:9]
	s_cbranch_vccnz .LBB7_972
; %bb.971:                              ;   in Loop: Header=BB7_894 Depth=1
	global_load_dword v26, v[6:7], off offset:24
	s_waitcnt vmcnt(0)
	v_and_b32_e32 v6, 0xffffff, v26
	v_readfirstlane_b32 m0, v6
	buffer_wbl2
	global_store_dwordx2 v[8:9], v[26:27], off
	s_sendmsg sendmsg(MSG_INTERRUPT)
.LBB7_972:                              ;   in Loop: Header=BB7_894 Depth=1
	s_or_b64 exec, exec, s[16:17]
	v_add_co_u32_e32 v2, vcc, v2, v32
	v_addc_co_u32_e32 v3, vcc, 0, v3, vcc
	s_branch .LBB7_974
.LBB7_973:                              ;   in Loop: Header=BB7_894 Depth=1
	s_branch .LBB7_978
.LBB7_974:                              ;   Parent Loop BB7_894 Depth=1
                                        ; =>  This Inner Loop Header: Depth=2
	v_mov_b32_e32 v6, 1
	s_and_saveexec_b64 s[16:17], s[4:5]
	s_cbranch_execz .LBB7_976
; %bb.975:                              ;   in Loop: Header=BB7_974 Depth=2
	global_load_dword v6, v[28:29], off offset:20 glc
	s_waitcnt vmcnt(0)
	buffer_invl2
	buffer_wbinvl1_vol
	v_and_b32_e32 v6, 1, v6
.LBB7_976:                              ;   in Loop: Header=BB7_974 Depth=2
	s_or_b64 exec, exec, s[16:17]
	v_readfirstlane_b32 s16, v6
	s_cmp_eq_u32 s16, 0
	s_cbranch_scc1 .LBB7_973
; %bb.977:                              ;   in Loop: Header=BB7_974 Depth=2
	s_sleep 1
	s_cbranch_execnz .LBB7_974
.LBB7_978:                              ;   in Loop: Header=BB7_894 Depth=1
	global_load_dwordx4 v[6:9], v[2:3], off
	s_and_saveexec_b64 s[16:17], s[4:5]
	s_cbranch_execz .LBB7_893
; %bb.979:                              ;   in Loop: Header=BB7_894 Depth=1
	global_load_dwordx2 v[2:3], v27, s[6:7] offset:40
	global_load_dwordx2 v[12:13], v27, s[6:7] offset:24 glc
	global_load_dwordx2 v[14:15], v27, s[6:7]
	s_waitcnt vmcnt(3)
	v_mov_b32_e32 v9, s15
	s_waitcnt vmcnt(2)
	v_add_co_u32_e32 v11, vcc, 1, v2
	v_addc_co_u32_e32 v16, vcc, 0, v3, vcc
	v_add_co_u32_e32 v8, vcc, s14, v11
	v_addc_co_u32_e32 v9, vcc, v16, v9, vcc
	v_cmp_eq_u64_e32 vcc, 0, v[8:9]
	v_cndmask_b32_e32 v9, v9, v16, vcc
	v_cndmask_b32_e32 v8, v8, v11, vcc
	v_and_b32_e32 v3, v9, v3
	v_and_b32_e32 v2, v8, v2
	v_mul_lo_u32 v3, v3, 24
	v_mul_hi_u32 v11, v2, 24
	v_mul_lo_u32 v2, v2, 24
	v_add_u32_e32 v3, v11, v3
	s_waitcnt vmcnt(0)
	v_add_co_u32_e32 v2, vcc, v14, v2
	v_addc_co_u32_e32 v3, vcc, v15, v3, vcc
	v_mov_b32_e32 v10, v12
	global_store_dwordx2 v[2:3], v[12:13], off
	v_mov_b32_e32 v11, v13
	buffer_wbl2
	s_waitcnt vmcnt(0)
	global_atomic_cmpswap_x2 v[10:11], v27, v[8:11], s[6:7] offset:24 glc
	s_waitcnt vmcnt(0)
	v_cmp_ne_u64_e32 vcc, v[10:11], v[12:13]
	s_and_b64 exec, exec, vcc
	s_cbranch_execz .LBB7_893
; %bb.980:                              ;   in Loop: Header=BB7_894 Depth=1
	s_mov_b64 s[4:5], 0
.LBB7_981:                              ;   Parent Loop BB7_894 Depth=1
                                        ; =>  This Inner Loop Header: Depth=2
	s_sleep 1
	global_store_dwordx2 v[2:3], v[10:11], off
	buffer_wbl2
	s_waitcnt vmcnt(0)
	global_atomic_cmpswap_x2 v[12:13], v27, v[8:11], s[6:7] offset:24 glc
	s_waitcnt vmcnt(0)
	v_cmp_eq_u64_e32 vcc, v[12:13], v[10:11]
	s_or_b64 s[4:5], vcc, s[4:5]
	v_pk_mov_b32 v[10:11], v[12:13], v[12:13] op_sel:[0,1]
	s_andn2_b64 exec, exec, s[4:5]
	s_cbranch_execnz .LBB7_981
	s_branch .LBB7_893
.LBB7_982:
	s_mov_b64 s[4:5], 0
.LBB7_983:
	s_and_b64 vcc, exec, s[4:5]
	s_cbranch_vccz .LBB7_1010
; %bb.984:
	v_readfirstlane_b32 s4, v33
	v_cmp_eq_u32_e64 s[4:5], s4, v33
	s_waitcnt vmcnt(0)
	v_pk_mov_b32 v[8:9], 0, 0
	s_and_saveexec_b64 s[8:9], s[4:5]
	s_cbranch_execz .LBB7_990
; %bb.985:
	v_mov_b32_e32 v2, 0
	global_load_dwordx2 v[6:7], v2, s[6:7] offset:24 glc
	s_waitcnt vmcnt(0)
	buffer_invl2
	buffer_wbinvl1_vol
	global_load_dwordx2 v[4:5], v2, s[6:7] offset:40
	global_load_dwordx2 v[8:9], v2, s[6:7]
	s_waitcnt vmcnt(1)
	v_and_b32_e32 v3, v4, v6
	v_and_b32_e32 v4, v5, v7
	v_mul_lo_u32 v4, v4, 24
	v_mul_hi_u32 v5, v3, 24
	v_mul_lo_u32 v3, v3, 24
	v_add_u32_e32 v5, v5, v4
	s_waitcnt vmcnt(0)
	v_add_co_u32_e32 v4, vcc, v8, v3
	v_addc_co_u32_e32 v5, vcc, v9, v5, vcc
	global_load_dwordx2 v[4:5], v[4:5], off glc
	s_waitcnt vmcnt(0)
	global_atomic_cmpswap_x2 v[8:9], v2, v[4:7], s[6:7] offset:24 glc
	s_waitcnt vmcnt(0)
	buffer_invl2
	buffer_wbinvl1_vol
	v_cmp_ne_u64_e32 vcc, v[8:9], v[6:7]
	s_and_saveexec_b64 s[10:11], vcc
	s_cbranch_execz .LBB7_989
; %bb.986:
	s_mov_b64 s[12:13], 0
.LBB7_987:                              ; =>This Inner Loop Header: Depth=1
	s_sleep 1
	global_load_dwordx2 v[4:5], v2, s[6:7] offset:40
	global_load_dwordx2 v[10:11], v2, s[6:7]
	v_pk_mov_b32 v[6:7], v[8:9], v[8:9] op_sel:[0,1]
	s_waitcnt vmcnt(1)
	v_and_b32_e32 v4, v4, v6
	v_and_b32_e32 v3, v5, v7
	s_waitcnt vmcnt(0)
	v_mad_u64_u32 v[4:5], s[14:15], v4, 24, v[10:11]
	v_mov_b32_e32 v8, v5
	v_mad_u64_u32 v[8:9], s[14:15], v3, 24, v[8:9]
	v_mov_b32_e32 v5, v8
	global_load_dwordx2 v[4:5], v[4:5], off glc
	s_waitcnt vmcnt(0)
	global_atomic_cmpswap_x2 v[8:9], v2, v[4:7], s[6:7] offset:24 glc
	s_waitcnt vmcnt(0)
	buffer_invl2
	buffer_wbinvl1_vol
	v_cmp_eq_u64_e32 vcc, v[8:9], v[6:7]
	s_or_b64 s[12:13], vcc, s[12:13]
	s_andn2_b64 exec, exec, s[12:13]
	s_cbranch_execnz .LBB7_987
; %bb.988:
	s_or_b64 exec, exec, s[12:13]
.LBB7_989:
	s_or_b64 exec, exec, s[10:11]
.LBB7_990:
	s_or_b64 exec, exec, s[8:9]
	v_mov_b32_e32 v2, 0
	global_load_dwordx2 v[10:11], v2, s[6:7] offset:40
	global_load_dwordx4 v[4:7], v2, s[6:7]
	v_readfirstlane_b32 s8, v8
	v_readfirstlane_b32 s9, v9
	s_mov_b64 s[10:11], exec
	s_waitcnt vmcnt(1)
	v_readfirstlane_b32 s12, v10
	v_readfirstlane_b32 s13, v11
	s_and_b64 s[12:13], s[8:9], s[12:13]
	s_mul_i32 s14, s13, 24
	s_mul_hi_u32 s15, s12, 24
	s_mul_i32 s16, s12, 24
	s_add_i32 s14, s15, s14
	v_mov_b32_e32 v3, s14
	s_waitcnt vmcnt(0)
	v_add_co_u32_e32 v8, vcc, s16, v4
	v_addc_co_u32_e32 v9, vcc, v5, v3, vcc
	s_and_saveexec_b64 s[14:15], s[4:5]
	s_cbranch_execz .LBB7_992
; %bb.991:
	v_pk_mov_b32 v[10:11], s[10:11], s[10:11] op_sel:[0,1]
	v_mov_b32_e32 v12, 2
	v_mov_b32_e32 v13, 1
	global_store_dwordx4 v[8:9], v[10:13], off offset:8
.LBB7_992:
	s_or_b64 exec, exec, s[14:15]
	s_lshl_b64 s[10:11], s[12:13], 12
	v_mov_b32_e32 v3, s11
	v_add_co_u32_e32 v6, vcc, s10, v6
	v_addc_co_u32_e32 v7, vcc, v7, v3, vcc
	s_movk_i32 s10, 0xff1d
	s_mov_b32 s12, 0
	v_and_or_b32 v0, v0, s10, 34
	v_mov_b32_e32 v3, v2
	v_readfirstlane_b32 s10, v6
	v_readfirstlane_b32 s11, v7
	s_mov_b32 s13, s12
	s_mov_b32 s14, s12
	;; [unrolled: 1-line block ×3, first 2 shown]
	s_nop 1
	global_store_dwordx4 v32, v[0:3], s[10:11]
	s_nop 0
	v_pk_mov_b32 v[0:1], s[12:13], s[12:13] op_sel:[0,1]
	v_pk_mov_b32 v[2:3], s[14:15], s[14:15] op_sel:[0,1]
	global_store_dwordx4 v32, v[0:3], s[10:11] offset:16
	global_store_dwordx4 v32, v[0:3], s[10:11] offset:32
	;; [unrolled: 1-line block ×3, first 2 shown]
	s_and_saveexec_b64 s[10:11], s[4:5]
	s_cbranch_execz .LBB7_1000
; %bb.993:
	v_mov_b32_e32 v6, 0
	global_load_dwordx2 v[12:13], v6, s[6:7] offset:32 glc
	global_load_dwordx2 v[0:1], v6, s[6:7] offset:40
	v_mov_b32_e32 v10, s8
	v_mov_b32_e32 v11, s9
	s_waitcnt vmcnt(0)
	v_readfirstlane_b32 s12, v0
	v_readfirstlane_b32 s13, v1
	s_and_b64 s[12:13], s[12:13], s[8:9]
	s_mul_i32 s13, s13, 24
	s_mul_hi_u32 s14, s12, 24
	s_mul_i32 s12, s12, 24
	s_add_i32 s13, s14, s13
	v_mov_b32_e32 v0, s13
	v_add_co_u32_e32 v4, vcc, s12, v4
	v_addc_co_u32_e32 v5, vcc, v5, v0, vcc
	global_store_dwordx2 v[4:5], v[12:13], off
	buffer_wbl2
	s_waitcnt vmcnt(0)
	global_atomic_cmpswap_x2 v[2:3], v6, v[10:13], s[6:7] offset:32 glc
	s_waitcnt vmcnt(0)
	v_cmp_ne_u64_e32 vcc, v[2:3], v[12:13]
	s_and_saveexec_b64 s[12:13], vcc
	s_cbranch_execz .LBB7_996
; %bb.994:
	s_mov_b64 s[14:15], 0
.LBB7_995:                              ; =>This Inner Loop Header: Depth=1
	s_sleep 1
	global_store_dwordx2 v[4:5], v[2:3], off
	v_mov_b32_e32 v0, s8
	v_mov_b32_e32 v1, s9
	buffer_wbl2
	s_waitcnt vmcnt(0)
	global_atomic_cmpswap_x2 v[0:1], v6, v[0:3], s[6:7] offset:32 glc
	s_waitcnt vmcnt(0)
	v_cmp_eq_u64_e32 vcc, v[0:1], v[2:3]
	s_or_b64 s[14:15], vcc, s[14:15]
	v_pk_mov_b32 v[2:3], v[0:1], v[0:1] op_sel:[0,1]
	s_andn2_b64 exec, exec, s[14:15]
	s_cbranch_execnz .LBB7_995
.LBB7_996:
	s_or_b64 exec, exec, s[12:13]
	v_mov_b32_e32 v3, 0
	global_load_dwordx2 v[0:1], v3, s[6:7] offset:16
	s_mov_b64 s[12:13], exec
	v_mbcnt_lo_u32_b32 v2, s12, 0
	v_mbcnt_hi_u32_b32 v2, s13, v2
	v_cmp_eq_u32_e32 vcc, 0, v2
	s_and_saveexec_b64 s[14:15], vcc
	s_cbranch_execz .LBB7_998
; %bb.997:
	s_bcnt1_i32_b64 s12, s[12:13]
	v_mov_b32_e32 v2, s12
	buffer_wbl2
	s_waitcnt vmcnt(0)
	global_atomic_add_x2 v[0:1], v[2:3], off offset:8
.LBB7_998:
	s_or_b64 exec, exec, s[14:15]
	s_waitcnt vmcnt(0)
	global_load_dwordx2 v[2:3], v[0:1], off offset:16
	s_waitcnt vmcnt(0)
	v_cmp_eq_u64_e32 vcc, 0, v[2:3]
	s_cbranch_vccnz .LBB7_1000
; %bb.999:
	global_load_dword v0, v[0:1], off offset:24
	v_mov_b32_e32 v1, 0
	buffer_wbl2
	s_waitcnt vmcnt(0)
	global_store_dwordx2 v[2:3], v[0:1], off
	v_and_b32_e32 v0, 0xffffff, v0
	v_readfirstlane_b32 m0, v0
	s_sendmsg sendmsg(MSG_INTERRUPT)
.LBB7_1000:
	s_or_b64 exec, exec, s[10:11]
	s_branch .LBB7_1002
.LBB7_1001:
	s_branch .LBB7_1006
.LBB7_1002:                             ; =>This Inner Loop Header: Depth=1
	v_mov_b32_e32 v0, 1
	s_and_saveexec_b64 s[10:11], s[4:5]
	s_cbranch_execz .LBB7_1004
; %bb.1003:                             ;   in Loop: Header=BB7_1002 Depth=1
	global_load_dword v0, v[8:9], off offset:20 glc
	s_waitcnt vmcnt(0)
	buffer_invl2
	buffer_wbinvl1_vol
	v_and_b32_e32 v0, 1, v0
.LBB7_1004:                             ;   in Loop: Header=BB7_1002 Depth=1
	s_or_b64 exec, exec, s[10:11]
	v_readfirstlane_b32 s10, v0
	s_cmp_eq_u32 s10, 0
	s_cbranch_scc1 .LBB7_1001
; %bb.1005:                             ;   in Loop: Header=BB7_1002 Depth=1
	s_sleep 1
	s_cbranch_execnz .LBB7_1002
.LBB7_1006:
	s_and_saveexec_b64 s[10:11], s[4:5]
	s_cbranch_execz .LBB7_1009
; %bb.1007:
	v_mov_b32_e32 v6, 0
	global_load_dwordx2 v[4:5], v6, s[6:7] offset:40
	global_load_dwordx2 v[8:9], v6, s[6:7] offset:24 glc
	global_load_dwordx2 v[10:11], v6, s[6:7]
	v_mov_b32_e32 v1, s9
	s_mov_b64 s[4:5], 0
	s_waitcnt vmcnt(2)
	v_add_co_u32_e32 v3, vcc, 1, v4
	v_addc_co_u32_e32 v7, vcc, 0, v5, vcc
	v_add_co_u32_e32 v0, vcc, s8, v3
	v_addc_co_u32_e32 v1, vcc, v7, v1, vcc
	v_cmp_eq_u64_e32 vcc, 0, v[0:1]
	v_cndmask_b32_e32 v1, v1, v7, vcc
	v_cndmask_b32_e32 v0, v0, v3, vcc
	v_and_b32_e32 v3, v1, v5
	v_and_b32_e32 v4, v0, v4
	v_mul_lo_u32 v3, v3, 24
	v_mul_hi_u32 v5, v4, 24
	v_mul_lo_u32 v4, v4, 24
	v_add_u32_e32 v3, v5, v3
	s_waitcnt vmcnt(0)
	v_add_co_u32_e32 v4, vcc, v10, v4
	v_addc_co_u32_e32 v5, vcc, v11, v3, vcc
	v_mov_b32_e32 v2, v8
	global_store_dwordx2 v[4:5], v[8:9], off
	v_mov_b32_e32 v3, v9
	buffer_wbl2
	s_waitcnt vmcnt(0)
	global_atomic_cmpswap_x2 v[2:3], v6, v[0:3], s[6:7] offset:24 glc
	s_waitcnt vmcnt(0)
	v_cmp_ne_u64_e32 vcc, v[2:3], v[8:9]
	s_and_b64 exec, exec, vcc
	s_cbranch_execz .LBB7_1009
.LBB7_1008:                             ; =>This Inner Loop Header: Depth=1
	s_sleep 1
	global_store_dwordx2 v[4:5], v[2:3], off
	buffer_wbl2
	s_waitcnt vmcnt(0)
	global_atomic_cmpswap_x2 v[8:9], v6, v[0:3], s[6:7] offset:24 glc
	s_waitcnt vmcnt(0)
	v_cmp_eq_u64_e32 vcc, v[8:9], v[2:3]
	s_or_b64 s[4:5], vcc, s[4:5]
	v_pk_mov_b32 v[2:3], v[8:9], v[8:9] op_sel:[0,1]
	s_andn2_b64 exec, exec, s[4:5]
	s_cbranch_execnz .LBB7_1008
.LBB7_1009:
	s_or_b64 exec, exec, s[10:11]
.LBB7_1010:
	v_readlane_b32 s4, v70, 2
	v_readlane_b32 s5, v70, 3
	s_or_b64 s[4:5], s[4:5], exec
	s_trap 2
	s_branch .LBB7_682
	.section	.rodata,"a",@progbits
	.p2align	6, 0x0
	.amdhsa_kernel _Z24prepareReconstructArraysPKiS0_S0_S0_S0_S0_S0_PKjS2_iPiS3_S3_iiii
		.amdhsa_group_segment_fixed_size 0
		.amdhsa_private_segment_fixed_size 64
		.amdhsa_kernarg_size 376
		.amdhsa_user_sgpr_count 8
		.amdhsa_user_sgpr_private_segment_buffer 1
		.amdhsa_user_sgpr_dispatch_ptr 0
		.amdhsa_user_sgpr_queue_ptr 0
		.amdhsa_user_sgpr_kernarg_segment_ptr 1
		.amdhsa_user_sgpr_dispatch_id 0
		.amdhsa_user_sgpr_flat_scratch_init 1
		.amdhsa_user_sgpr_kernarg_preload_length 0
		.amdhsa_user_sgpr_kernarg_preload_offset 0
		.amdhsa_user_sgpr_private_segment_size 0
		.amdhsa_uses_dynamic_stack 0
		.amdhsa_system_sgpr_private_segment_wavefront_offset 1
		.amdhsa_system_sgpr_workgroup_id_x 1
		.amdhsa_system_sgpr_workgroup_id_y 0
		.amdhsa_system_sgpr_workgroup_id_z 0
		.amdhsa_system_sgpr_workgroup_info 0
		.amdhsa_system_vgpr_workitem_id 0
		.amdhsa_next_free_vgpr 104
		.amdhsa_next_free_sgpr 100
		.amdhsa_accum_offset 72
		.amdhsa_reserve_vcc 1
		.amdhsa_reserve_flat_scratch 1
		.amdhsa_float_round_mode_32 0
		.amdhsa_float_round_mode_16_64 0
		.amdhsa_float_denorm_mode_32 3
		.amdhsa_float_denorm_mode_16_64 3
		.amdhsa_dx10_clamp 1
		.amdhsa_ieee_mode 1
		.amdhsa_fp16_overflow 0
		.amdhsa_tg_split 0
		.amdhsa_exception_fp_ieee_invalid_op 0
		.amdhsa_exception_fp_denorm_src 0
		.amdhsa_exception_fp_ieee_div_zero 0
		.amdhsa_exception_fp_ieee_overflow 0
		.amdhsa_exception_fp_ieee_underflow 0
		.amdhsa_exception_fp_ieee_inexact 0
		.amdhsa_exception_int_div_zero 0
	.end_amdhsa_kernel
	.text
.Lfunc_end7:
	.size	_Z24prepareReconstructArraysPKiS0_S0_S0_S0_S0_S0_PKjS2_iPiS3_S3_iiii, .Lfunc_end7-_Z24prepareReconstructArraysPKiS0_S0_S0_S0_S0_S0_PKjS2_iPiS3_S3_iiii
                                        ; -- End function
	.section	.AMDGPU.csdata,"",@progbits
; Kernel info:
; codeLenInByte = 39620
; NumSgprs: 106
; NumVgprs: 71
; NumAgprs: 32
; TotalNumVgprs: 104
; ScratchSize: 64
; MemoryBound: 0
; FloatMode: 240
; IeeeMode: 1
; LDSByteSize: 0 bytes/workgroup (compile time only)
; SGPRBlocks: 13
; VGPRBlocks: 12
; NumSGPRsForWavesPerEU: 106
; NumVGPRsForWavesPerEU: 104
; AccumOffset: 72
; Occupancy: 4
; WaveLimiterHint : 1
; COMPUTE_PGM_RSRC2:SCRATCH_EN: 1
; COMPUTE_PGM_RSRC2:USER_SGPR: 8
; COMPUTE_PGM_RSRC2:TRAP_HANDLER: 0
; COMPUTE_PGM_RSRC2:TGID_X_EN: 1
; COMPUTE_PGM_RSRC2:TGID_Y_EN: 0
; COMPUTE_PGM_RSRC2:TGID_Z_EN: 0
; COMPUTE_PGM_RSRC2:TIDIG_COMP_CNT: 0
; COMPUTE_PGM_RSRC3_GFX90A:ACCUM_OFFSET: 17
; COMPUTE_PGM_RSRC3_GFX90A:TG_SPLIT: 0
	.text
	.protected	_Z18addBackLocalArraysPiS_S_PKjPKiS1_ii ; -- Begin function _Z18addBackLocalArraysPiS_S_PKjPKiS1_ii
	.globl	_Z18addBackLocalArraysPiS_S_PKjPKiS1_ii
	.p2align	8
	.type	_Z18addBackLocalArraysPiS_S_PKjPKiS1_ii,@function
_Z18addBackLocalArraysPiS_S_PKjPKiS1_ii: ; @_Z18addBackLocalArraysPiS_S_PKjPKiS1_ii
; %bb.0:
	s_load_dword s0, s[4:5], 0x44
	s_load_dwordx2 s[12:13], s[4:5], 0x30
	s_waitcnt lgkmcnt(0)
	s_and_b32 s0, s0, 0xffff
	s_mul_i32 s6, s6, s0
	v_add_u32_e32 v2, s6, v0
	v_cmp_gt_i32_e32 vcc, s12, v2
	s_and_saveexec_b64 s[0:1], vcc
	s_cbranch_execz .LBB8_22
; %bb.1:
	s_load_dwordx4 s[0:3], s[4:5], 0x20
	v_ashrrev_i32_e32 v3, 31, v2
	v_lshlrev_b64 v[0:1], 2, v[2:3]
	s_load_dwordx8 s[4:11], s[4:5], 0x0
	s_mov_b64 s[16:17], 0
	s_waitcnt lgkmcnt(0)
	v_mov_b32_e32 v3, s1
	v_add_co_u32_e32 v4, vcc, s0, v0
	v_addc_co_u32_e32 v5, vcc, v3, v1, vcc
	global_load_dword v3, v[4:5], off
	s_mov_b64 s[0:1], 0
                                        ; implicit-def: $vgpr8
	s_waitcnt vmcnt(0)
	v_cmp_lt_i32_e32 vcc, 1, v3
	s_and_saveexec_b64 s[14:15], vcc
	s_xor_b64 s[14:15], exec, s[14:15]
	s_cbranch_execnz .LBB8_5
; %bb.2:
	s_andn2_saveexec_b64 s[14:15], s[14:15]
	s_cbranch_execnz .LBB8_8
.LBB8_3:
	s_or_b64 exec, exec, s[14:15]
	s_and_saveexec_b64 s[14:15], s[16:17]
	s_cbranch_execnz .LBB8_9
.LBB8_4:
	s_or_b64 exec, exec, s[14:15]
	s_and_b64 exec, exec, s[0:1]
	s_cbranch_execnz .LBB8_10
	s_branch .LBB8_22
.LBB8_5:
	v_cmp_eq_u32_e32 vcc, 2, v3
	s_mov_b64 s[16:17], -1
                                        ; implicit-def: $vgpr8
	s_and_saveexec_b64 s[18:19], vcc
	s_cbranch_execz .LBB8_7
; %bb.6:
	v_mov_b32_e32 v3, s11
	v_add_co_u32_e32 v4, vcc, s10, v0
	v_addc_co_u32_e32 v5, vcc, v3, v1, vcc
	global_load_dword v8, v[4:5], off
	s_mov_b64 s[0:1], exec
	s_xor_b64 s[16:17], exec, -1
.LBB8_7:
	s_or_b64 exec, exec, s[18:19]
	s_and_b64 s[0:1], s[0:1], exec
	s_and_b64 s[16:17], s[16:17], exec
                                        ; implicit-def: $vgpr3
	s_andn2_saveexec_b64 s[14:15], s[14:15]
	s_cbranch_execz .LBB8_3
.LBB8_8:
	v_cmp_ne_u32_e32 vcc, 0, v3
	s_andn2_b64 s[16:17], s[16:17], exec
	s_and_b64 s[18:19], vcc, exec
	s_or_b64 s[16:17], s[16:17], s[18:19]
                                        ; implicit-def: $vgpr8
	s_or_b64 exec, exec, s[14:15]
	s_and_saveexec_b64 s[14:15], s[16:17]
	s_cbranch_execz .LBB8_4
.LBB8_9:
	v_mov_b32_e32 v3, s11
	v_add_co_u32_e32 v4, vcc, s10, v0
	v_addc_co_u32_e32 v5, vcc, v3, v1, vcc
	global_load_dword v3, v[4:5], off
	s_or_b64 s[0:1], s[0:1], exec
	s_waitcnt vmcnt(0)
	v_lshlrev_b32_e32 v8, 1, v3
	s_or_b64 exec, exec, s[14:15]
	s_and_b64 exec, exec, s[0:1]
	s_cbranch_execz .LBB8_22
.LBB8_10:
	v_mov_b32_e32 v3, s9
	v_add_co_u32_e32 v4, vcc, s8, v0
	v_addc_co_u32_e32 v5, vcc, v3, v1, vcc
	global_load_dword v9, v[4:5], off
	v_mul_lo_u32 v2, v2, s13
	s_mov_b64 s[0:1], -1
	s_waitcnt vmcnt(0)
	v_cmp_lt_i32_e32 vcc, 0, v9
	s_and_saveexec_b64 s[8:9], vcc
	s_cbranch_execz .LBB8_16
; %bb.11:
	v_ashrrev_i32_e32 v3, 31, v2
	v_lshlrev_b64 v[6:7], 2, v[2:3]
	v_mov_b32_e32 v3, s5
	v_add_co_u32_e64 v6, s[0:1], s4, v6
	v_addc_co_u32_e64 v7, s[0:1], v3, v7, s[0:1]
	s_mov_b64 s[10:11], 0
	v_mov_b32_e32 v3, v9
                                        ; implicit-def: $sgpr12_sgpr13
                                        ; implicit-def: $sgpr16_sgpr17
                                        ; implicit-def: $sgpr14_sgpr15
	s_branch .LBB8_13
.LBB8_12:                               ;   in Loop: Header=BB8_13 Depth=1
	s_or_b64 exec, exec, s[18:19]
	s_xor_b64 s[0:1], s[14:15], -1
	s_and_b64 s[18:19], exec, s[16:17]
	s_or_b64 s[10:11], s[18:19], s[10:11]
	s_andn2_b64 s[12:13], s[12:13], exec
	s_and_b64 s[0:1], s[0:1], exec
	s_or_b64 s[12:13], s[12:13], s[0:1]
	s_andn2_b64 exec, exec, s[10:11]
	s_cbranch_execz .LBB8_15
.LBB8_13:                               ; =>This Inner Loop Header: Depth=1
	global_load_dword v10, v[6:7], off
	s_or_b64 s[14:15], s[14:15], exec
	s_or_b64 s[16:17], s[16:17], exec
	s_waitcnt vmcnt(0)
	v_cmp_ne_u32_e64 s[0:1], v10, v8
	s_and_saveexec_b64 s[18:19], s[0:1]
	s_cbranch_execz .LBB8_12
; %bb.14:                               ;   in Loop: Header=BB8_13 Depth=1
	v_add_co_u32_e64 v6, s[0:1], 4, v6
	v_add_u32_e32 v3, -1, v3
	v_addc_co_u32_e64 v7, s[0:1], 0, v7, s[0:1]
	v_cmp_eq_u32_e64 s[0:1], 0, v3
	s_andn2_b64 s[16:17], s[16:17], exec
	s_and_b64 s[0:1], s[0:1], exec
	s_andn2_b64 s[14:15], s[14:15], exec
	s_or_b64 s[16:17], s[16:17], s[0:1]
	s_branch .LBB8_12
.LBB8_15:
	s_or_b64 exec, exec, s[10:11]
	s_orn2_b64 s[0:1], s[12:13], exec
.LBB8_16:
	s_or_b64 exec, exec, s[8:9]
	s_and_b64 exec, exec, s[0:1]
	s_cbranch_execz .LBB8_22
; %bb.17:
	v_add_u32_e32 v2, v9, v2
	v_ashrrev_i32_e32 v3, 31, v2
	v_lshlrev_b64 v[2:3], 2, v[2:3]
	v_mov_b32_e32 v7, s5
	v_add_co_u32_e64 v6, s[0:1], s4, v2
	v_addc_co_u32_e64 v7, s[0:1], v7, v3, s[0:1]
	global_store_dword v[6:7], v8, off
	v_mov_b32_e32 v6, s3
	v_add_co_u32_e64 v0, s[0:1], s2, v0
	v_addc_co_u32_e64 v1, s[0:1], v6, v1, s[0:1]
	global_load_dword v6, v[0:1], off
	v_mov_b32_e32 v1, s7
	v_add_co_u32_e64 v0, s[0:1], s6, v2
	v_addc_co_u32_e64 v1, s[0:1], v1, v3, s[0:1]
	s_waitcnt vmcnt(0)
	global_store_dword v[0:1], v6, off
	global_load_dword v0, v[4:5], off
	s_waitcnt vmcnt(0)
	v_add_u32_e32 v0, 1, v0
	global_store_dword v[4:5], v0, off
	s_and_b64 exec, exec, vcc
	s_cbranch_execz .LBB8_22
; %bb.18:
	v_add_co_u32_e32 v2, vcc, -4, v2
	v_addc_co_u32_e32 v3, vcc, -1, v3, vcc
	v_mov_b32_e32 v1, s7
	v_add_co_u32_e32 v0, vcc, s6, v2
	v_addc_co_u32_e32 v1, vcc, v1, v3, vcc
	v_mov_b32_e32 v5, s5
	v_add_co_u32_e32 v2, vcc, s4, v2
	v_add_u32_e32 v4, 1, v9
	v_addc_co_u32_e32 v3, vcc, v5, v3, vcc
	s_mov_b64 s[0:1], 0
                                        ; implicit-def: $sgpr2_sgpr3
	s_branch .LBB8_20
.LBB8_19:                               ;   in Loop: Header=BB8_20 Depth=1
	s_or_b64 exec, exec, s[4:5]
	s_and_b64 s[4:5], exec, s[2:3]
	s_or_b64 s[0:1], s[4:5], s[0:1]
	s_andn2_b64 exec, exec, s[0:1]
	s_cbranch_execz .LBB8_22
.LBB8_20:                               ; =>This Inner Loop Header: Depth=1
	global_load_dwordx2 v[6:7], v[0:1], off
	s_or_b64 s[2:3], s[2:3], exec
	s_waitcnt vmcnt(0)
	v_cmp_gt_i32_e32 vcc, v7, v6
	s_and_saveexec_b64 s[4:5], vcc
	s_cbranch_execz .LBB8_19
; %bb.21:                               ;   in Loop: Header=BB8_20 Depth=1
	global_load_dwordx2 v[6:7], v[2:3], off
	v_add_u32_e32 v4, -1, v4
	v_cmp_gt_u32_e32 vcc, 2, v4
	s_and_b64 s[6:7], vcc, exec
	s_andn2_b64 s[2:3], s[2:3], exec
	s_or_b64 s[2:3], s[2:3], s[6:7]
	s_waitcnt vmcnt(0)
	v_mov_b32_e32 v8, v7
	v_mov_b32_e32 v9, v6
	global_store_dwordx2 v[2:3], v[8:9], off
	global_load_dwordx2 v[6:7], v[0:1], off
	v_add_co_u32_e32 v2, vcc, -4, v2
	v_addc_co_u32_e32 v3, vcc, -1, v3, vcc
	s_waitcnt vmcnt(0)
	v_mov_b32_e32 v8, v7
	v_mov_b32_e32 v9, v6
	global_store_dwordx2 v[0:1], v[8:9], off
	v_add_co_u32_e32 v0, vcc, -4, v0
	v_addc_co_u32_e32 v1, vcc, -1, v1, vcc
	s_branch .LBB8_19
.LBB8_22:
	s_endpgm
	.section	.rodata,"a",@progbits
	.p2align	6, 0x0
	.amdhsa_kernel _Z18addBackLocalArraysPiS_S_PKjPKiS1_ii
		.amdhsa_group_segment_fixed_size 0
		.amdhsa_private_segment_fixed_size 0
		.amdhsa_kernarg_size 312
		.amdhsa_user_sgpr_count 6
		.amdhsa_user_sgpr_private_segment_buffer 1
		.amdhsa_user_sgpr_dispatch_ptr 0
		.amdhsa_user_sgpr_queue_ptr 0
		.amdhsa_user_sgpr_kernarg_segment_ptr 1
		.amdhsa_user_sgpr_dispatch_id 0
		.amdhsa_user_sgpr_flat_scratch_init 0
		.amdhsa_user_sgpr_kernarg_preload_length 0
		.amdhsa_user_sgpr_kernarg_preload_offset 0
		.amdhsa_user_sgpr_private_segment_size 0
		.amdhsa_uses_dynamic_stack 0
		.amdhsa_system_sgpr_private_segment_wavefront_offset 0
		.amdhsa_system_sgpr_workgroup_id_x 1
		.amdhsa_system_sgpr_workgroup_id_y 0
		.amdhsa_system_sgpr_workgroup_id_z 0
		.amdhsa_system_sgpr_workgroup_info 0
		.amdhsa_system_vgpr_workitem_id 0
		.amdhsa_next_free_vgpr 11
		.amdhsa_next_free_sgpr 20
		.amdhsa_accum_offset 12
		.amdhsa_reserve_vcc 1
		.amdhsa_reserve_flat_scratch 0
		.amdhsa_float_round_mode_32 0
		.amdhsa_float_round_mode_16_64 0
		.amdhsa_float_denorm_mode_32 3
		.amdhsa_float_denorm_mode_16_64 3
		.amdhsa_dx10_clamp 1
		.amdhsa_ieee_mode 1
		.amdhsa_fp16_overflow 0
		.amdhsa_tg_split 0
		.amdhsa_exception_fp_ieee_invalid_op 0
		.amdhsa_exception_fp_denorm_src 0
		.amdhsa_exception_fp_ieee_div_zero 0
		.amdhsa_exception_fp_ieee_overflow 0
		.amdhsa_exception_fp_ieee_underflow 0
		.amdhsa_exception_fp_ieee_inexact 0
		.amdhsa_exception_int_div_zero 0
	.end_amdhsa_kernel
	.text
.Lfunc_end8:
	.size	_Z18addBackLocalArraysPiS_S_PKjPKiS1_ii, .Lfunc_end8-_Z18addBackLocalArraysPiS_S_PKjPKiS1_ii
                                        ; -- End function
	.section	.AMDGPU.csdata,"",@progbits
; Kernel info:
; codeLenInByte = 860
; NumSgprs: 24
; NumVgprs: 11
; NumAgprs: 0
; TotalNumVgprs: 11
; ScratchSize: 0
; MemoryBound: 0
; FloatMode: 240
; IeeeMode: 1
; LDSByteSize: 0 bytes/workgroup (compile time only)
; SGPRBlocks: 2
; VGPRBlocks: 1
; NumSGPRsForWavesPerEU: 24
; NumVGPRsForWavesPerEU: 11
; AccumOffset: 12
; Occupancy: 8
; WaveLimiterHint : 1
; COMPUTE_PGM_RSRC2:SCRATCH_EN: 0
; COMPUTE_PGM_RSRC2:USER_SGPR: 6
; COMPUTE_PGM_RSRC2:TRAP_HANDLER: 0
; COMPUTE_PGM_RSRC2:TGID_X_EN: 1
; COMPUTE_PGM_RSRC2:TGID_Y_EN: 0
; COMPUTE_PGM_RSRC2:TGID_Z_EN: 0
; COMPUTE_PGM_RSRC2:TIDIG_COMP_CNT: 0
; COMPUTE_PGM_RSRC3_GFX90A:ACCUM_OFFSET: 2
; COMPUTE_PGM_RSRC3_GFX90A:TG_SPLIT: 0
	.text
	.protected	_Z25recordReconstructedCoversPKiS0_S0_S0_Piii ; -- Begin function _Z25recordReconstructedCoversPKiS0_S0_S0_Piii
	.globl	_Z25recordReconstructedCoversPKiS0_S0_S0_Piii
	.p2align	8
	.type	_Z25recordReconstructedCoversPKiS0_S0_S0_Piii,@function
_Z25recordReconstructedCoversPKiS0_S0_S0_Piii: ; @_Z25recordReconstructedCoversPKiS0_S0_S0_Piii
; %bb.0:
	s_add_u32 flat_scratch_lo, s6, s9
	s_addc_u32 flat_scratch_hi, s7, 0
	s_add_u32 s0, s0, s9
	s_load_dword s9, s[4:5], 0x3c
	s_load_dwordx2 s[6:7], s[4:5], 0x28
	s_addc_u32 s1, s1, 0
	s_mov_b32 s32, 0
	s_waitcnt lgkmcnt(0)
	s_and_b32 s9, s9, 0xffff
	s_mul_i32 s8, s8, s9
	v_add_u32_e32 v0, s8, v0
	v_cmp_gt_i32_e32 vcc, s6, v0
	s_and_saveexec_b64 s[8:9], vcc
	s_cbranch_execz .LBB9_6
; %bb.1:
	s_load_dwordx8 s[36:43], s[4:5], 0x0
	v_ashrrev_i32_e32 v1, 31, v0
	v_lshlrev_b64 v[42:43], 2, v[0:1]
	s_load_dwordx2 s[26:27], s[4:5], 0x20
	s_mov_b64 s[10:11], 0
	s_waitcnt lgkmcnt(0)
	v_mov_b32_e32 v1, s39
	v_add_co_u32_e32 v2, vcc, s38, v42
	v_addc_co_u32_e32 v3, vcc, v1, v43, vcc
	global_load_dword v2, v[2:3], off
	s_mov_b64 s[28:29], 0
                                        ; implicit-def: $vgpr1
	s_waitcnt vmcnt(0)
	v_cmp_lt_i32_e32 vcc, 0, v2
	s_and_saveexec_b64 s[8:9], vcc
	s_xor_b64 s[8:9], exec, s[8:9]
	s_cbranch_execnz .LBB9_7
; %bb.2:
	s_andn2_saveexec_b64 s[6:7], s[8:9]
	s_cbranch_execnz .LBB9_10
.LBB9_3:
	s_or_b64 exec, exec, s[6:7]
	s_and_saveexec_b64 s[34:35], s[10:11]
	s_cbranch_execnz .LBB9_11
.LBB9_4:
	s_or_b64 exec, exec, s[34:35]
	s_and_b64 exec, exec, s[28:29]
	s_cbranch_execz .LBB9_6
.LBB9_5:
	v_mov_b32_e32 v0, s41
	v_add_co_u32_e32 v2, vcc, s40, v42
	v_addc_co_u32_e32 v3, vcc, v0, v43, vcc
	global_load_dword v2, v[2:3], off
	v_mov_b32_e32 v0, s43
	s_waitcnt vmcnt(0)
	v_ashrrev_i32_e32 v3, 31, v2
	v_lshlrev_b64 v[2:3], 2, v[2:3]
	v_add_co_u32_e32 v2, vcc, s42, v2
	v_addc_co_u32_e32 v3, vcc, v0, v3, vcc
	global_load_dword v2, v[2:3], off
	v_mov_b32_e32 v0, s27
	s_waitcnt vmcnt(0)
	v_ashrrev_i32_e32 v3, 31, v2
	v_lshlrev_b64 v[2:3], 2, v[2:3]
	v_add_co_u32_e32 v2, vcc, s26, v2
	v_addc_co_u32_e32 v3, vcc, v0, v3, vcc
	global_store_dword v[2:3], v1, off
.LBB9_6:
	s_endpgm
.LBB9_7:
	v_cmp_eq_u32_e32 vcc, 1, v2
	s_mov_b64 s[14:15], -1
                                        ; implicit-def: $vgpr1
	s_and_saveexec_b64 s[12:13], vcc
	s_cbranch_execz .LBB9_9
; %bb.8:
	v_mul_lo_u32 v0, v0, s7
	v_ashrrev_i32_e32 v1, 31, v0
	v_lshlrev_b64 v[0:1], 2, v[0:1]
	v_mov_b32_e32 v2, s37
	v_add_co_u32_e32 v0, vcc, s36, v0
	v_addc_co_u32_e32 v1, vcc, v2, v1, vcc
	global_load_dword v1, v[0:1], off
	s_mov_b64 s[10:11], exec
	s_xor_b64 s[14:15], exec, -1
.LBB9_9:
	s_or_b64 exec, exec, s[12:13]
	s_and_b64 s[28:29], s[10:11], exec
	s_and_b64 s[10:11], s[14:15], exec
                                        ; implicit-def: $vgpr2
	s_andn2_saveexec_b64 s[6:7], s[8:9]
	s_cbranch_execz .LBB9_3
.LBB9_10:
	v_cmp_ne_u32_e32 vcc, 0, v2
	s_andn2_b64 s[8:9], s[10:11], exec
	s_and_b64 s[10:11], vcc, exec
	s_waitcnt vmcnt(0)
	v_mov_b32_e32 v1, 1
	s_or_b64 s[28:29], s[28:29], exec
	s_or_b64 s[10:11], s[8:9], s[10:11]
	s_or_b64 exec, exec, s[6:7]
	s_and_saveexec_b64 s[34:35], s[10:11]
	s_cbranch_execz .LBB9_4
.LBB9_11:
	s_add_u32 s8, s4, 48
	s_addc_u32 s9, s5, 0
	s_getpc_b64 s[4:5]
	s_add_u32 s4, s4, .str.6@rel32@lo+4
	s_addc_u32 s5, s5, .str.6@rel32@hi+12
	s_getpc_b64 s[6:7]
	s_add_u32 s6, s6, .str.1@rel32@lo+4
	s_addc_u32 s7, s7, .str.1@rel32@hi+12
	s_getpc_b64 s[10:11]
	s_add_u32 s10, s10, __PRETTY_FUNCTION__._Z25recordReconstructedCoversPKiS0_S0_S0_Piii@rel32@lo+4
	s_addc_u32 s11, s11, __PRETTY_FUNCTION__._Z25recordReconstructedCoversPKiS0_S0_S0_Piii@rel32@hi+12
	v_mov_b32_e32 v0, s4
	s_waitcnt vmcnt(0)
	v_mov_b32_e32 v1, s5
	v_mov_b32_e32 v2, s6
	;; [unrolled: 1-line block ×6, first 2 shown]
	s_getpc_b64 s[12:13]
	s_add_u32 s12, s12, __assert_fail@rel32@lo+4
	s_addc_u32 s13, s13, __assert_fail@rel32@hi+12
	s_swappc_b64 s[30:31], s[12:13]
	s_andn2_b64 s[28:29], s[28:29], exec
	; divergent unreachable
                                        ; implicit-def: $vgpr1
	s_or_b64 exec, exec, s[34:35]
	s_and_b64 exec, exec, s[28:29]
	s_cbranch_execnz .LBB9_5
	s_branch .LBB9_6
	.section	.rodata,"a",@progbits
	.p2align	6, 0x0
	.amdhsa_kernel _Z25recordReconstructedCoversPKiS0_S0_S0_Piii
		.amdhsa_group_segment_fixed_size 0
		.amdhsa_private_segment_fixed_size 64
		.amdhsa_kernarg_size 304
		.amdhsa_user_sgpr_count 8
		.amdhsa_user_sgpr_private_segment_buffer 1
		.amdhsa_user_sgpr_dispatch_ptr 0
		.amdhsa_user_sgpr_queue_ptr 0
		.amdhsa_user_sgpr_kernarg_segment_ptr 1
		.amdhsa_user_sgpr_dispatch_id 0
		.amdhsa_user_sgpr_flat_scratch_init 1
		.amdhsa_user_sgpr_kernarg_preload_length 0
		.amdhsa_user_sgpr_kernarg_preload_offset 0
		.amdhsa_user_sgpr_private_segment_size 0
		.amdhsa_uses_dynamic_stack 0
		.amdhsa_system_sgpr_private_segment_wavefront_offset 1
		.amdhsa_system_sgpr_workgroup_id_x 1
		.amdhsa_system_sgpr_workgroup_id_y 0
		.amdhsa_system_sgpr_workgroup_id_z 0
		.amdhsa_system_sgpr_workgroup_info 0
		.amdhsa_system_vgpr_workitem_id 0
		.amdhsa_next_free_vgpr 54
		.amdhsa_next_free_sgpr 44
		.amdhsa_accum_offset 56
		.amdhsa_reserve_vcc 1
		.amdhsa_reserve_flat_scratch 1
		.amdhsa_float_round_mode_32 0
		.amdhsa_float_round_mode_16_64 0
		.amdhsa_float_denorm_mode_32 3
		.amdhsa_float_denorm_mode_16_64 3
		.amdhsa_dx10_clamp 1
		.amdhsa_ieee_mode 1
		.amdhsa_fp16_overflow 0
		.amdhsa_tg_split 0
		.amdhsa_exception_fp_ieee_invalid_op 0
		.amdhsa_exception_fp_denorm_src 0
		.amdhsa_exception_fp_ieee_div_zero 0
		.amdhsa_exception_fp_ieee_overflow 0
		.amdhsa_exception_fp_ieee_underflow 0
		.amdhsa_exception_fp_ieee_inexact 0
		.amdhsa_exception_int_div_zero 0
	.end_amdhsa_kernel
	.text
.Lfunc_end9:
	.size	_Z25recordReconstructedCoversPKiS0_S0_S0_Piii, .Lfunc_end9-_Z25recordReconstructedCoversPKiS0_S0_S0_Piii
                                        ; -- End function
	.section	.AMDGPU.csdata,"",@progbits
; Kernel info:
; codeLenInByte = 548
; NumSgprs: 50
; NumVgprs: 54
; NumAgprs: 0
; TotalNumVgprs: 54
; ScratchSize: 64
; MemoryBound: 0
; FloatMode: 240
; IeeeMode: 1
; LDSByteSize: 0 bytes/workgroup (compile time only)
; SGPRBlocks: 6
; VGPRBlocks: 6
; NumSGPRsForWavesPerEU: 50
; NumVGPRsForWavesPerEU: 54
; AccumOffset: 56
; Occupancy: 8
; WaveLimiterHint : 1
; COMPUTE_PGM_RSRC2:SCRATCH_EN: 1
; COMPUTE_PGM_RSRC2:USER_SGPR: 8
; COMPUTE_PGM_RSRC2:TRAP_HANDLER: 0
; COMPUTE_PGM_RSRC2:TGID_X_EN: 1
; COMPUTE_PGM_RSRC2:TGID_Y_EN: 0
; COMPUTE_PGM_RSRC2:TGID_Z_EN: 0
; COMPUTE_PGM_RSRC2:TIDIG_COMP_CNT: 0
; COMPUTE_PGM_RSRC3_GFX90A:ACCUM_OFFSET: 13
; COMPUTE_PGM_RSRC3_GFX90A:TG_SPLIT: 0
	.text
	.protected	_Z12genReadyMaskPKiS0_S0_S0_S0_S0_Piii ; -- Begin function _Z12genReadyMaskPKiS0_S0_S0_S0_S0_Piii
	.globl	_Z12genReadyMaskPKiS0_S0_S0_S0_S0_Piii
	.p2align	8
	.type	_Z12genReadyMaskPKiS0_S0_S0_S0_S0_Piii,@function
_Z12genReadyMaskPKiS0_S0_S0_S0_S0_Piii: ; @_Z12genReadyMaskPKiS0_S0_S0_S0_S0_Piii
; %bb.0:
	s_load_dword s0, s[4:5], 0x4c
	s_load_dwordx2 s[16:17], s[4:5], 0x38
	s_waitcnt lgkmcnt(0)
	s_and_b32 s0, s0, 0xffff
	s_mul_i32 s6, s6, s0
	v_add_u32_e32 v2, s6, v0
	v_cmp_lt_i32_e32 vcc, 0, v2
	v_cmp_gt_i32_e64 s[0:1], s16, v2
	s_and_b64 s[0:1], vcc, s[0:1]
	s_and_saveexec_b64 s[2:3], s[0:1]
	s_cbranch_execz .LBB10_14
; %bb.1:
	s_load_dwordx8 s[8:15], s[4:5], 0x20
	v_mov_b32_e32 v3, 0
	v_lshlrev_b64 v[0:1], 2, v[2:3]
	s_load_dwordx8 s[0:7], s[4:5], 0x0
	s_waitcnt lgkmcnt(0)
	v_mov_b32_e32 v2, s11
	v_add_co_u32_e32 v4, vcc, s10, v0
	v_addc_co_u32_e32 v5, vcc, v2, v1, vcc
	global_load_dword v2, v[4:5], off
	s_waitcnt vmcnt(0)
	v_cmp_gt_i32_e32 vcc, 0, v2
	s_and_saveexec_b64 s[14:15], vcc
	s_cbranch_execz .LBB10_13
; %bb.2:
	v_mov_b32_e32 v3, s1
	v_add_co_u32_e32 v2, vcc, s0, v0
	v_addc_co_u32_e32 v3, vcc, v3, v1, vcc
	global_load_dword v2, v[2:3], off
	v_mov_b32_e32 v6, s9
	s_mov_b32 s16, 0
	s_waitcnt vmcnt(0)
	v_ashrrev_i32_e32 v3, 31, v2
	v_lshlrev_b64 v[4:5], 2, v[2:3]
	v_add_co_u32_e32 v4, vcc, s8, v4
	v_addc_co_u32_e32 v5, vcc, v6, v5, vcc
	global_load_dword v6, v[4:5], off
	v_mov_b32_e32 v3, 1
	s_waitcnt vmcnt(0)
	v_cmp_lt_i32_e32 vcc, 0, v6
	s_and_saveexec_b64 s[0:1], vcc
	s_cbranch_execz .LBB10_12
; %bb.3:
	s_mov_b64 s[8:9], 0
	v_mov_b32_e32 v7, s5
	s_branch .LBB10_5
.LBB10_4:                               ;   in Loop: Header=BB10_5 Depth=1
	s_or_b64 exec, exec, s[22:23]
	s_and_b64 s[18:19], exec, s[20:21]
	s_or_b64 s[8:9], s[18:19], s[8:9]
	s_andn2_b64 exec, exec, s[8:9]
	s_cbranch_execz .LBB10_11
.LBB10_5:                               ; =>This Inner Loop Header: Depth=1
	s_cmp_lg_u32 s16, 4
	s_cbranch_scc1 .LBB10_7
; %bb.6:                                ;   in Loop: Header=BB10_5 Depth=1
	v_ashrrev_i32_e32 v3, 31, v2
	v_lshlrev_b64 v[2:3], 2, v[2:3]
	v_mov_b32_e32 v4, s7
	v_add_co_u32_e32 v2, vcc, s6, v2
	v_addc_co_u32_e32 v3, vcc, v4, v3, vcc
	global_load_dword v2, v[2:3], off
	s_mov_b32 s16, 0
.LBB10_7:                               ;   in Loop: Header=BB10_5 Depth=1
	s_waitcnt vmcnt(0)
	v_lshl_add_u32 v4, v2, 2, s16
	v_ashrrev_i32_e32 v5, 31, v4
	v_lshlrev_b64 v[4:5], 2, v[4:5]
	v_add_co_u32_e32 v4, vcc, s4, v4
	v_addc_co_u32_e32 v5, vcc, v7, v5, vcc
	global_load_dword v3, v[4:5], off
                                        ; implicit-def: $sgpr5
	s_waitcnt vmcnt(0)
	v_ashrrev_i32_e32 v4, 1, v3
	v_cmp_ge_i32_e64 s[18:19], s17, v4
	v_cmp_lt_i32_e32 vcc, s17, v4
	s_and_saveexec_b64 s[20:21], vcc
	s_cbranch_execz .LBB10_9
; %bb.8:                                ;   in Loop: Header=BB10_5 Depth=1
	v_ashrrev_i32_e32 v5, 31, v4
	v_lshlrev_b64 v[4:5], 2, v[4:5]
	v_mov_b32_e32 v3, s3
	v_add_co_u32_e32 v4, vcc, s2, v4
	v_addc_co_u32_e32 v5, vcc, v3, v5, vcc
	global_load_dword v4, v[4:5], off
	v_mov_b32_e32 v3, s11
	s_andn2_b64 s[18:19], s[18:19], exec
	s_mov_b32 s5, 0
	s_waitcnt vmcnt(0)
	v_ashrrev_i32_e32 v5, 31, v4
	v_lshlrev_b64 v[4:5], 2, v[4:5]
	v_add_co_u32_e32 v4, vcc, s10, v4
	v_addc_co_u32_e32 v5, vcc, v3, v5, vcc
	global_load_dword v3, v[4:5], off
	s_waitcnt vmcnt(0)
	v_cmp_ne_u32_e32 vcc, -1, v3
	s_and_b64 s[22:23], vcc, exec
	s_or_b64 s[18:19], s[18:19], s[22:23]
.LBB10_9:                               ;   in Loop: Header=BB10_5 Depth=1
	s_or_b64 exec, exec, s[20:21]
	s_mov_b64 s[20:21], -1
	v_mov_b32_e32 v3, s5
	s_and_saveexec_b64 s[22:23], s[18:19]
	s_cbranch_execz .LBB10_4
; %bb.10:                               ;   in Loop: Header=BB10_5 Depth=1
	v_add_u32_e32 v6, -1, v6
	v_cmp_eq_u32_e32 vcc, 0, v6
	s_add_i32 s16, s16, 1
	v_mov_b32_e32 v3, 1
	s_orn2_b64 s[20:21], vcc, exec
	s_branch .LBB10_4
.LBB10_11:
	s_or_b64 exec, exec, s[8:9]
.LBB10_12:
	s_or_b64 exec, exec, s[0:1]
.LBB10_13:
	s_or_b64 exec, exec, s[14:15]
	v_mov_b32_e32 v2, s13
	v_add_co_u32_e32 v0, vcc, s12, v0
	v_addc_co_u32_e32 v1, vcc, v2, v1, vcc
	global_store_dword v[0:1], v3, off
.LBB10_14:
	s_endpgm
	.section	.rodata,"a",@progbits
	.p2align	6, 0x0
	.amdhsa_kernel _Z12genReadyMaskPKiS0_S0_S0_S0_S0_Piii
		.amdhsa_group_segment_fixed_size 0
		.amdhsa_private_segment_fixed_size 0
		.amdhsa_kernarg_size 320
		.amdhsa_user_sgpr_count 6
		.amdhsa_user_sgpr_private_segment_buffer 1
		.amdhsa_user_sgpr_dispatch_ptr 0
		.amdhsa_user_sgpr_queue_ptr 0
		.amdhsa_user_sgpr_kernarg_segment_ptr 1
		.amdhsa_user_sgpr_dispatch_id 0
		.amdhsa_user_sgpr_flat_scratch_init 0
		.amdhsa_user_sgpr_kernarg_preload_length 0
		.amdhsa_user_sgpr_kernarg_preload_offset 0
		.amdhsa_user_sgpr_private_segment_size 0
		.amdhsa_uses_dynamic_stack 0
		.amdhsa_system_sgpr_private_segment_wavefront_offset 0
		.amdhsa_system_sgpr_workgroup_id_x 1
		.amdhsa_system_sgpr_workgroup_id_y 0
		.amdhsa_system_sgpr_workgroup_id_z 0
		.amdhsa_system_sgpr_workgroup_info 0
		.amdhsa_system_vgpr_workitem_id 0
		.amdhsa_next_free_vgpr 8
		.amdhsa_next_free_sgpr 24
		.amdhsa_accum_offset 8
		.amdhsa_reserve_vcc 1
		.amdhsa_reserve_flat_scratch 0
		.amdhsa_float_round_mode_32 0
		.amdhsa_float_round_mode_16_64 0
		.amdhsa_float_denorm_mode_32 3
		.amdhsa_float_denorm_mode_16_64 3
		.amdhsa_dx10_clamp 1
		.amdhsa_ieee_mode 1
		.amdhsa_fp16_overflow 0
		.amdhsa_tg_split 0
		.amdhsa_exception_fp_ieee_invalid_op 0
		.amdhsa_exception_fp_denorm_src 0
		.amdhsa_exception_fp_ieee_div_zero 0
		.amdhsa_exception_fp_ieee_overflow 0
		.amdhsa_exception_fp_ieee_underflow 0
		.amdhsa_exception_fp_ieee_inexact 0
		.amdhsa_exception_int_div_zero 0
	.end_amdhsa_kernel
	.text
.Lfunc_end10:
	.size	_Z12genReadyMaskPKiS0_S0_S0_S0_S0_Piii, .Lfunc_end10-_Z12genReadyMaskPKiS0_S0_S0_S0_S0_Piii
                                        ; -- End function
	.section	.AMDGPU.csdata,"",@progbits
; Kernel info:
; codeLenInByte = 524
; NumSgprs: 28
; NumVgprs: 8
; NumAgprs: 0
; TotalNumVgprs: 8
; ScratchSize: 0
; MemoryBound: 0
; FloatMode: 240
; IeeeMode: 1
; LDSByteSize: 0 bytes/workgroup (compile time only)
; SGPRBlocks: 3
; VGPRBlocks: 0
; NumSGPRsForWavesPerEU: 28
; NumVGPRsForWavesPerEU: 8
; AccumOffset: 8
; Occupancy: 8
; WaveLimiterHint : 1
; COMPUTE_PGM_RSRC2:SCRATCH_EN: 0
; COMPUTE_PGM_RSRC2:USER_SGPR: 6
; COMPUTE_PGM_RSRC2:TRAP_HANDLER: 0
; COMPUTE_PGM_RSRC2:TGID_X_EN: 1
; COMPUTE_PGM_RSRC2:TGID_Y_EN: 0
; COMPUTE_PGM_RSRC2:TGID_Z_EN: 0
; COMPUTE_PGM_RSRC2:TIDIG_COMP_CNT: 0
; COMPUTE_PGM_RSRC3_GFX90A:ACCUM_OFFSET: 1
; COMPUTE_PGM_RSRC3_GFX90A:TG_SPLIT: 0
	.text
	.protected	_Z19gatherByScannedMaskPiS_ii ; -- Begin function _Z19gatherByScannedMaskPiS_ii
	.globl	_Z19gatherByScannedMaskPiS_ii
	.p2align	8
	.type	_Z19gatherByScannedMaskPiS_ii,@function
_Z19gatherByScannedMaskPiS_ii:          ; @_Z19gatherByScannedMaskPiS_ii
; %bb.0:
	s_load_dword s0, s[4:5], 0x24
	s_load_dwordx2 s[8:9], s[4:5], 0x10
	s_waitcnt lgkmcnt(0)
	s_and_b32 s0, s0, 0xffff
	s_mul_i32 s6, s6, s0
	v_add_u32_e32 v0, s6, v0
	v_cmp_gt_i32_e32 vcc, s8, v0
	s_and_saveexec_b64 s[0:1], vcc
	s_cbranch_execz .LBB11_8
; %bb.1:
	s_load_dwordx4 s[0:3], s[4:5], 0x0
	v_cmp_ne_u32_e32 vcc, 0, v0
	s_and_saveexec_b64 s[4:5], vcc
	s_xor_b64 s[4:5], exec, s[4:5]
	s_cbranch_execz .LBB11_5
; %bb.2:
	v_ashrrev_i32_e32 v1, 31, v0
	v_lshlrev_b64 v[2:3], 2, v[0:1]
	s_waitcnt lgkmcnt(0)
	v_mov_b32_e32 v1, s1
	v_add_co_u32_e32 v2, vcc, s0, v2
	v_addc_co_u32_e32 v3, vcc, v1, v3, vcc
	global_load_dwordx2 v[2:3], v[2:3], off offset:-4
	s_waitcnt vmcnt(0)
	v_cmp_gt_i32_e32 vcc, v3, v2
	s_and_saveexec_b64 s[6:7], vcc
	s_cbranch_execz .LBB11_4
; %bb.3:
	v_ashrrev_i32_e32 v5, 31, v3
	v_mov_b32_e32 v4, v3
	v_lshlrev_b64 v[2:3], 2, v[4:5]
	v_mov_b32_e32 v1, s3
	v_add_co_u32_e32 v2, vcc, s2, v2
	v_addc_co_u32_e32 v3, vcc, v1, v3, vcc
	v_add_u32_e32 v0, s9, v0
	global_store_dword v[2:3], v0, off offset:-4
.LBB11_4:
	s_or_b64 exec, exec, s[6:7]
.LBB11_5:
	s_andn2_saveexec_b64 s[4:5], s[4:5]
	s_cbranch_execz .LBB11_8
; %bb.6:
	s_waitcnt lgkmcnt(0)
	s_load_dword s0, s[0:1], 0x0
	s_waitcnt lgkmcnt(0)
	s_cmp_lg_u32 s0, 1
	s_cbranch_scc1 .LBB11_8
; %bb.7:
	v_mov_b32_e32 v0, 0
	v_mov_b32_e32 v1, s9
	global_store_dword v0, v1, s[2:3]
.LBB11_8:
	s_endpgm
	.section	.rodata,"a",@progbits
	.p2align	6, 0x0
	.amdhsa_kernel _Z19gatherByScannedMaskPiS_ii
		.amdhsa_group_segment_fixed_size 0
		.amdhsa_private_segment_fixed_size 0
		.amdhsa_kernarg_size 280
		.amdhsa_user_sgpr_count 6
		.amdhsa_user_sgpr_private_segment_buffer 1
		.amdhsa_user_sgpr_dispatch_ptr 0
		.amdhsa_user_sgpr_queue_ptr 0
		.amdhsa_user_sgpr_kernarg_segment_ptr 1
		.amdhsa_user_sgpr_dispatch_id 0
		.amdhsa_user_sgpr_flat_scratch_init 0
		.amdhsa_user_sgpr_kernarg_preload_length 0
		.amdhsa_user_sgpr_kernarg_preload_offset 0
		.amdhsa_user_sgpr_private_segment_size 0
		.amdhsa_uses_dynamic_stack 0
		.amdhsa_system_sgpr_private_segment_wavefront_offset 0
		.amdhsa_system_sgpr_workgroup_id_x 1
		.amdhsa_system_sgpr_workgroup_id_y 0
		.amdhsa_system_sgpr_workgroup_id_z 0
		.amdhsa_system_sgpr_workgroup_info 0
		.amdhsa_system_vgpr_workitem_id 0
		.amdhsa_next_free_vgpr 6
		.amdhsa_next_free_sgpr 10
		.amdhsa_accum_offset 8
		.amdhsa_reserve_vcc 1
		.amdhsa_reserve_flat_scratch 0
		.amdhsa_float_round_mode_32 0
		.amdhsa_float_round_mode_16_64 0
		.amdhsa_float_denorm_mode_32 3
		.amdhsa_float_denorm_mode_16_64 3
		.amdhsa_dx10_clamp 1
		.amdhsa_ieee_mode 1
		.amdhsa_fp16_overflow 0
		.amdhsa_tg_split 0
		.amdhsa_exception_fp_ieee_invalid_op 0
		.amdhsa_exception_fp_denorm_src 0
		.amdhsa_exception_fp_ieee_div_zero 0
		.amdhsa_exception_fp_ieee_overflow 0
		.amdhsa_exception_fp_ieee_underflow 0
		.amdhsa_exception_fp_ieee_inexact 0
		.amdhsa_exception_int_div_zero 0
	.end_amdhsa_kernel
	.text
.Lfunc_end11:
	.size	_Z19gatherByScannedMaskPiS_ii, .Lfunc_end11-_Z19gatherByScannedMaskPiS_ii
                                        ; -- End function
	.section	.AMDGPU.csdata,"",@progbits
; Kernel info:
; codeLenInByte = 220
; NumSgprs: 14
; NumVgprs: 6
; NumAgprs: 0
; TotalNumVgprs: 6
; ScratchSize: 0
; MemoryBound: 0
; FloatMode: 240
; IeeeMode: 1
; LDSByteSize: 0 bytes/workgroup (compile time only)
; SGPRBlocks: 1
; VGPRBlocks: 0
; NumSGPRsForWavesPerEU: 14
; NumVGPRsForWavesPerEU: 6
; AccumOffset: 8
; Occupancy: 8
; WaveLimiterHint : 1
; COMPUTE_PGM_RSRC2:SCRATCH_EN: 0
; COMPUTE_PGM_RSRC2:USER_SGPR: 6
; COMPUTE_PGM_RSRC2:TRAP_HANDLER: 0
; COMPUTE_PGM_RSRC2:TGID_X_EN: 1
; COMPUTE_PGM_RSRC2:TGID_Y_EN: 0
; COMPUTE_PGM_RSRC2:TGID_Z_EN: 0
; COMPUTE_PGM_RSRC2:TIDIG_COMP_CNT: 0
; COMPUTE_PGM_RSRC3_GFX90A:ACCUM_OFFSET: 1
; COMPUTE_PGM_RSRC3_GFX90A:TG_SPLIT: 0
	.text
	.protected	_Z17markIsCoverOutputPKiPii ; -- Begin function _Z17markIsCoverOutputPKiPii
	.globl	_Z17markIsCoverOutputPKiPii
	.p2align	8
	.type	_Z17markIsCoverOutputPKiPii,@function
_Z17markIsCoverOutputPKiPii:            ; @_Z17markIsCoverOutputPKiPii
; %bb.0:
	s_load_dword s0, s[4:5], 0x24
	s_load_dword s1, s[4:5], 0x10
	s_waitcnt lgkmcnt(0)
	s_and_b32 s0, s0, 0xffff
	s_mul_i32 s6, s6, s0
	v_add_u32_e32 v0, s6, v0
	v_cmp_gt_i32_e32 vcc, s1, v0
	s_and_saveexec_b64 s[0:1], vcc
	s_cbranch_execz .LBB12_2
; %bb.1:
	s_load_dwordx4 s[0:3], s[4:5], 0x0
	v_ashrrev_i32_e32 v1, 31, v0
	v_lshlrev_b64 v[0:1], 2, v[0:1]
	s_waitcnt lgkmcnt(0)
	v_mov_b32_e32 v3, s1
	v_add_co_u32_e32 v2, vcc, s0, v0
	v_addc_co_u32_e32 v3, vcc, v3, v1, vcc
	global_load_dword v2, v[2:3], off
	v_mov_b32_e32 v3, s3
	v_add_co_u32_e32 v0, vcc, s2, v0
	v_addc_co_u32_e32 v1, vcc, v3, v1, vcc
	s_waitcnt vmcnt(0)
	v_cmp_ne_u32_e32 vcc, -1, v2
	v_cndmask_b32_e64 v2, 0, 1, vcc
	global_store_dword v[0:1], v2, off
.LBB12_2:
	s_endpgm
	.section	.rodata,"a",@progbits
	.p2align	6, 0x0
	.amdhsa_kernel _Z17markIsCoverOutputPKiPii
		.amdhsa_group_segment_fixed_size 0
		.amdhsa_private_segment_fixed_size 0
		.amdhsa_kernarg_size 280
		.amdhsa_user_sgpr_count 6
		.amdhsa_user_sgpr_private_segment_buffer 1
		.amdhsa_user_sgpr_dispatch_ptr 0
		.amdhsa_user_sgpr_queue_ptr 0
		.amdhsa_user_sgpr_kernarg_segment_ptr 1
		.amdhsa_user_sgpr_dispatch_id 0
		.amdhsa_user_sgpr_flat_scratch_init 0
		.amdhsa_user_sgpr_kernarg_preload_length 0
		.amdhsa_user_sgpr_kernarg_preload_offset 0
		.amdhsa_user_sgpr_private_segment_size 0
		.amdhsa_uses_dynamic_stack 0
		.amdhsa_system_sgpr_private_segment_wavefront_offset 0
		.amdhsa_system_sgpr_workgroup_id_x 1
		.amdhsa_system_sgpr_workgroup_id_y 0
		.amdhsa_system_sgpr_workgroup_id_z 0
		.amdhsa_system_sgpr_workgroup_info 0
		.amdhsa_system_vgpr_workitem_id 0
		.amdhsa_next_free_vgpr 4
		.amdhsa_next_free_sgpr 7
		.amdhsa_accum_offset 4
		.amdhsa_reserve_vcc 1
		.amdhsa_reserve_flat_scratch 0
		.amdhsa_float_round_mode_32 0
		.amdhsa_float_round_mode_16_64 0
		.amdhsa_float_denorm_mode_32 3
		.amdhsa_float_denorm_mode_16_64 3
		.amdhsa_dx10_clamp 1
		.amdhsa_ieee_mode 1
		.amdhsa_fp16_overflow 0
		.amdhsa_tg_split 0
		.amdhsa_exception_fp_ieee_invalid_op 0
		.amdhsa_exception_fp_denorm_src 0
		.amdhsa_exception_fp_ieee_div_zero 0
		.amdhsa_exception_fp_ieee_overflow 0
		.amdhsa_exception_fp_ieee_underflow 0
		.amdhsa_exception_fp_ieee_inexact 0
		.amdhsa_exception_int_div_zero 0
	.end_amdhsa_kernel
	.text
.Lfunc_end12:
	.size	_Z17markIsCoverOutputPKiPii, .Lfunc_end12-_Z17markIsCoverOutputPKiPii
                                        ; -- End function
	.section	.AMDGPU.csdata,"",@progbits
; Kernel info:
; codeLenInByte = 132
; NumSgprs: 11
; NumVgprs: 4
; NumAgprs: 0
; TotalNumVgprs: 4
; ScratchSize: 0
; MemoryBound: 0
; FloatMode: 240
; IeeeMode: 1
; LDSByteSize: 0 bytes/workgroup (compile time only)
; SGPRBlocks: 1
; VGPRBlocks: 0
; NumSGPRsForWavesPerEU: 11
; NumVGPRsForWavesPerEU: 4
; AccumOffset: 4
; Occupancy: 8
; WaveLimiterHint : 0
; COMPUTE_PGM_RSRC2:SCRATCH_EN: 0
; COMPUTE_PGM_RSRC2:USER_SGPR: 6
; COMPUTE_PGM_RSRC2:TRAP_HANDLER: 0
; COMPUTE_PGM_RSRC2:TGID_X_EN: 1
; COMPUTE_PGM_RSRC2:TGID_Y_EN: 0
; COMPUTE_PGM_RSRC2:TGID_Z_EN: 0
; COMPUTE_PGM_RSRC2:TIDIG_COMP_CNT: 0
; COMPUTE_PGM_RSRC3_GFX90A:ACCUM_OFFSET: 0
; COMPUTE_PGM_RSRC3_GFX90A:TG_SPLIT: 0
	.text
	.protected	_Z23getCoverToNodeIdMappingPKiS0_Pii ; -- Begin function _Z23getCoverToNodeIdMappingPKiS0_Pii
	.globl	_Z23getCoverToNodeIdMappingPKiS0_Pii
	.p2align	8
	.type	_Z23getCoverToNodeIdMappingPKiS0_Pii,@function
_Z23getCoverToNodeIdMappingPKiS0_Pii:   ; @_Z23getCoverToNodeIdMappingPKiS0_Pii
; %bb.0:
	s_load_dword s0, s[4:5], 0x2c
	s_load_dword s1, s[4:5], 0x18
	s_waitcnt lgkmcnt(0)
	s_and_b32 s0, s0, 0xffff
	s_mul_i32 s6, s6, s0
	v_add_u32_e32 v0, s6, v0
	v_cmp_gt_i32_e32 vcc, s1, v0
	s_and_saveexec_b64 s[0:1], vcc
	s_cbranch_execz .LBB13_3
; %bb.1:
	s_load_dwordx4 s[0:3], s[4:5], 0x0
	v_ashrrev_i32_e32 v1, 31, v0
	v_lshlrev_b64 v[2:3], 2, v[0:1]
	s_waitcnt lgkmcnt(0)
	v_mov_b32_e32 v1, s3
	v_add_co_u32_e32 v4, vcc, s2, v2
	v_addc_co_u32_e32 v5, vcc, v1, v3, vcc
	global_load_dword v1, v[4:5], off
	s_waitcnt vmcnt(0)
	v_cmp_ne_u32_e32 vcc, -1, v1
	s_and_b64 exec, exec, vcc
	s_cbranch_execz .LBB13_3
; %bb.2:
	v_mov_b32_e32 v1, s1
	v_add_co_u32_e32 v2, vcc, s0, v2
	v_addc_co_u32_e32 v3, vcc, v1, v3, vcc
	global_load_dword v2, v[2:3], off
	s_load_dwordx2 s[0:1], s[4:5], 0x10
	s_waitcnt lgkmcnt(0)
	v_mov_b32_e32 v1, s1
	s_waitcnt vmcnt(0)
	v_ashrrev_i32_e32 v3, 31, v2
	v_lshlrev_b64 v[2:3], 2, v[2:3]
	v_add_co_u32_e32 v2, vcc, s0, v2
	v_addc_co_u32_e32 v3, vcc, v1, v3, vcc
	global_store_dword v[2:3], v0, off
.LBB13_3:
	s_endpgm
	.section	.rodata,"a",@progbits
	.p2align	6, 0x0
	.amdhsa_kernel _Z23getCoverToNodeIdMappingPKiS0_Pii
		.amdhsa_group_segment_fixed_size 0
		.amdhsa_private_segment_fixed_size 0
		.amdhsa_kernarg_size 288
		.amdhsa_user_sgpr_count 6
		.amdhsa_user_sgpr_private_segment_buffer 1
		.amdhsa_user_sgpr_dispatch_ptr 0
		.amdhsa_user_sgpr_queue_ptr 0
		.amdhsa_user_sgpr_kernarg_segment_ptr 1
		.amdhsa_user_sgpr_dispatch_id 0
		.amdhsa_user_sgpr_flat_scratch_init 0
		.amdhsa_user_sgpr_kernarg_preload_length 0
		.amdhsa_user_sgpr_kernarg_preload_offset 0
		.amdhsa_user_sgpr_private_segment_size 0
		.amdhsa_uses_dynamic_stack 0
		.amdhsa_system_sgpr_private_segment_wavefront_offset 0
		.amdhsa_system_sgpr_workgroup_id_x 1
		.amdhsa_system_sgpr_workgroup_id_y 0
		.amdhsa_system_sgpr_workgroup_id_z 0
		.amdhsa_system_sgpr_workgroup_info 0
		.amdhsa_system_vgpr_workitem_id 0
		.amdhsa_next_free_vgpr 6
		.amdhsa_next_free_sgpr 7
		.amdhsa_accum_offset 8
		.amdhsa_reserve_vcc 1
		.amdhsa_reserve_flat_scratch 0
		.amdhsa_float_round_mode_32 0
		.amdhsa_float_round_mode_16_64 0
		.amdhsa_float_denorm_mode_32 3
		.amdhsa_float_denorm_mode_16_64 3
		.amdhsa_dx10_clamp 1
		.amdhsa_ieee_mode 1
		.amdhsa_fp16_overflow 0
		.amdhsa_tg_split 0
		.amdhsa_exception_fp_ieee_invalid_op 0
		.amdhsa_exception_fp_denorm_src 0
		.amdhsa_exception_fp_ieee_div_zero 0
		.amdhsa_exception_fp_ieee_overflow 0
		.amdhsa_exception_fp_ieee_underflow 0
		.amdhsa_exception_fp_ieee_inexact 0
		.amdhsa_exception_int_div_zero 0
	.end_amdhsa_kernel
	.text
.Lfunc_end13:
	.size	_Z23getCoverToNodeIdMappingPKiS0_Pii, .Lfunc_end13-_Z23getCoverToNodeIdMappingPKiS0_Pii
                                        ; -- End function
	.section	.AMDGPU.csdata,"",@progbits
; Kernel info:
; codeLenInByte = 180
; NumSgprs: 11
; NumVgprs: 6
; NumAgprs: 0
; TotalNumVgprs: 6
; ScratchSize: 0
; MemoryBound: 0
; FloatMode: 240
; IeeeMode: 1
; LDSByteSize: 0 bytes/workgroup (compile time only)
; SGPRBlocks: 1
; VGPRBlocks: 0
; NumSGPRsForWavesPerEU: 11
; NumVGPRsForWavesPerEU: 6
; AccumOffset: 8
; Occupancy: 8
; WaveLimiterHint : 1
; COMPUTE_PGM_RSRC2:SCRATCH_EN: 0
; COMPUTE_PGM_RSRC2:USER_SGPR: 6
; COMPUTE_PGM_RSRC2:TRAP_HANDLER: 0
; COMPUTE_PGM_RSRC2:TGID_X_EN: 1
; COMPUTE_PGM_RSRC2:TGID_Y_EN: 0
; COMPUTE_PGM_RSRC2:TGID_Z_EN: 0
; COMPUTE_PGM_RSRC2:TIDIG_COMP_CNT: 0
; COMPUTE_PGM_RSRC3_GFX90A:ACCUM_OFFSET: 1
; COMPUTE_PGM_RSRC3_GFX90A:TG_SPLIT: 0
	.text
	.protected	_Z16gatherWithFilterPiPKiS1_S1_S1_S_S_S_ii ; -- Begin function _Z16gatherWithFilterPiPKiS1_S1_S1_S_S_S_ii
	.globl	_Z16gatherWithFilterPiPKiS1_S1_S1_S_S_S_ii
	.p2align	8
	.type	_Z16gatherWithFilterPiPKiS1_S1_S1_S_S_S_ii,@function
_Z16gatherWithFilterPiPKiS1_S1_S1_S_S_S_ii: ; @_Z16gatherWithFilterPiPKiS1_S1_S1_S_S_S_ii
; %bb.0:
	s_load_dword s0, s[4:5], 0x54
	s_load_dwordx2 s[16:17], s[4:5], 0x40
	s_waitcnt lgkmcnt(0)
	s_and_b32 s0, s0, 0xffff
	s_mul_i32 s6, s6, s0
	v_add_u32_e32 v2, s6, v0
	v_cmp_gt_i32_e32 vcc, s17, v2
	s_and_saveexec_b64 s[0:1], vcc
	s_cbranch_execz .LBB14_16
; %bb.1:
	s_load_dwordx8 s[8:15], s[4:5], 0x8
	v_cmp_ne_u32_e32 vcc, 0, v2
	v_pk_mov_b32 v[4:5], 0, 0
	v_mov_b32_e32 v0, 0
	s_and_saveexec_b64 s[0:1], vcc
	s_cbranch_execz .LBB14_3
; %bb.2:
	v_ashrrev_i32_e32 v3, 31, v2
	v_lshlrev_b64 v[0:1], 2, v[2:3]
	s_waitcnt lgkmcnt(0)
	v_mov_b32_e32 v4, s15
	v_add_co_u32_e32 v0, vcc, s14, v0
	v_addc_co_u32_e32 v1, vcc, v4, v1, vcc
	global_load_dword v0, v[0:1], off offset:-4
	v_pk_mov_b32 v[4:5], v[2:3], v[2:3] op_sel:[0,1]
.LBB14_3:
	s_or_b64 exec, exec, s[0:1]
	v_lshlrev_b64 v[2:3], 2, v[4:5]
	s_waitcnt lgkmcnt(0)
	v_mov_b32_e32 v1, s15
	v_add_co_u32_e32 v4, vcc, s14, v2
	v_addc_co_u32_e32 v5, vcc, v1, v3, vcc
	global_load_dword v12, v[4:5], off
	s_waitcnt vmcnt(0)
	v_cmp_lt_i32_e32 vcc, v0, v12
	s_and_b64 exec, exec, vcc
	s_cbranch_execz .LBB14_16
; %bb.4:
	v_mov_b32_e32 v1, s13
	v_add_co_u32_e32 v2, vcc, s12, v2
	v_addc_co_u32_e32 v3, vcc, v1, v3, vcc
	global_load_dword v2, v[2:3], off
	s_load_dwordx4 s[0:3], s[4:5], 0x28
	s_load_dwordx2 s[6:7], s[4:5], 0x38
	v_ashrrev_i32_e32 v1, 31, v0
	v_lshlrev_b64 v[6:7], 2, v[0:1]
	s_mov_b32 s12, 0
	s_waitcnt lgkmcnt(0)
	v_mov_b32_e32 v1, s3
	v_add_co_u32_e32 v4, vcc, s2, v6
	v_addc_co_u32_e32 v5, vcc, v1, v7, vcc
	v_mov_b32_e32 v8, s7
	v_add_co_u32_e32 v6, vcc, s6, v6
	s_mov_b64 s[4:5], 0
	v_mov_b32_e32 v13, s9
	v_mov_b32_e32 v3, 0
	v_mov_b32_e32 v14, -1
	v_addc_co_u32_e32 v7, vcc, v8, v7, vcc
	s_waitcnt vmcnt(0)
	v_ashrrev_i32_e32 v8, 1, v2
	v_mov_b32_e32 v2, 1
	s_branch .LBB14_7
.LBB14_5:                               ;   in Loop: Header=BB14_7 Depth=1
	s_or_b64 exec, exec, s[6:7]
.LBB14_6:                               ;   in Loop: Header=BB14_7 Depth=1
	s_or_b64 exec, exec, s[2:3]
	v_add_co_u32_e32 v4, vcc, 4, v4
	v_add_u32_e32 v0, 1, v0
	v_addc_co_u32_e32 v5, vcc, 0, v5, vcc
	s_add_i32 s12, s12, 1
	v_cmp_ge_i32_e32 vcc, v0, v12
	s_or_b64 s[4:5], vcc, s[4:5]
	v_add_co_u32_e32 v6, vcc, 4, v6
	v_addc_co_u32_e32 v7, vcc, 0, v7, vcc
	s_andn2_b64 exec, exec, s[4:5]
	s_cbranch_execz .LBB14_16
.LBB14_7:                               ; =>This Inner Loop Header: Depth=1
	s_cmp_lg_u32 s12, 4
	s_cbranch_scc1 .LBB14_9
; %bb.8:                                ;   in Loop: Header=BB14_7 Depth=1
	v_ashrrev_i32_e32 v9, 31, v8
	v_lshlrev_b64 v[8:9], 2, v[8:9]
	v_mov_b32_e32 v1, s11
	v_add_co_u32_e32 v8, vcc, s10, v8
	v_addc_co_u32_e32 v9, vcc, v1, v9, vcc
	global_load_dword v8, v[8:9], off
	s_mov_b32 s12, 0
.LBB14_9:                               ;   in Loop: Header=BB14_7 Depth=1
	s_waitcnt vmcnt(0)
	v_lshl_add_u32 v10, v8, 2, s12
	v_ashrrev_i32_e32 v11, 31, v10
	v_lshlrev_b64 v[10:11], 2, v[10:11]
	v_add_co_u32_e32 v10, vcc, s8, v10
	v_addc_co_u32_e32 v11, vcc, v13, v11, vcc
	global_load_dword v1, v[10:11], off
	s_waitcnt vmcnt(0)
	v_ashrrev_i32_e32 v10, 1, v1
	v_cmp_ge_i32_e32 vcc, s16, v10
	global_store_dword v[4:5], v1, off
	s_and_saveexec_b64 s[2:3], vcc
	s_xor_b64 s[2:3], exec, s[2:3]
	s_cbranch_execz .LBB14_11
; %bb.10:                               ;   in Loop: Header=BB14_7 Depth=1
	global_store_dword v[6:7], v3, off
                                        ; implicit-def: $vgpr10
.LBB14_11:                              ;   in Loop: Header=BB14_7 Depth=1
	s_andn2_saveexec_b64 s[2:3], s[2:3]
	s_cbranch_execz .LBB14_6
; %bb.12:                               ;   in Loop: Header=BB14_7 Depth=1
	v_ashrrev_i32_e32 v11, 31, v10
	v_lshlrev_b64 v[10:11], 2, v[10:11]
	v_mov_b32_e32 v1, s1
	v_add_co_u32_e32 v10, vcc, s0, v10
	v_addc_co_u32_e32 v11, vcc, v1, v11, vcc
	global_atomic_cmpswap v1, v[10:11], v[2:3], off glc
	s_waitcnt vmcnt(0)
	v_cmp_ne_u32_e32 vcc, 0, v1
	s_and_saveexec_b64 s[6:7], vcc
	s_xor_b64 s[6:7], exec, s[6:7]
	s_cbranch_execz .LBB14_14
; %bb.13:                               ;   in Loop: Header=BB14_7 Depth=1
	global_store_dword v[6:7], v14, off
.LBB14_14:                              ;   in Loop: Header=BB14_7 Depth=1
	s_andn2_saveexec_b64 s[6:7], s[6:7]
	s_cbranch_execz .LBB14_5
; %bb.15:                               ;   in Loop: Header=BB14_7 Depth=1
	global_store_dword v[6:7], v2, off
	s_branch .LBB14_5
.LBB14_16:
	s_endpgm
	.section	.rodata,"a",@progbits
	.p2align	6, 0x0
	.amdhsa_kernel _Z16gatherWithFilterPiPKiS1_S1_S1_S_S_S_ii
		.amdhsa_group_segment_fixed_size 0
		.amdhsa_private_segment_fixed_size 0
		.amdhsa_kernarg_size 328
		.amdhsa_user_sgpr_count 6
		.amdhsa_user_sgpr_private_segment_buffer 1
		.amdhsa_user_sgpr_dispatch_ptr 0
		.amdhsa_user_sgpr_queue_ptr 0
		.amdhsa_user_sgpr_kernarg_segment_ptr 1
		.amdhsa_user_sgpr_dispatch_id 0
		.amdhsa_user_sgpr_flat_scratch_init 0
		.amdhsa_user_sgpr_kernarg_preload_length 0
		.amdhsa_user_sgpr_kernarg_preload_offset 0
		.amdhsa_user_sgpr_private_segment_size 0
		.amdhsa_uses_dynamic_stack 0
		.amdhsa_system_sgpr_private_segment_wavefront_offset 0
		.amdhsa_system_sgpr_workgroup_id_x 1
		.amdhsa_system_sgpr_workgroup_id_y 0
		.amdhsa_system_sgpr_workgroup_id_z 0
		.amdhsa_system_sgpr_workgroup_info 0
		.amdhsa_system_vgpr_workitem_id 0
		.amdhsa_next_free_vgpr 15
		.amdhsa_next_free_sgpr 18
		.amdhsa_accum_offset 16
		.amdhsa_reserve_vcc 1
		.amdhsa_reserve_flat_scratch 0
		.amdhsa_float_round_mode_32 0
		.amdhsa_float_round_mode_16_64 0
		.amdhsa_float_denorm_mode_32 3
		.amdhsa_float_denorm_mode_16_64 3
		.amdhsa_dx10_clamp 1
		.amdhsa_ieee_mode 1
		.amdhsa_fp16_overflow 0
		.amdhsa_tg_split 0
		.amdhsa_exception_fp_ieee_invalid_op 0
		.amdhsa_exception_fp_denorm_src 0
		.amdhsa_exception_fp_ieee_div_zero 0
		.amdhsa_exception_fp_ieee_overflow 0
		.amdhsa_exception_fp_ieee_underflow 0
		.amdhsa_exception_fp_ieee_inexact 0
		.amdhsa_exception_int_div_zero 0
	.end_amdhsa_kernel
	.text
.Lfunc_end14:
	.size	_Z16gatherWithFilterPiPKiS1_S1_S1_S_S_S_ii, .Lfunc_end14-_Z16gatherWithFilterPiPKiS1_S1_S1_S_S_S_ii
                                        ; -- End function
	.section	.AMDGPU.csdata,"",@progbits
; Kernel info:
; codeLenInByte = 552
; NumSgprs: 22
; NumVgprs: 15
; NumAgprs: 0
; TotalNumVgprs: 15
; ScratchSize: 0
; MemoryBound: 0
; FloatMode: 240
; IeeeMode: 1
; LDSByteSize: 0 bytes/workgroup (compile time only)
; SGPRBlocks: 2
; VGPRBlocks: 1
; NumSGPRsForWavesPerEU: 22
; NumVGPRsForWavesPerEU: 15
; AccumOffset: 16
; Occupancy: 8
; WaveLimiterHint : 1
; COMPUTE_PGM_RSRC2:SCRATCH_EN: 0
; COMPUTE_PGM_RSRC2:USER_SGPR: 6
; COMPUTE_PGM_RSRC2:TRAP_HANDLER: 0
; COMPUTE_PGM_RSRC2:TGID_X_EN: 1
; COMPUTE_PGM_RSRC2:TGID_Y_EN: 0
; COMPUTE_PGM_RSRC2:TGID_Z_EN: 0
; COMPUTE_PGM_RSRC2:TIDIG_COMP_CNT: 0
; COMPUTE_PGM_RSRC3_GFX90A:ACCUM_OFFSET: 3
; COMPUTE_PGM_RSRC3_GFX90A:TG_SPLIT: 0
	.text
	.protected	_Z19coverFindingToTablePiS_S_PKiS1_S1_S_S_S_S_iii ; -- Begin function _Z19coverFindingToTablePiS_S_PKiS1_S1_S_S_S_S_iii
	.globl	_Z19coverFindingToTablePiS_S_PKiS1_S1_S_S_S_S_iii
	.p2align	8
	.type	_Z19coverFindingToTablePiS_S_PKiS1_S1_S_S_S_S_iii,@function
_Z19coverFindingToTablePiS_S_PKiS1_S1_S_S_S_S_iii: ; @_Z19coverFindingToTablePiS_S_PKiS1_S1_S_S_S_S_iii
; %bb.0:
	s_add_u32 flat_scratch_lo, s6, s9
	s_load_dword s6, s[4:5], 0x6c
	s_load_dwordx4 s[52:55], s[4:5], 0x50
	s_addc_u32 flat_scratch_hi, s7, 0
	s_add_u32 s0, s0, s9
	s_addc_u32 s1, s1, 0
	s_waitcnt lgkmcnt(0)
	s_and_b32 s6, s6, 0xffff
	s_mul_i32 s8, s8, s6
	v_add_u32_e32 v0, s8, v0
	v_cmp_gt_i32_e32 vcc, s53, v0
	s_mov_b32 s32, 0x8400
	s_and_saveexec_b64 s[6:7], vcc
	s_cbranch_execz .LBB15_72
; %bb.1:
	s_load_dwordx16 s[36:51], s[4:5], 0x0
	v_ashrrev_i32_e32 v1, 31, v0
	v_lshlrev_b64 v[0:1], 2, v[0:1]
	v_mov_b32_e32 v6, s54
	s_load_dwordx4 s[56:59], s[4:5], 0x40
	s_waitcnt lgkmcnt(0)
	v_mov_b32_e32 v2, s37
	v_add_co_u32_e32 v44, vcc, s36, v0
	v_addc_co_u32_e32 v45, vcc, v2, v1, vcc
	global_load_dword v42, v[44:45], off
	v_mov_b32_e32 v3, s41
	v_mov_b32_e32 v5, s51
	s_mov_b64 s[34:35], 0
	s_mov_b64 s[26:27], 0
                                        ; implicit-def: $vgpr41
	s_waitcnt vmcnt(0)
	v_ashrrev_i32_e32 v43, 31, v42
	v_lshlrev_b64 v[0:1], 2, v[42:43]
	v_add_co_u32_e32 v2, vcc, s40, v0
	v_addc_co_u32_e32 v3, vcc, v3, v1, vcc
	v_add_co_u32_e32 v4, vcc, s50, v0
	v_addc_co_u32_e32 v5, vcc, v5, v1, vcc
	global_store_dword v[2:3], v6, off
	global_load_dword v2, v[4:5], off
                                        ; implicit-def: $vgpr43
	s_waitcnt vmcnt(0)
	v_cmp_ne_u32_e32 vcc, -1, v2
	s_and_saveexec_b64 s[6:7], vcc
	s_xor_b64 s[6:7], exec, s[6:7]
	s_cbranch_execz .LBB15_17
; %bb.2:
	v_mov_b32_e32 v2, s57
	v_add_co_u32_e32 v0, vcc, s56, v0
	v_addc_co_u32_e32 v1, vcc, v2, v1, vcc
	global_load_dword v41, v[0:1], off
	s_mov_b64 s[26:27], exec
	s_waitcnt vmcnt(0)
	v_cmp_ne_u32_e32 vcc, 0, v41
	v_cndmask_b32_e64 v43, 0, 1, vcc
	s_or_saveexec_b64 s[28:29], s[6:7]
	s_mov_b64 s[36:37], 0
	s_xor_b64 exec, exec, s[28:29]
	s_cbranch_execnz .LBB15_18
.LBB15_3:
	s_or_b64 exec, exec, s[28:29]
	s_and_saveexec_b64 s[28:29], s[26:27]
	s_cbranch_execz .LBB15_62
.LBB15_4:
	v_cmp_ne_u32_e32 vcc, 0, v43
	s_mov_b64 s[6:7], s[36:37]
	s_and_saveexec_b64 s[8:9], vcc
	s_xor_b64 s[26:27], exec, s[8:9]
	s_cbranch_execz .LBB15_67
; %bb.5:
	v_cmp_gt_i32_e32 vcc, 2, v41
	s_mov_b64 s[40:41], s[36:37]
	s_and_saveexec_b64 s[6:7], vcc
	s_xor_b64 s[42:43], exec, s[6:7]
	s_cbranch_execz .LBB15_7
; %bb.6:
	s_add_u32 s8, s4, 0x60
	s_addc_u32 s9, s5, 0
	s_getpc_b64 s[6:7]
	s_add_u32 s6, s6, .str.9@rel32@lo+4
	s_addc_u32 s7, s7, .str.9@rel32@hi+12
	s_getpc_b64 s[10:11]
	s_add_u32 s10, s10, .str.1@rel32@lo+4
	s_addc_u32 s11, s11, .str.1@rel32@hi+12
	s_getpc_b64 s[12:13]
	s_add_u32 s12, s12, __PRETTY_FUNCTION__._Z19coverFindingToTablePiS_S_PKiS1_S1_S_S_S_S_iii@rel32@lo+4
	s_addc_u32 s13, s13, __PRETTY_FUNCTION__._Z19coverFindingToTablePiS_S_PKiS1_S1_S_S_S_S_iii@rel32@hi+12
	v_mov_b32_e32 v0, s6
	v_mov_b32_e32 v1, s7
	;; [unrolled: 1-line block ×7, first 2 shown]
	s_getpc_b64 s[14:15]
	s_add_u32 s14, s14, __assert_fail@rel32@lo+4
	s_addc_u32 s15, s15, __assert_fail@rel32@hi+12
	s_mov_b64 s[40:41], s[4:5]
	s_swappc_b64 s[30:31], s[14:15]
	s_mov_b64 s[4:5], s[40:41]
	s_or_b64 s[40:41], s[36:37], exec
                                        ; implicit-def: $vgpr41
                                        ; implicit-def: $vgpr42
.LBB15_7:
	s_andn2_saveexec_b64 s[42:43], s[42:43]
	s_cbranch_execz .LBB15_66
; %bb.8:
	s_movk_i32 s6, 0x400
	v_cmp_lt_u32_e32 vcc, s6, v41
	s_mov_b64 s[6:7], s[40:41]
	s_and_saveexec_b64 s[8:9], vcc
	s_xor_b64 s[44:45], exec, s[8:9]
	s_cbranch_execz .LBB15_10
; %bb.9:
	s_add_u32 s8, s4, 0x60
	s_addc_u32 s9, s5, 0
	s_getpc_b64 s[6:7]
	s_add_u32 s6, s6, .str.10@rel32@lo+4
	s_addc_u32 s7, s7, .str.10@rel32@hi+12
	s_getpc_b64 s[10:11]
	s_add_u32 s10, s10, .str.1@rel32@lo+4
	s_addc_u32 s11, s11, .str.1@rel32@hi+12
	s_getpc_b64 s[12:13]
	s_add_u32 s12, s12, __PRETTY_FUNCTION__._Z19coverFindingToTablePiS_S_PKiS1_S1_S_S_S_S_iii@rel32@lo+4
	s_addc_u32 s13, s13, __PRETTY_FUNCTION__._Z19coverFindingToTablePiS_S_PKiS1_S1_S_S_S_S_iii@rel32@hi+12
	v_mov_b32_e32 v0, s6
	v_mov_b32_e32 v1, s7
	;; [unrolled: 1-line block ×7, first 2 shown]
	s_getpc_b64 s[14:15]
	s_add_u32 s14, s14, __assert_fail@rel32@lo+4
	s_addc_u32 s15, s15, __assert_fail@rel32@hi+12
	s_mov_b64 s[46:47], s[4:5]
	s_swappc_b64 s[30:31], s[14:15]
	s_mov_b64 s[4:5], s[46:47]
	s_or_b64 s[6:7], s[40:41], exec
                                        ; implicit-def: $vgpr41
                                        ; implicit-def: $vgpr42
.LBB15_10:
	s_andn2_saveexec_b64 s[8:9], s[44:45]
	s_cbranch_execz .LBB15_65
; %bb.11:
	s_mov_b32 s14, 0
	s_mov_b64 s[10:11], 0
	v_mov_b32_e32 v2, s49
	v_mov_b32_e32 v3, 1
	s_branch .LBB15_13
.LBB15_12:                              ;   in Loop: Header=BB15_13 Depth=1
	s_or_b64 exec, exec, s[12:13]
	v_add_u32_e32 v41, -1, v41
	s_add_i32 s14, s14, 1
	v_cmp_eq_u32_e32 vcc, 0, v41
	s_or_b64 s[10:11], vcc, s[10:11]
	s_andn2_b64 exec, exec, s[10:11]
	s_cbranch_execz .LBB15_64
.LBB15_13:                              ; =>This Inner Loop Header: Depth=1
	s_cmp_lg_u32 s14, 4
	s_cbranch_scc1 .LBB15_15
; %bb.14:                               ;   in Loop: Header=BB15_13 Depth=1
	v_ashrrev_i32_e32 v43, 31, v42
	v_lshlrev_b64 v[0:1], 2, v[42:43]
	v_mov_b32_e32 v4, s51
	v_add_co_u32_e32 v0, vcc, s50, v0
	v_addc_co_u32_e32 v1, vcc, v4, v1, vcc
	global_load_dword v42, v[0:1], off
	s_mov_b32 s14, 0
.LBB15_15:                              ;   in Loop: Header=BB15_13 Depth=1
	s_waitcnt vmcnt(0)
	v_lshl_add_u32 v0, v42, 2, s14
	v_ashrrev_i32_e32 v1, 31, v0
	v_lshlrev_b64 v[0:1], 2, v[0:1]
	v_add_co_u32_e32 v0, vcc, s48, v0
	v_addc_co_u32_e32 v1, vcc, v2, v1, vcc
	global_load_dword v0, v[0:1], off
	s_waitcnt vmcnt(0)
	v_ashrrev_i32_e32 v0, 1, v0
	v_cmp_lt_i32_e32 vcc, s52, v0
	s_and_saveexec_b64 s[12:13], vcc
	s_cbranch_execz .LBB15_12
; %bb.16:                               ;   in Loop: Header=BB15_13 Depth=1
	v_ashrrev_i32_e32 v1, 31, v0
	v_lshlrev_b64 v[0:1], 2, v[0:1]
	v_mov_b32_e32 v4, s39
	v_add_co_u32_e32 v0, vcc, s38, v0
	v_addc_co_u32_e32 v1, vcc, v4, v1, vcc
	global_store_dword v[0:1], v3, off
	s_branch .LBB15_12
.LBB15_17:
	s_or_saveexec_b64 s[28:29], s[6:7]
	s_mov_b64 s[36:37], 0
	s_xor_b64 exec, exec, s[28:29]
	s_cbranch_execz .LBB15_3
.LBB15_18:
	v_bfe_i32 v2, v42, 0, 31
	v_ashrrev_i32_e32 v3, 31, v2
	v_lshlrev_b64 v[0:1], 2, v[2:3]
	v_mov_b32_e32 v3, s51
	v_add_co_u32_e32 v4, vcc, s50, v0
	v_addc_co_u32_e32 v5, vcc, v3, v1, vcc
	v_mov_b32_e32 v9, 0
	v_lshlrev_b32_e32 v8, 1, v42
	global_store_dword v[4:5], v9, off
	s_mov_b32 s33, 0
	s_mov_b64 s[14:15], 0
	v_mov_b32_e32 v10, 0
	s_movk_i32 s53, 0x7f
	v_mov_b32_e32 v11, 0
	s_mov_b32 s86, 0
	v_mov_b32_e32 v4, v2
	buffer_store_dword v8, off, s[0:3], 0
                                        ; implicit-def: $sgpr12_sgpr13
                                        ; implicit-def: $sgpr10_sgpr11
	s_branch .LBB15_22
.LBB15_19:                              ;   in Loop: Header=BB15_22 Depth=1
	s_or_b64 exec, exec, s[8:9]
	s_waitcnt vmcnt(0)
	v_readfirstlane_b32 s8, v7
	v_add_u32_e32 v14, s8, v5
	v_ashrrev_i32_e32 v5, 31, v4
	v_lshlrev_b64 v[4:5], 2, v[4:5]
	v_mov_b32_e32 v7, s51
	v_add_co_u32_e32 v4, vcc, s50, v4
	v_addc_co_u32_e32 v5, vcc, v7, v5, vcc
	v_ashrrev_i32_e32 v15, 31, v14
	global_store_dword v[4:5], v14, off
	v_lshlrev_b64 v[4:5], 2, v[14:15]
	v_add_co_u32_e32 v4, vcc, s50, v4
	v_addc_co_u32_e32 v5, vcc, v7, v5, vcc
	global_store_dword v[4:5], v9, off
	s_mov_b32 s86, 0
	v_mov_b32_e32 v4, v14
.LBB15_20:                              ;   in Loop: Header=BB15_22 Depth=1
	v_lshl_add_u32 v14, v4, 2, s86
	v_ashrrev_i32_e32 v15, 31, v14
	v_lshlrev_b64 v[14:15], 2, v[14:15]
	v_mov_b32_e32 v5, s49
	v_add_co_u32_e32 v14, vcc, s48, v14
	v_addc_co_u32_e32 v15, vcc, v5, v15, vcc
	s_add_i32 s33, s33, 1
	v_cmp_eq_u32_e32 vcc, 0, v6
	s_waitcnt vmcnt(0)
	global_store_dword v[14:15], v12, off
	s_add_i32 s86, s86, 1
	v_mov_b32_e32 v41, s33
	v_mov_b32_e32 v43, 1
	s_or_b64 s[18:19], s[18:19], exec
	s_andn2_b64 s[16:17], s[16:17], exec
	s_orn2_b64 s[8:9], vcc, exec
	v_mov_b32_e32 v46, s33
.LBB15_21:                              ;   in Loop: Header=BB15_22 Depth=1
	s_or_b64 exec, exec, s[6:7]
	s_xor_b64 s[6:7], s[18:19], -1
	s_xor_b64 s[16:17], s[16:17], -1
	s_and_b64 s[8:9], exec, s[8:9]
	s_or_b64 s[14:15], s[8:9], s[14:15]
	s_andn2_b64 s[8:9], s[10:11], exec
	s_and_b64 s[6:7], s[6:7], exec
	s_or_b64 s[10:11], s[8:9], s[6:7]
	s_andn2_b64 s[6:7], s[12:13], exec
	s_and_b64 s[8:9], s[16:17], exec
	s_or_b64 s[12:13], s[6:7], s[8:9]
	s_andn2_b64 exec, exec, s[14:15]
	s_cbranch_execz .LBB15_55
.LBB15_22:                              ; =>This Loop Header: Depth=1
                                        ;     Child Loop BB15_24 Depth 2
                                        ;       Child Loop BB15_29 Depth 3
	s_cmp_lg_u32 s33, 0
	s_cselect_b64 s[6:7], -1, 0
	v_cndmask_b32_e64 v5, 0, 1, s[6:7]
	s_sub_i32 s87, 0x3fe, s33
	v_cmp_ne_u32_e64 s[6:7], 1, v5
	s_mov_b64 s[22:23], 0
	v_mov_b32_e32 v5, v11
                                        ; implicit-def: $sgpr20_sgpr21
                                        ; implicit-def: $sgpr18_sgpr19
                                        ; implicit-def: $sgpr16_sgpr17
                                        ; implicit-def: $sgpr24_sgpr25
                                        ; implicit-def: $sgpr30_sgpr31
	s_branch .LBB15_24
.LBB15_23:                              ;   in Loop: Header=BB15_24 Depth=2
	s_or_b64 exec, exec, s[36:37]
	s_xor_b64 s[34:35], s[34:35], -1
	s_and_b64 s[8:9], exec, s[8:9]
	s_or_b64 s[22:23], s[8:9], s[22:23]
	s_andn2_b64 s[8:9], s[16:17], exec
	s_and_b64 s[16:17], s[30:31], exec
	s_or_b64 s[16:17], s[8:9], s[16:17]
	s_andn2_b64 s[8:9], s[18:19], exec
	s_and_b64 s[18:19], s[24:25], exec
	;; [unrolled: 3-line block ×3, first 2 shown]
	s_or_b64 s[20:21], s[8:9], s[20:21]
	v_mov_b32_e32 v5, v14
	s_andn2_b64 exec, exec, s[22:23]
	s_cbranch_execz .LBB15_51
.LBB15_24:                              ;   Parent Loop BB15_22 Depth=1
                                        ; =>  This Loop Header: Depth=2
                                        ;       Child Loop BB15_29 Depth 3
	v_lshl_add_u32 v13, v5, 2, v10
	buffer_load_dword v12, v13, s[0:3], 0 offen
	s_and_b64 vcc, exec, s[6:7]
	v_add_u32_e32 v11, -1, v5
	s_cbranch_vccnz .LBB15_39
; %bb.25:                               ;   in Loop: Header=BB15_24 Depth=2
	s_mov_b32 s89, 0
	s_mov_b64 s[54:55], 0
	s_mov_b32 s88, s33
	v_mov_b32_e32 v6, v2
                                        ; implicit-def: $sgpr60_sgpr61
                                        ; implicit-def: $sgpr8_sgpr9
                                        ; implicit-def: $sgpr34_sgpr35
                                        ; implicit-def: $sgpr40_sgpr41
                                        ; implicit-def: $sgpr36_sgpr37
                                        ; implicit-def: $sgpr62_sgpr63
                                        ; implicit-def: $sgpr64_sgpr65
                                        ; implicit-def: $sgpr66_sgpr67
	s_branch .LBB15_29
.LBB15_26:                              ;   in Loop: Header=BB15_29 Depth=3
	s_or_b64 exec, exec, s[82:83]
	s_mov_b32 s90, 0
	s_mov_b64 s[82:83], 0
	s_xor_b64 s[84:85], exec, -1
	s_and_b64 s[80:81], s[80:81], exec
	s_orn2_b64 s[78:79], s[78:79], exec
.LBB15_27:                              ;   in Loop: Header=BB15_29 Depth=3
	s_or_b64 exec, exec, s[76:77]
	s_andn2_b64 s[70:71], s[70:71], exec
	s_and_b64 s[76:77], s[84:85], exec
	s_or_b64 s[70:71], s[70:71], s[76:77]
	s_andn2_b64 s[68:69], s[68:69], exec
	s_and_b64 s[76:77], s[80:81], exec
	s_or_b64 s[68:69], s[68:69], s[76:77]
	s_andn2_b64 s[66:67], s[66:67], exec
	s_and_b64 s[74:75], s[74:75], exec
	s_andn2_b64 s[64:65], s[64:65], exec
	s_and_b64 s[76:77], s[82:83], exec
	s_andn2_b64 s[62:63], s[62:63], exec
	s_or_b64 s[66:67], s[66:67], s[74:75]
	s_or_b64 s[64:65], s[64:65], s[76:77]
	;; [unrolled: 1-line block ×3, first 2 shown]
	s_orn2_b64 s[76:77], s[78:79], exec
.LBB15_28:                              ;   in Loop: Header=BB15_29 Depth=3
	s_or_b64 exec, exec, s[72:73]
	s_xor_b64 s[70:71], s[70:71], -1
	s_xor_b64 s[68:69], s[68:69], -1
	s_and_b64 s[72:73], exec, s[76:77]
	s_or_b64 s[54:55], s[72:73], s[54:55]
	s_andn2_b64 s[36:37], s[36:37], exec
	s_and_b64 s[72:73], s[66:67], exec
	s_or_b64 s[36:37], s[36:37], s[72:73]
	s_andn2_b64 s[40:41], s[40:41], exec
	s_and_b64 s[72:73], s[64:65], exec
	;; [unrolled: 3-line block ×3, first 2 shown]
	s_andn2_b64 s[8:9], s[8:9], exec
	s_and_b64 s[70:71], s[70:71], exec
	s_andn2_b64 s[60:61], s[60:61], exec
	s_and_b64 s[68:69], s[68:69], exec
	v_mov_b32_e32 v41, s33
	v_mov_b32_e32 v46, s90
	;; [unrolled: 1-line block ×3, first 2 shown]
	s_or_b64 s[34:35], s[34:35], s[72:73]
	s_or_b64 s[8:9], s[8:9], s[70:71]
	s_or_b64 s[60:61], s[60:61], s[68:69]
	s_andn2_b64 exec, exec, s[54:55]
	s_cbranch_execz .LBB15_36
.LBB15_29:                              ;   Parent Loop BB15_22 Depth=1
                                        ;     Parent Loop BB15_24 Depth=2
                                        ; =>    This Inner Loop Header: Depth=3
	s_cmp_lg_u32 s89, 4
	s_cselect_b64 s[74:75], -1, 0
	s_and_b64 vcc, exec, s[74:75]
	s_cbranch_vccnz .LBB15_31
; %bb.30:                               ;   in Loop: Header=BB15_29 Depth=3
	v_ashrrev_i32_e32 v7, 31, v6
	v_lshlrev_b64 v[14:15], 2, v[6:7]
	v_add_co_u32_e32 v14, vcc, s50, v14
	v_addc_co_u32_e32 v15, vcc, v3, v15, vcc
	global_load_dword v7, v[14:15], off
	s_andn2_b64 s[72:73], s[74:75], exec
	s_mov_b32 s89, 0
	s_mov_b64 s[68:69], -1
	s_mov_b64 s[70:71], 0
	s_waitcnt vmcnt(0)
	v_cmp_gt_i32_e32 vcc, v7, v6
	s_and_b64 s[74:75], vcc, exec
	s_or_b64 s[74:75], s[72:73], s[74:75]
	v_mov_b32_e32 v6, v7
	s_branch .LBB15_32
.LBB15_31:                              ;   in Loop: Header=BB15_29 Depth=3
                                        ; implicit-def: $sgpr70_sgpr71
                                        ; implicit-def: $sgpr68_sgpr69
.LBB15_32:                              ;   in Loop: Header=BB15_29 Depth=3
	s_andn2_b64 s[66:67], s[66:67], exec
	s_and_b64 s[72:73], s[70:71], exec
	s_or_b64 s[66:67], s[66:67], s[72:73]
	s_andn2_b64 s[64:65], s[64:65], exec
	s_and_b64 s[72:73], s[68:69], exec
	s_andn2_b64 s[62:63], s[62:63], exec
	s_mov_b64 s[76:77], -1
	s_or_b64 s[64:65], s[64:65], s[72:73]
	s_or_b64 s[62:63], s[62:63], s[72:73]
                                        ; implicit-def: $sgpr90
	s_and_saveexec_b64 s[72:73], s[74:75]
	s_cbranch_execz .LBB15_28
; %bb.33:                               ;   in Loop: Header=BB15_29 Depth=3
	v_lshl_add_u32 v14, v6, 2, s89
	v_ashrrev_i32_e32 v15, 31, v14
	v_lshlrev_b64 v[14:15], 2, v[14:15]
	v_mov_b32_e32 v7, s49
	v_add_co_u32_e32 v14, vcc, s48, v14
	v_addc_co_u32_e32 v15, vcc, v7, v15, vcc
	global_load_dword v7, v[14:15], off
	s_mov_b64 s[80:81], 0
	s_mov_b64 s[78:79], -1
	s_mov_b64 s[84:85], -1
                                        ; implicit-def: $sgpr82_sgpr83
                                        ; implicit-def: $sgpr90
                                        ; implicit-def: $sgpr74_sgpr75
	s_waitcnt vmcnt(0)
	v_cmp_ne_u32_e32 vcc, v7, v12
	s_and_saveexec_b64 s[76:77], vcc
	s_cbranch_execz .LBB15_27
; %bb.34:                               ;   in Loop: Header=BB15_29 Depth=3
	v_xor_b32_e32 v7, v7, v12
	v_cmp_ne_u32_e32 vcc, 1, v7
	s_mov_b64 s[74:75], -1
	s_mov_b64 s[80:81], -1
	s_and_saveexec_b64 s[82:83], vcc
	s_cbranch_execz .LBB15_26
; %bb.35:                               ;   in Loop: Header=BB15_29 Depth=3
	s_add_i32 s89, s89, 1
	s_add_i32 s88, s88, -1
	s_cmp_eq_u32 s88, 0
	s_cselect_b64 s[78:79], -1, 0
	s_xor_b64 s[80:81], exec, -1
	s_orn2_b64 s[78:79], s[78:79], exec
	s_branch .LBB15_26
.LBB15_36:                              ;   in Loop: Header=BB15_24 Depth=2
	s_or_b64 exec, exec, s[54:55]
	s_mov_b64 s[62:63], 0
	s_mov_b64 s[54:55], 0
	s_and_saveexec_b64 s[64:65], s[60:61]
	s_xor_b64 s[60:61], exec, s[64:65]
; %bb.37:                               ;   in Loop: Header=BB15_24 Depth=2
	s_mov_b64 s[54:55], exec
	s_andn2_b64 s[34:35], s[34:35], exec
	s_andn2_b64 s[40:41], s[40:41], exec
	;; [unrolled: 1-line block ×3, first 2 shown]
	s_and_b64 s[62:63], s[8:9], exec
                                        ; implicit-def: $vgpr43
                                        ; implicit-def: $vgpr46
                                        ; implicit-def: $vgpr41
; %bb.38:                               ;   in Loop: Header=BB15_24 Depth=2
	s_or_b64 exec, exec, s[60:61]
	v_mov_b32_e32 v6, v5
	v_mov_b32_e32 v14, v11
	s_and_saveexec_b64 s[60:61], s[62:63]
	s_cbranch_execnz .LBB15_40
	s_branch .LBB15_49
.LBB15_39:                              ;   in Loop: Header=BB15_24 Depth=2
	s_mov_b64 s[62:63], -1
	s_mov_b64 s[54:55], 0
                                        ; implicit-def: $sgpr36_sgpr37
                                        ; implicit-def: $sgpr40_sgpr41
                                        ; implicit-def: $sgpr34_sgpr35
                                        ; implicit-def: $vgpr43
                                        ; implicit-def: $vgpr46
                                        ; implicit-def: $vgpr41
                                        ; implicit-def: $vgpr6
                                        ; implicit-def: $vgpr14
	s_and_saveexec_b64 s[60:61], s[62:63]
	s_cbranch_execz .LBB15_49
.LBB15_40:                              ;   in Loop: Header=BB15_24 Depth=2
	s_waitcnt vmcnt(0)
	v_ashrrev_i32_e32 v6, 1, v12
	v_cmp_ne_u32_e32 vcc, v12, v8
	s_mov_b64 s[8:9], 0
                                        ; implicit-def: $sgpr62_sgpr63
	s_and_saveexec_b64 s[64:65], vcc
	s_xor_b64 s[64:65], exec, s[64:65]
	s_cbranch_execz .LBB15_44
; %bb.41:                               ;   in Loop: Header=BB15_24 Depth=2
	v_and_b32_e32 v7, 1, v12
	v_cmp_eq_u32_e32 vcc, 0, v7
	v_cmp_lt_i32_e64 s[8:9], s52, v6
	s_and_b64 s[66:67], vcc, s[8:9]
	s_mov_b64 s[62:63], 0
	s_mov_b64 s[8:9], 0
	s_and_saveexec_b64 s[68:69], s[66:67]
	s_xor_b64 s[66:67], exec, s[68:69]
	s_cbranch_execz .LBB15_43
; %bb.42:                               ;   in Loop: Header=BB15_24 Depth=2
	v_ashrrev_i32_e32 v7, 31, v6
	v_lshlrev_b64 v[14:15], 2, v[6:7]
	v_mov_b32_e32 v16, s47
	v_add_co_u32_e32 v14, vcc, s46, v14
	v_addc_co_u32_e32 v15, vcc, v16, v15, vcc
	global_load_dword v14, v[14:15], off
	v_cmp_gt_i32_e32 vcc, s53, v5
	v_lshlrev_b32_e32 v15, 1, v5
	s_waitcnt vmcnt(0)
	v_cmp_gt_i32_e64 s[8:9], 2, v14
	s_and_b64 s[8:9], vcc, s[8:9]
	v_cmp_ge_i32_e32 vcc, s87, v15
	s_and_b64 s[8:9], s[8:9], vcc
	s_and_b64 s[8:9], s[8:9], exec
.LBB15_43:                              ;   in Loop: Header=BB15_24 Depth=2
	s_or_b64 exec, exec, s[66:67]
	s_and_b64 s[8:9], s[8:9], exec
	s_andn2_saveexec_b64 s[64:65], s[64:65]
	s_branch .LBB15_45
.LBB15_44:                              ;   in Loop: Header=BB15_24 Depth=2
	s_andn2_saveexec_b64 s[64:65], s[64:65]
.LBB15_45:                              ;   in Loop: Header=BB15_24 Depth=2
	v_ashrrev_i32_e32 v7, 31, v6
	s_or_b64 s[8:9], s[8:9], exec
; %bb.46:                               ;   in Loop: Header=BB15_24 Depth=2
	s_or_b64 exec, exec, s[64:65]
	s_mov_b64 s[64:65], 0
                                        ; implicit-def: $sgpr66_sgpr67
                                        ; implicit-def: $vgpr14
	s_and_saveexec_b64 s[68:69], s[8:9]
	s_cbranch_execz .LBB15_48
; %bb.47:                               ;   in Loop: Header=BB15_24 Depth=2
	v_lshlrev_b64 v[6:7], 2, v[6:7]
	v_mov_b32_e32 v15, s45
	v_add_co_u32_e32 v14, vcc, s44, v6
	v_addc_co_u32_e32 v15, vcc, v15, v7, vcc
	v_mov_b32_e32 v16, s43
	v_add_co_u32_e32 v6, vcc, s42, v6
	v_addc_co_u32_e32 v7, vcc, v16, v7, vcc
	global_load_dword v6, v[6:7], off
	s_nop 0
	global_load_dword v7, v[14:15], off
	v_cmp_gt_i32_e32 vcc, s53, v5
	v_add_u32_e32 v14, 1, v5
	s_mov_b64 s[66:67], 0
	s_or_b64 s[62:63], s[62:63], exec
	s_and_b64 s[64:65], vcc, exec
	s_waitcnt vmcnt(1)
	buffer_store_dword v6, v13, s[0:3], 0 offen offset:4
	s_waitcnt vmcnt(1)
	buffer_store_dword v7, v13, s[0:3], 0 offen
.LBB15_48:                              ;   in Loop: Header=BB15_24 Depth=2
	s_or_b64 exec, exec, s[68:69]
	s_andn2_b64 s[8:9], s[34:35], exec
	s_and_b64 s[34:35], s[62:63], exec
	s_or_b64 s[34:35], s[8:9], s[34:35]
	s_andn2_b64 s[8:9], s[40:41], exec
	s_and_b64 s[40:41], s[66:67], exec
	s_or_b64 s[40:41], s[8:9], s[40:41]
	;; [unrolled: 3-line block ×4, first 2 shown]
	v_mov_b32_e32 v6, v5
                                        ; implicit-def: $vgpr43
                                        ; implicit-def: $vgpr46
                                        ; implicit-def: $vgpr41
.LBB15_49:                              ;   in Loop: Header=BB15_24 Depth=2
	s_or_b64 exec, exec, s[60:61]
	s_andn2_b64 s[30:31], s[30:31], exec
	s_and_b64 s[40:41], s[40:41], exec
	s_andn2_b64 s[24:25], s[24:25], exec
	s_and_b64 s[36:37], s[36:37], exec
	s_mov_b64 s[8:9], -1
	s_or_b64 s[30:31], s[30:31], s[40:41]
	s_or_b64 s[24:25], s[24:25], s[36:37]
	s_and_saveexec_b64 s[36:37], s[54:55]
	s_cbranch_execz .LBB15_23
; %bb.50:                               ;   in Loop: Header=BB15_24 Depth=2
	v_cmp_eq_u32_e32 vcc, -1, v14
	v_mov_b32_e32 v43, 1
	v_mov_b32_e32 v46, s33
	s_or_b64 s[34:35], s[34:35], exec
	s_andn2_b64 s[30:31], s[30:31], exec
	s_or_b64 s[24:25], s[24:25], exec
	s_orn2_b64 s[8:9], vcc, exec
	v_mov_b32_e32 v41, s33
	v_mov_b32_e32 v6, v5
	s_branch .LBB15_23
.LBB15_51:                              ;   in Loop: Header=BB15_22 Depth=1
	s_or_b64 exec, exec, s[22:23]
	s_mov_b64 s[8:9], -1
	s_and_saveexec_b64 s[6:7], s[20:21]
	s_xor_b64 s[6:7], exec, s[6:7]
	s_cbranch_execz .LBB15_21
; %bb.52:                               ;   in Loop: Header=BB15_22 Depth=1
	s_cmp_lg_u32 s86, 4
	s_cbranch_scc1 .LBB15_20
; %bb.53:                               ;   in Loop: Header=BB15_22 Depth=1
	s_mov_b64 s[20:21], exec
	v_mbcnt_lo_u32_b32 v5, s20, 0
	v_mbcnt_hi_u32_b32 v5, s21, v5
	v_cmp_eq_u32_e32 vcc, 0, v5
                                        ; implicit-def: $vgpr7
	s_and_saveexec_b64 s[8:9], vcc
	s_cbranch_execz .LBB15_19
; %bb.54:                               ;   in Loop: Header=BB15_22 Depth=1
	s_bcnt1_i32_b64 s20, s[20:21]
	v_mov_b32_e32 v7, s20
	global_atomic_add v7, v9, v7, s[58:59] glc
	s_branch .LBB15_19
.LBB15_55:
	s_or_b64 exec, exec, s[14:15]
	s_mov_b64 s[6:7], -1
	s_mov_b64 s[8:9], 0
	s_mov_b64 s[14:15], s[26:27]
	s_and_saveexec_b64 s[16:17], s[12:13]
	s_xor_b64 s[34:35], exec, s[16:17]
	s_cbranch_execz .LBB15_61
; %bb.56:
	s_mov_b64 s[6:7], 0
	s_and_saveexec_b64 s[8:9], s[10:11]
	s_xor_b64 s[36:37], exec, s[8:9]
	s_cbranch_execz .LBB15_58
; %bb.57:
	s_add_u32 s8, s4, 0x60
	s_addc_u32 s9, s5, 0
	s_getpc_b64 s[6:7]
	s_add_u32 s6, s6, .str.8@rel32@lo+4
	s_addc_u32 s7, s7, .str.8@rel32@hi+12
	s_getpc_b64 s[10:11]
	s_add_u32 s10, s10, .str.1@rel32@lo+4
	s_addc_u32 s11, s11, .str.1@rel32@hi+12
	s_getpc_b64 s[12:13]
	s_add_u32 s12, s12, __PRETTY_FUNCTION__._Z21localCoverTravToTableiPKiS0_S0_PiS1_S1_S1_S1_i@rel32@lo+4
	s_addc_u32 s13, s13, __PRETTY_FUNCTION__._Z21localCoverTravToTableiPKiS0_S0_PiS1_S1_S1_S1_i@rel32@hi+12
	v_mov_b32_e32 v0, s6
	v_mov_b32_e32 v1, s7
	;; [unrolled: 1-line block ×7, first 2 shown]
	s_getpc_b64 s[14:15]
	s_add_u32 s14, s14, __assert_fail@rel32@lo+4
	s_addc_u32 s15, s15, __assert_fail@rel32@hi+12
	s_mov_b64 s[40:41], s[4:5]
	s_swappc_b64 s[30:31], s[14:15]
	s_mov_b64 s[4:5], s[40:41]
	s_mov_b64 s[6:7], exec
                                        ; implicit-def: $vgpr0_vgpr1
.LBB15_58:
	s_or_saveexec_b64 s[8:9], s[36:37]
	s_mov_b64 s[10:11], s[26:27]
	s_xor_b64 exec, exec, s[8:9]
	s_cbranch_execz .LBB15_60
; %bb.59:
	v_mov_b32_e32 v2, s57
	v_add_co_u32_e32 v0, vcc, s56, v0
	v_addc_co_u32_e32 v1, vcc, v2, v1, vcc
	s_or_b64 s[10:11], s[26:27], exec
	global_store_dword v[0:1], v46, off
.LBB15_60:
	s_or_b64 exec, exec, s[8:9]
	s_andn2_b64 s[12:13], s[26:27], exec
	s_and_b64 s[10:11], s[10:11], exec
	s_and_b64 s[8:9], s[6:7], exec
	s_xor_b64 s[6:7], exec, -1
	s_or_b64 s[14:15], s[12:13], s[10:11]
.LBB15_61:
	s_or_b64 exec, exec, s[34:35]
	s_and_b64 s[36:37], s[8:9], exec
	s_and_b64 s[34:35], s[6:7], exec
	s_andn2_b64 s[6:7], s[26:27], exec
	s_and_b64 s[8:9], s[14:15], exec
	s_or_b64 s[26:27], s[6:7], s[8:9]
	s_or_b64 exec, exec, s[28:29]
	s_and_saveexec_b64 s[28:29], s[26:27]
	s_cbranch_execnz .LBB15_4
.LBB15_62:
	s_or_b64 exec, exec, s[28:29]
	s_and_saveexec_b64 s[26:27], s[34:35]
	s_cbranch_execz .LBB15_70
.LBB15_63:
	s_add_u32 s8, s4, 0x60
	s_addc_u32 s9, s5, 0
	s_getpc_b64 s[4:5]
	s_add_u32 s4, s4, .str.7@rel32@lo+4
	s_addc_u32 s5, s5, .str.7@rel32@hi+12
	s_getpc_b64 s[6:7]
	s_add_u32 s6, s6, .str.1@rel32@lo+4
	s_addc_u32 s7, s7, .str.1@rel32@hi+12
	s_getpc_b64 s[10:11]
	s_add_u32 s10, s10, __PRETTY_FUNCTION__._Z21localCoverTravToTableiPKiS0_S0_PiS1_S1_S1_S1_i@rel32@lo+4
	s_addc_u32 s11, s11, __PRETTY_FUNCTION__._Z21localCoverTravToTableiPKiS0_S0_PiS1_S1_S1_S1_i@rel32@hi+12
	v_mov_b32_e32 v0, s4
	v_mov_b32_e32 v1, s5
	;; [unrolled: 1-line block ×7, first 2 shown]
	s_getpc_b64 s[12:13]
	s_add_u32 s12, s12, __assert_fail@rel32@lo+4
	s_addc_u32 s13, s13, __assert_fail@rel32@hi+12
	s_swappc_b64 s[30:31], s[12:13]
	s_or_b64 s[36:37], s[36:37], exec
	s_or_b64 exec, exec, s[26:27]
	s_and_b64 exec, exec, s[36:37]
	s_cbranch_execnz .LBB15_71
	s_branch .LBB15_72
.LBB15_64:
	s_or_b64 exec, exec, s[10:11]
.LBB15_65:
	s_or_b64 exec, exec, s[8:9]
	s_andn2_b64 s[8:9], s[40:41], exec
	s_and_b64 s[6:7], s[6:7], exec
	s_or_b64 s[40:41], s[8:9], s[6:7]
.LBB15_66:
	s_or_b64 exec, exec, s[42:43]
	s_andn2_b64 s[6:7], s[36:37], exec
	s_and_b64 s[8:9], s[40:41], exec
	s_or_b64 s[6:7], s[6:7], s[8:9]
                                        ; implicit-def: $vgpr44_vgpr45
.LBB15_67:
	s_andn2_saveexec_b64 s[8:9], s[26:27]
	s_cbranch_execz .LBB15_69
; %bb.68:
	v_mov_b32_e32 v0, 0
	global_store_dword v[44:45], v0, off
.LBB15_69:
	s_or_b64 exec, exec, s[8:9]
	s_andn2_b64 s[8:9], s[36:37], exec
	s_and_b64 s[6:7], s[6:7], exec
	s_or_b64 s[36:37], s[8:9], s[6:7]
	s_or_b64 exec, exec, s[28:29]
	s_and_saveexec_b64 s[26:27], s[34:35]
	s_cbranch_execnz .LBB15_63
.LBB15_70:
	s_or_b64 exec, exec, s[26:27]
	s_and_b64 exec, exec, s[36:37]
.LBB15_71:
	; divergent unreachable
.LBB15_72:
	s_endpgm
	.section	.rodata,"a",@progbits
	.p2align	6, 0x0
	.amdhsa_kernel _Z19coverFindingToTablePiS_S_PKiS1_S1_S_S_S_S_iii
		.amdhsa_group_segment_fixed_size 0
		.amdhsa_private_segment_fixed_size 592
		.amdhsa_kernarg_size 352
		.amdhsa_user_sgpr_count 8
		.amdhsa_user_sgpr_private_segment_buffer 1
		.amdhsa_user_sgpr_dispatch_ptr 0
		.amdhsa_user_sgpr_queue_ptr 0
		.amdhsa_user_sgpr_kernarg_segment_ptr 1
		.amdhsa_user_sgpr_dispatch_id 0
		.amdhsa_user_sgpr_flat_scratch_init 1
		.amdhsa_user_sgpr_kernarg_preload_length 0
		.amdhsa_user_sgpr_kernarg_preload_offset 0
		.amdhsa_user_sgpr_private_segment_size 0
		.amdhsa_uses_dynamic_stack 0
		.amdhsa_system_sgpr_private_segment_wavefront_offset 1
		.amdhsa_system_sgpr_workgroup_id_x 1
		.amdhsa_system_sgpr_workgroup_id_y 0
		.amdhsa_system_sgpr_workgroup_id_z 0
		.amdhsa_system_sgpr_workgroup_info 0
		.amdhsa_system_vgpr_workitem_id 0
		.amdhsa_next_free_vgpr 54
		.amdhsa_next_free_sgpr 91
		.amdhsa_accum_offset 56
		.amdhsa_reserve_vcc 1
		.amdhsa_reserve_flat_scratch 1
		.amdhsa_float_round_mode_32 0
		.amdhsa_float_round_mode_16_64 0
		.amdhsa_float_denorm_mode_32 3
		.amdhsa_float_denorm_mode_16_64 3
		.amdhsa_dx10_clamp 1
		.amdhsa_ieee_mode 1
		.amdhsa_fp16_overflow 0
		.amdhsa_tg_split 0
		.amdhsa_exception_fp_ieee_invalid_op 0
		.amdhsa_exception_fp_denorm_src 0
		.amdhsa_exception_fp_ieee_div_zero 0
		.amdhsa_exception_fp_ieee_overflow 0
		.amdhsa_exception_fp_ieee_underflow 0
		.amdhsa_exception_fp_ieee_inexact 0
		.amdhsa_exception_int_div_zero 0
	.end_amdhsa_kernel
	.text
.Lfunc_end15:
	.size	_Z19coverFindingToTablePiS_S_PKiS1_S1_S_S_S_S_iii, .Lfunc_end15-_Z19coverFindingToTablePiS_S_PKiS1_S1_S_S_S_S_iii
                                        ; -- End function
	.section	.AMDGPU.csdata,"",@progbits
; Kernel info:
; codeLenInByte = 2852
; NumSgprs: 97
; NumVgprs: 54
; NumAgprs: 0
; TotalNumVgprs: 54
; ScratchSize: 592
; MemoryBound: 0
; FloatMode: 240
; IeeeMode: 1
; LDSByteSize: 0 bytes/workgroup (compile time only)
; SGPRBlocks: 12
; VGPRBlocks: 6
; NumSGPRsForWavesPerEU: 97
; NumVGPRsForWavesPerEU: 54
; AccumOffset: 56
; Occupancy: 8
; WaveLimiterHint : 1
; COMPUTE_PGM_RSRC2:SCRATCH_EN: 1
; COMPUTE_PGM_RSRC2:USER_SGPR: 8
; COMPUTE_PGM_RSRC2:TRAP_HANDLER: 0
; COMPUTE_PGM_RSRC2:TGID_X_EN: 1
; COMPUTE_PGM_RSRC2:TGID_Y_EN: 0
; COMPUTE_PGM_RSRC2:TGID_Z_EN: 0
; COMPUTE_PGM_RSRC2:TIDIG_COMP_CNT: 0
; COMPUTE_PGM_RSRC3_GFX90A:ACCUM_OFFSET: 13
; COMPUTE_PGM_RSRC3_GFX90A:TG_SPLIT: 0
	.text
	.protected	_Z19findLevelNodeRangesPKiPii ; -- Begin function _Z19findLevelNodeRangesPKiPii
	.globl	_Z19findLevelNodeRangesPKiPii
	.p2align	8
	.type	_Z19findLevelNodeRangesPKiPii,@function
_Z19findLevelNodeRangesPKiPii:          ; @_Z19findLevelNodeRangesPKiPii
; %bb.0:
	s_load_dword s7, s[4:5], 0x24
	s_load_dwordx4 s[0:3], s[4:5], 0x0
	s_load_dword s10, s[4:5], 0x10
	s_add_u32 s8, s4, 24
	s_addc_u32 s9, s5, 0
	s_waitcnt lgkmcnt(0)
	s_and_b32 s4, s7, 0xffff
	s_mul_i32 s6, s6, s4
	v_add_u32_e32 v28, s6, v0
	s_add_i32 s10, s10, -1
	v_cmp_ne_u32_e32 vcc, s10, v28
	s_mov_b64 s[4:5], 0
                                        ; implicit-def: $vgpr2
                                        ; implicit-def: $vgpr0
	s_and_saveexec_b64 s[6:7], vcc
	s_xor_b64 s[6:7], exec, s[6:7]
	s_cbranch_execnz .LBB16_4
; %bb.1:
	s_andn2_saveexec_b64 s[6:7], s[6:7]
	s_cbranch_execnz .LBB16_7
.LBB16_2:
	s_or_b64 exec, exec, s[6:7]
	s_and_saveexec_b64 s[0:1], s[4:5]
	s_cbranch_execnz .LBB16_170
.LBB16_3:
	s_endpgm
.LBB16_4:
	v_cmp_gt_i32_e32 vcc, s10, v28
	s_mov_b64 s[10:11], 0
                                        ; implicit-def: $vgpr2
                                        ; implicit-def: $vgpr0
	s_and_saveexec_b64 s[4:5], vcc
	s_xor_b64 s[4:5], exec, s[4:5]
	s_cbranch_execz .LBB16_6
; %bb.5:
	v_ashrrev_i32_e32 v29, 31, v28
	v_lshlrev_b64 v[0:1], 2, v[28:29]
	v_mov_b32_e32 v2, s1
	v_add_co_u32_e32 v0, vcc, s0, v0
	v_addc_co_u32_e32 v1, vcc, v2, v1, vcc
	global_load_dwordx2 v[0:1], v[0:1], off
	v_add_u32_e32 v2, 1, v28
	s_waitcnt vmcnt(0)
	v_cmp_lt_i32_e32 vcc, v0, v1
	s_and_b64 s[10:11], vcc, exec
.LBB16_6:
	s_or_b64 exec, exec, s[4:5]
	s_and_b64 s[4:5], s[10:11], exec
                                        ; implicit-def: $vgpr28
	s_andn2_saveexec_b64 s[6:7], s[6:7]
	s_cbranch_execz .LBB16_2
.LBB16_7:
	v_ashrrev_i32_e32 v29, 31, v28
	v_lshlrev_b64 v[0:1], 2, v[28:29]
	v_mov_b32_e32 v2, s1
	v_add_co_u32_e32 v30, vcc, s0, v0
	v_addc_co_u32_e32 v31, vcc, v2, v1, vcc
	global_load_dword v29, v[30:31], off
	s_load_dwordx2 s[8:9], s[8:9], 0x50
	v_mbcnt_lo_u32_b32 v0, -1, 0
	v_mbcnt_hi_u32_b32 v38, -1, v0
	v_readfirstlane_b32 s0, v38
	v_cmp_eq_u32_e64 s[0:1], s0, v38
	v_pk_mov_b32 v[6:7], 0, 0
	s_and_saveexec_b64 s[10:11], s[0:1]
	s_cbranch_execz .LBB16_13
; %bb.8:
	v_mov_b32_e32 v0, 0
	s_waitcnt lgkmcnt(0)
	global_load_dwordx2 v[4:5], v0, s[8:9] offset:24 glc
	s_waitcnt vmcnt(0)
	buffer_invl2
	buffer_wbinvl1_vol
	global_load_dwordx2 v[2:3], v0, s[8:9] offset:40
	global_load_dwordx2 v[6:7], v0, s[8:9]
	s_waitcnt vmcnt(1)
	v_and_b32_e32 v1, v2, v4
	v_and_b32_e32 v2, v3, v5
	v_mul_lo_u32 v2, v2, 24
	v_mul_hi_u32 v3, v1, 24
	v_mul_lo_u32 v1, v1, 24
	v_add_u32_e32 v3, v3, v2
	s_waitcnt vmcnt(0)
	v_add_co_u32_e32 v2, vcc, v6, v1
	v_addc_co_u32_e32 v3, vcc, v7, v3, vcc
	global_load_dwordx2 v[2:3], v[2:3], off glc
	s_waitcnt vmcnt(0)
	global_atomic_cmpswap_x2 v[6:7], v0, v[2:5], s[8:9] offset:24 glc
	s_waitcnt vmcnt(0)
	buffer_invl2
	buffer_wbinvl1_vol
	v_cmp_ne_u64_e32 vcc, v[6:7], v[4:5]
	s_and_saveexec_b64 s[12:13], vcc
	s_cbranch_execz .LBB16_12
; %bb.9:
	s_mov_b64 s[14:15], 0
.LBB16_10:                              ; =>This Inner Loop Header: Depth=1
	s_sleep 1
	global_load_dwordx2 v[2:3], v0, s[8:9] offset:40
	global_load_dwordx2 v[8:9], v0, s[8:9]
	v_pk_mov_b32 v[4:5], v[6:7], v[6:7] op_sel:[0,1]
	s_waitcnt vmcnt(1)
	v_and_b32_e32 v2, v2, v4
	v_and_b32_e32 v1, v3, v5
	s_waitcnt vmcnt(0)
	v_mad_u64_u32 v[2:3], s[16:17], v2, 24, v[8:9]
	v_mov_b32_e32 v6, v3
	v_mad_u64_u32 v[6:7], s[16:17], v1, 24, v[6:7]
	v_mov_b32_e32 v3, v6
	global_load_dwordx2 v[2:3], v[2:3], off glc
	s_waitcnt vmcnt(0)
	global_atomic_cmpswap_x2 v[6:7], v0, v[2:5], s[8:9] offset:24 glc
	s_waitcnt vmcnt(0)
	buffer_invl2
	buffer_wbinvl1_vol
	v_cmp_eq_u64_e32 vcc, v[6:7], v[4:5]
	s_or_b64 s[14:15], vcc, s[14:15]
	s_andn2_b64 exec, exec, s[14:15]
	s_cbranch_execnz .LBB16_10
; %bb.11:
	s_or_b64 exec, exec, s[14:15]
.LBB16_12:
	s_or_b64 exec, exec, s[12:13]
.LBB16_13:
	s_or_b64 exec, exec, s[10:11]
	v_mov_b32_e32 v5, 0
	s_waitcnt lgkmcnt(0)
	global_load_dwordx2 v[8:9], v5, s[8:9] offset:40
	global_load_dwordx4 v[0:3], v5, s[8:9]
	v_readfirstlane_b32 s10, v6
	v_readfirstlane_b32 s11, v7
	s_mov_b64 s[12:13], exec
	s_waitcnt vmcnt(1)
	v_readfirstlane_b32 s14, v8
	v_readfirstlane_b32 s15, v9
	s_and_b64 s[14:15], s[10:11], s[14:15]
	s_mul_i32 s16, s15, 24
	s_mul_hi_u32 s17, s14, 24
	s_mul_i32 s18, s14, 24
	s_add_i32 s16, s17, s16
	v_mov_b32_e32 v4, s16
	s_waitcnt vmcnt(0)
	v_add_co_u32_e32 v8, vcc, s18, v0
	v_addc_co_u32_e32 v9, vcc, v1, v4, vcc
	s_and_saveexec_b64 s[16:17], s[0:1]
	s_cbranch_execz .LBB16_15
; %bb.14:
	v_pk_mov_b32 v[10:11], s[12:13], s[12:13] op_sel:[0,1]
	v_mov_b32_e32 v12, 2
	v_mov_b32_e32 v13, 1
	global_store_dwordx4 v[8:9], v[10:13], off offset:8
.LBB16_15:
	s_or_b64 exec, exec, s[16:17]
	s_lshl_b64 s[12:13], s[14:15], 12
	v_mov_b32_e32 v4, s13
	v_add_co_u32_e32 v2, vcc, s12, v2
	v_addc_co_u32_e32 v3, vcc, v3, v4, vcc
	s_mov_b32 s12, 0
	v_lshlrev_b32_e32 v33, 6, v38
	v_add_co_u32_e32 v10, vcc, v2, v33
	v_mov_b32_e32 v4, 33
	v_mov_b32_e32 v6, v5
	;; [unrolled: 1-line block ×3, first 2 shown]
	v_readfirstlane_b32 s16, v2
	v_readfirstlane_b32 s17, v3
	s_mov_b32 s13, s12
	v_addc_co_u32_e32 v11, vcc, 0, v3, vcc
	s_mov_b32 s14, s12
	s_mov_b32 s15, s12
	s_nop 0
	global_store_dwordx4 v33, v[4:7], s[16:17]
	v_pk_mov_b32 v[2:3], s[12:13], s[12:13] op_sel:[0,1]
	v_pk_mov_b32 v[4:5], s[14:15], s[14:15] op_sel:[0,1]
	global_store_dwordx4 v33, v[2:5], s[16:17] offset:16
	global_store_dwordx4 v33, v[2:5], s[16:17] offset:32
	;; [unrolled: 1-line block ×3, first 2 shown]
	s_and_saveexec_b64 s[12:13], s[0:1]
	s_cbranch_execz .LBB16_23
; %bb.16:
	v_mov_b32_e32 v6, 0
	global_load_dwordx2 v[14:15], v6, s[8:9] offset:32 glc
	global_load_dwordx2 v[2:3], v6, s[8:9] offset:40
	v_mov_b32_e32 v12, s10
	v_mov_b32_e32 v13, s11
	s_waitcnt vmcnt(0)
	v_and_b32_e32 v2, s10, v2
	v_and_b32_e32 v3, s11, v3
	v_mul_lo_u32 v3, v3, 24
	v_mul_hi_u32 v4, v2, 24
	v_mul_lo_u32 v2, v2, 24
	v_add_u32_e32 v3, v4, v3
	v_add_co_u32_e32 v4, vcc, v0, v2
	v_addc_co_u32_e32 v5, vcc, v1, v3, vcc
	global_store_dwordx2 v[4:5], v[14:15], off
	buffer_wbl2
	s_waitcnt vmcnt(0)
	global_atomic_cmpswap_x2 v[2:3], v6, v[12:15], s[8:9] offset:32 glc
	s_waitcnt vmcnt(0)
	v_cmp_ne_u64_e32 vcc, v[2:3], v[14:15]
	s_and_saveexec_b64 s[14:15], vcc
	s_cbranch_execz .LBB16_19
; %bb.17:
	s_mov_b64 s[16:17], 0
.LBB16_18:                              ; =>This Inner Loop Header: Depth=1
	s_sleep 1
	global_store_dwordx2 v[4:5], v[2:3], off
	v_mov_b32_e32 v0, s10
	v_mov_b32_e32 v1, s11
	buffer_wbl2
	s_waitcnt vmcnt(0)
	global_atomic_cmpswap_x2 v[0:1], v6, v[0:3], s[8:9] offset:32 glc
	s_waitcnt vmcnt(0)
	v_cmp_eq_u64_e32 vcc, v[0:1], v[2:3]
	s_or_b64 s[16:17], vcc, s[16:17]
	v_pk_mov_b32 v[2:3], v[0:1], v[0:1] op_sel:[0,1]
	s_andn2_b64 exec, exec, s[16:17]
	s_cbranch_execnz .LBB16_18
.LBB16_19:
	s_or_b64 exec, exec, s[14:15]
	v_mov_b32_e32 v3, 0
	global_load_dwordx2 v[0:1], v3, s[8:9] offset:16
	s_mov_b64 s[14:15], exec
	v_mbcnt_lo_u32_b32 v2, s14, 0
	v_mbcnt_hi_u32_b32 v2, s15, v2
	v_cmp_eq_u32_e32 vcc, 0, v2
	s_and_saveexec_b64 s[16:17], vcc
	s_cbranch_execz .LBB16_21
; %bb.20:
	s_bcnt1_i32_b64 s14, s[14:15]
	v_mov_b32_e32 v2, s14
	buffer_wbl2
	s_waitcnt vmcnt(0)
	global_atomic_add_x2 v[0:1], v[2:3], off offset:8
.LBB16_21:
	s_or_b64 exec, exec, s[16:17]
	s_waitcnt vmcnt(0)
	global_load_dwordx2 v[2:3], v[0:1], off offset:16
	s_waitcnt vmcnt(0)
	v_cmp_eq_u64_e32 vcc, 0, v[2:3]
	s_cbranch_vccnz .LBB16_23
; %bb.22:
	global_load_dword v0, v[0:1], off offset:24
	v_mov_b32_e32 v1, 0
	buffer_wbl2
	s_waitcnt vmcnt(0)
	global_store_dwordx2 v[2:3], v[0:1], off
	v_and_b32_e32 v0, 0xffffff, v0
	v_readfirstlane_b32 m0, v0
	s_sendmsg sendmsg(MSG_INTERRUPT)
.LBB16_23:
	s_or_b64 exec, exec, s[12:13]
	s_branch .LBB16_27
.LBB16_24:                              ;   in Loop: Header=BB16_27 Depth=1
	s_or_b64 exec, exec, s[12:13]
	v_readfirstlane_b32 s12, v0
	s_cmp_eq_u32 s12, 0
	s_cbranch_scc1 .LBB16_26
; %bb.25:                               ;   in Loop: Header=BB16_27 Depth=1
	s_sleep 1
	s_cbranch_execnz .LBB16_27
	s_branch .LBB16_29
.LBB16_26:
	s_branch .LBB16_29
.LBB16_27:                              ; =>This Inner Loop Header: Depth=1
	v_mov_b32_e32 v0, 1
	s_and_saveexec_b64 s[12:13], s[0:1]
	s_cbranch_execz .LBB16_24
; %bb.28:                               ;   in Loop: Header=BB16_27 Depth=1
	global_load_dword v0, v[8:9], off offset:20 glc
	s_waitcnt vmcnt(0)
	buffer_invl2
	buffer_wbinvl1_vol
	v_and_b32_e32 v0, 1, v0
	s_branch .LBB16_24
.LBB16_29:
	global_load_dwordx2 v[0:1], v[10:11], off
	s_and_saveexec_b64 s[12:13], s[0:1]
	s_cbranch_execz .LBB16_32
; %bb.30:
	v_mov_b32_e32 v8, 0
	global_load_dwordx2 v[6:7], v8, s[8:9] offset:40
	global_load_dwordx2 v[10:11], v8, s[8:9] offset:24 glc
	global_load_dwordx2 v[12:13], v8, s[8:9]
	v_mov_b32_e32 v3, s11
	s_mov_b64 s[0:1], 0
	s_waitcnt vmcnt(2)
	v_add_co_u32_e32 v5, vcc, 1, v6
	v_addc_co_u32_e32 v9, vcc, 0, v7, vcc
	v_add_co_u32_e32 v2, vcc, s10, v5
	v_addc_co_u32_e32 v3, vcc, v9, v3, vcc
	v_cmp_eq_u64_e32 vcc, 0, v[2:3]
	v_cndmask_b32_e32 v3, v3, v9, vcc
	v_cndmask_b32_e32 v2, v2, v5, vcc
	v_and_b32_e32 v5, v3, v7
	v_and_b32_e32 v6, v2, v6
	v_mul_lo_u32 v5, v5, 24
	v_mul_hi_u32 v7, v6, 24
	v_mul_lo_u32 v6, v6, 24
	v_add_u32_e32 v5, v7, v5
	s_waitcnt vmcnt(0)
	v_add_co_u32_e32 v6, vcc, v12, v6
	v_addc_co_u32_e32 v7, vcc, v13, v5, vcc
	v_mov_b32_e32 v4, v10
	global_store_dwordx2 v[6:7], v[10:11], off
	v_mov_b32_e32 v5, v11
	buffer_wbl2
	s_waitcnt vmcnt(0)
	global_atomic_cmpswap_x2 v[4:5], v8, v[2:5], s[8:9] offset:24 glc
	s_waitcnt vmcnt(0)
	v_cmp_ne_u64_e32 vcc, v[4:5], v[10:11]
	s_and_b64 exec, exec, vcc
	s_cbranch_execz .LBB16_32
.LBB16_31:                              ; =>This Inner Loop Header: Depth=1
	s_sleep 1
	global_store_dwordx2 v[6:7], v[4:5], off
	buffer_wbl2
	s_waitcnt vmcnt(0)
	global_atomic_cmpswap_x2 v[10:11], v8, v[2:5], s[8:9] offset:24 glc
	s_waitcnt vmcnt(0)
	v_cmp_eq_u64_e32 vcc, v[10:11], v[4:5]
	s_or_b64 s[0:1], vcc, s[0:1]
	v_pk_mov_b32 v[4:5], v[10:11], v[10:11] op_sel:[0,1]
	s_andn2_b64 exec, exec, s[0:1]
	s_cbranch_execnz .LBB16_31
.LBB16_32:
	s_or_b64 exec, exec, s[12:13]
	s_getpc_b64 s[10:11]
	s_add_u32 s10, s10, .str.11@rel32@lo+4
	s_addc_u32 s11, s11, .str.11@rel32@hi+12
	s_cmp_lg_u64 s[10:11], 0
	s_cbranch_scc0 .LBB16_117
; %bb.33:
	s_waitcnt vmcnt(0)
	v_and_b32_e32 v32, 2, v0
	v_mov_b32_e32 v35, 0
	v_and_b32_e32 v2, -3, v0
	v_mov_b32_e32 v3, v1
	s_mov_b64 s[12:13], 19
	v_mov_b32_e32 v6, 2
	v_mov_b32_e32 v7, 1
	s_branch .LBB16_35
.LBB16_34:                              ;   in Loop: Header=BB16_35 Depth=1
	s_or_b64 exec, exec, s[18:19]
	s_sub_u32 s12, s12, s14
	s_subb_u32 s13, s13, s15
	s_add_u32 s10, s10, s14
	s_addc_u32 s11, s11, s15
	s_cmp_lg_u64 s[12:13], 0
	s_cbranch_scc0 .LBB16_116
.LBB16_35:                              ; =>This Loop Header: Depth=1
                                        ;     Child Loop BB16_38 Depth 2
                                        ;     Child Loop BB16_45 Depth 2
	;; [unrolled: 1-line block ×11, first 2 shown]
	v_cmp_lt_u64_e64 s[0:1], s[12:13], 56
	s_and_b64 s[0:1], s[0:1], exec
	v_cmp_gt_u64_e64 s[0:1], s[12:13], 7
	s_cselect_b32 s15, s13, 0
	s_cselect_b32 s14, s12, 56
	s_and_b64 vcc, exec, s[0:1]
	s_cbranch_vccnz .LBB16_40
; %bb.36:                               ;   in Loop: Header=BB16_35 Depth=1
	s_mov_b64 s[0:1], 0
	s_cmp_eq_u64 s[12:13], 0
	v_pk_mov_b32 v[10:11], 0, 0
	s_cbranch_scc1 .LBB16_39
; %bb.37:                               ;   in Loop: Header=BB16_35 Depth=1
	s_lshl_b64 s[16:17], s[14:15], 3
	s_mov_b64 s[18:19], 0
	v_pk_mov_b32 v[10:11], 0, 0
	s_mov_b64 s[20:21], s[10:11]
.LBB16_38:                              ;   Parent Loop BB16_35 Depth=1
                                        ; =>  This Inner Loop Header: Depth=2
	global_load_ubyte v4, v35, s[20:21]
	s_waitcnt vmcnt(0)
	v_and_b32_e32 v34, 0xffff, v4
	v_lshlrev_b64 v[4:5], s18, v[34:35]
	s_add_u32 s18, s18, 8
	s_addc_u32 s19, s19, 0
	s_add_u32 s20, s20, 1
	s_addc_u32 s21, s21, 0
	v_or_b32_e32 v10, v4, v10
	s_cmp_lg_u32 s16, s18
	v_or_b32_e32 v11, v5, v11
	s_cbranch_scc1 .LBB16_38
.LBB16_39:                              ;   in Loop: Header=BB16_35 Depth=1
	s_mov_b32 s20, 0
	s_andn2_b64 vcc, exec, s[0:1]
	s_mov_b64 s[0:1], s[10:11]
	s_cbranch_vccz .LBB16_41
	s_branch .LBB16_42
.LBB16_40:                              ;   in Loop: Header=BB16_35 Depth=1
                                        ; implicit-def: $vgpr10_vgpr11
                                        ; implicit-def: $sgpr20
	s_mov_b64 s[0:1], s[10:11]
.LBB16_41:                              ;   in Loop: Header=BB16_35 Depth=1
	global_load_dwordx2 v[10:11], v35, s[10:11]
	s_add_i32 s20, s14, -8
	s_add_u32 s0, s10, 8
	s_addc_u32 s1, s11, 0
.LBB16_42:                              ;   in Loop: Header=BB16_35 Depth=1
	s_cmp_gt_u32 s20, 7
	s_cbranch_scc1 .LBB16_46
; %bb.43:                               ;   in Loop: Header=BB16_35 Depth=1
	s_cmp_eq_u32 s20, 0
	s_cbranch_scc1 .LBB16_47
; %bb.44:                               ;   in Loop: Header=BB16_35 Depth=1
	s_mov_b64 s[16:17], 0
	v_pk_mov_b32 v[12:13], 0, 0
	s_mov_b64 s[18:19], 0
.LBB16_45:                              ;   Parent Loop BB16_35 Depth=1
                                        ; =>  This Inner Loop Header: Depth=2
	s_add_u32 s22, s0, s18
	s_addc_u32 s23, s1, s19
	global_load_ubyte v4, v35, s[22:23]
	s_add_u32 s18, s18, 1
	s_addc_u32 s19, s19, 0
	s_waitcnt vmcnt(0)
	v_and_b32_e32 v34, 0xffff, v4
	v_lshlrev_b64 v[4:5], s16, v[34:35]
	s_add_u32 s16, s16, 8
	s_addc_u32 s17, s17, 0
	v_or_b32_e32 v12, v4, v12
	s_cmp_lg_u32 s20, s18
	v_or_b32_e32 v13, v5, v13
	s_cbranch_scc1 .LBB16_45
	s_branch .LBB16_48
.LBB16_46:                              ;   in Loop: Header=BB16_35 Depth=1
                                        ; implicit-def: $vgpr12_vgpr13
                                        ; implicit-def: $sgpr21
	s_branch .LBB16_49
.LBB16_47:                              ;   in Loop: Header=BB16_35 Depth=1
	v_pk_mov_b32 v[12:13], 0, 0
.LBB16_48:                              ;   in Loop: Header=BB16_35 Depth=1
	s_mov_b32 s21, 0
	s_cbranch_execnz .LBB16_50
.LBB16_49:                              ;   in Loop: Header=BB16_35 Depth=1
	global_load_dwordx2 v[12:13], v35, s[0:1]
	s_add_i32 s21, s20, -8
	s_add_u32 s0, s0, 8
	s_addc_u32 s1, s1, 0
.LBB16_50:                              ;   in Loop: Header=BB16_35 Depth=1
	s_cmp_gt_u32 s21, 7
	s_cbranch_scc1 .LBB16_54
; %bb.51:                               ;   in Loop: Header=BB16_35 Depth=1
	s_cmp_eq_u32 s21, 0
	s_cbranch_scc1 .LBB16_55
; %bb.52:                               ;   in Loop: Header=BB16_35 Depth=1
	s_mov_b64 s[16:17], 0
	v_pk_mov_b32 v[14:15], 0, 0
	s_mov_b64 s[18:19], 0
.LBB16_53:                              ;   Parent Loop BB16_35 Depth=1
                                        ; =>  This Inner Loop Header: Depth=2
	s_add_u32 s22, s0, s18
	s_addc_u32 s23, s1, s19
	global_load_ubyte v4, v35, s[22:23]
	s_add_u32 s18, s18, 1
	s_addc_u32 s19, s19, 0
	s_waitcnt vmcnt(0)
	v_and_b32_e32 v34, 0xffff, v4
	v_lshlrev_b64 v[4:5], s16, v[34:35]
	s_add_u32 s16, s16, 8
	s_addc_u32 s17, s17, 0
	v_or_b32_e32 v14, v4, v14
	s_cmp_lg_u32 s21, s18
	v_or_b32_e32 v15, v5, v15
	s_cbranch_scc1 .LBB16_53
	s_branch .LBB16_56
.LBB16_54:                              ;   in Loop: Header=BB16_35 Depth=1
                                        ; implicit-def: $sgpr20
	s_branch .LBB16_57
.LBB16_55:                              ;   in Loop: Header=BB16_35 Depth=1
	v_pk_mov_b32 v[14:15], 0, 0
.LBB16_56:                              ;   in Loop: Header=BB16_35 Depth=1
	s_mov_b32 s20, 0
	s_cbranch_execnz .LBB16_58
.LBB16_57:                              ;   in Loop: Header=BB16_35 Depth=1
	global_load_dwordx2 v[14:15], v35, s[0:1]
	s_add_i32 s20, s21, -8
	s_add_u32 s0, s0, 8
	s_addc_u32 s1, s1, 0
.LBB16_58:                              ;   in Loop: Header=BB16_35 Depth=1
	s_cmp_gt_u32 s20, 7
	s_cbranch_scc1 .LBB16_62
; %bb.59:                               ;   in Loop: Header=BB16_35 Depth=1
	s_cmp_eq_u32 s20, 0
	s_cbranch_scc1 .LBB16_63
; %bb.60:                               ;   in Loop: Header=BB16_35 Depth=1
	s_mov_b64 s[16:17], 0
	v_pk_mov_b32 v[16:17], 0, 0
	s_mov_b64 s[18:19], 0
.LBB16_61:                              ;   Parent Loop BB16_35 Depth=1
                                        ; =>  This Inner Loop Header: Depth=2
	s_add_u32 s22, s0, s18
	s_addc_u32 s23, s1, s19
	global_load_ubyte v4, v35, s[22:23]
	s_add_u32 s18, s18, 1
	s_addc_u32 s19, s19, 0
	s_waitcnt vmcnt(0)
	v_and_b32_e32 v34, 0xffff, v4
	v_lshlrev_b64 v[4:5], s16, v[34:35]
	s_add_u32 s16, s16, 8
	s_addc_u32 s17, s17, 0
	v_or_b32_e32 v16, v4, v16
	s_cmp_lg_u32 s20, s18
	v_or_b32_e32 v17, v5, v17
	s_cbranch_scc1 .LBB16_61
	s_branch .LBB16_64
.LBB16_62:                              ;   in Loop: Header=BB16_35 Depth=1
                                        ; implicit-def: $vgpr16_vgpr17
                                        ; implicit-def: $sgpr21
	s_branch .LBB16_65
.LBB16_63:                              ;   in Loop: Header=BB16_35 Depth=1
	v_pk_mov_b32 v[16:17], 0, 0
.LBB16_64:                              ;   in Loop: Header=BB16_35 Depth=1
	s_mov_b32 s21, 0
	s_cbranch_execnz .LBB16_66
.LBB16_65:                              ;   in Loop: Header=BB16_35 Depth=1
	global_load_dwordx2 v[16:17], v35, s[0:1]
	s_add_i32 s21, s20, -8
	s_add_u32 s0, s0, 8
	s_addc_u32 s1, s1, 0
.LBB16_66:                              ;   in Loop: Header=BB16_35 Depth=1
	s_cmp_gt_u32 s21, 7
	s_cbranch_scc1 .LBB16_70
; %bb.67:                               ;   in Loop: Header=BB16_35 Depth=1
	s_cmp_eq_u32 s21, 0
	s_cbranch_scc1 .LBB16_71
; %bb.68:                               ;   in Loop: Header=BB16_35 Depth=1
	s_mov_b64 s[16:17], 0
	v_pk_mov_b32 v[18:19], 0, 0
	s_mov_b64 s[18:19], 0
.LBB16_69:                              ;   Parent Loop BB16_35 Depth=1
                                        ; =>  This Inner Loop Header: Depth=2
	s_add_u32 s22, s0, s18
	s_addc_u32 s23, s1, s19
	global_load_ubyte v4, v35, s[22:23]
	s_add_u32 s18, s18, 1
	s_addc_u32 s19, s19, 0
	s_waitcnt vmcnt(0)
	v_and_b32_e32 v34, 0xffff, v4
	v_lshlrev_b64 v[4:5], s16, v[34:35]
	s_add_u32 s16, s16, 8
	s_addc_u32 s17, s17, 0
	v_or_b32_e32 v18, v4, v18
	s_cmp_lg_u32 s21, s18
	v_or_b32_e32 v19, v5, v19
	s_cbranch_scc1 .LBB16_69
	s_branch .LBB16_72
.LBB16_70:                              ;   in Loop: Header=BB16_35 Depth=1
                                        ; implicit-def: $sgpr20
	s_branch .LBB16_73
.LBB16_71:                              ;   in Loop: Header=BB16_35 Depth=1
	v_pk_mov_b32 v[18:19], 0, 0
.LBB16_72:                              ;   in Loop: Header=BB16_35 Depth=1
	s_mov_b32 s20, 0
	s_cbranch_execnz .LBB16_74
.LBB16_73:                              ;   in Loop: Header=BB16_35 Depth=1
	global_load_dwordx2 v[18:19], v35, s[0:1]
	s_add_i32 s20, s21, -8
	s_add_u32 s0, s0, 8
	s_addc_u32 s1, s1, 0
.LBB16_74:                              ;   in Loop: Header=BB16_35 Depth=1
	s_cmp_gt_u32 s20, 7
	s_cbranch_scc1 .LBB16_78
; %bb.75:                               ;   in Loop: Header=BB16_35 Depth=1
	s_cmp_eq_u32 s20, 0
	s_cbranch_scc1 .LBB16_79
; %bb.76:                               ;   in Loop: Header=BB16_35 Depth=1
	s_mov_b64 s[16:17], 0
	v_pk_mov_b32 v[20:21], 0, 0
	s_mov_b64 s[18:19], 0
.LBB16_77:                              ;   Parent Loop BB16_35 Depth=1
                                        ; =>  This Inner Loop Header: Depth=2
	s_add_u32 s22, s0, s18
	s_addc_u32 s23, s1, s19
	global_load_ubyte v4, v35, s[22:23]
	s_add_u32 s18, s18, 1
	s_addc_u32 s19, s19, 0
	s_waitcnt vmcnt(0)
	v_and_b32_e32 v34, 0xffff, v4
	v_lshlrev_b64 v[4:5], s16, v[34:35]
	s_add_u32 s16, s16, 8
	s_addc_u32 s17, s17, 0
	v_or_b32_e32 v20, v4, v20
	s_cmp_lg_u32 s20, s18
	v_or_b32_e32 v21, v5, v21
	s_cbranch_scc1 .LBB16_77
	s_branch .LBB16_80
.LBB16_78:                              ;   in Loop: Header=BB16_35 Depth=1
                                        ; implicit-def: $vgpr20_vgpr21
                                        ; implicit-def: $sgpr21
	s_branch .LBB16_81
.LBB16_79:                              ;   in Loop: Header=BB16_35 Depth=1
	v_pk_mov_b32 v[20:21], 0, 0
.LBB16_80:                              ;   in Loop: Header=BB16_35 Depth=1
	s_mov_b32 s21, 0
	s_cbranch_execnz .LBB16_82
.LBB16_81:                              ;   in Loop: Header=BB16_35 Depth=1
	global_load_dwordx2 v[20:21], v35, s[0:1]
	s_add_i32 s21, s20, -8
	s_add_u32 s0, s0, 8
	s_addc_u32 s1, s1, 0
.LBB16_82:                              ;   in Loop: Header=BB16_35 Depth=1
	s_cmp_gt_u32 s21, 7
	s_cbranch_scc1 .LBB16_86
; %bb.83:                               ;   in Loop: Header=BB16_35 Depth=1
	s_cmp_eq_u32 s21, 0
	s_cbranch_scc1 .LBB16_87
; %bb.84:                               ;   in Loop: Header=BB16_35 Depth=1
	s_mov_b64 s[16:17], 0
	v_pk_mov_b32 v[22:23], 0, 0
	s_mov_b64 s[18:19], s[0:1]
.LBB16_85:                              ;   Parent Loop BB16_35 Depth=1
                                        ; =>  This Inner Loop Header: Depth=2
	global_load_ubyte v4, v35, s[18:19]
	s_add_i32 s21, s21, -1
	s_waitcnt vmcnt(0)
	v_and_b32_e32 v34, 0xffff, v4
	v_lshlrev_b64 v[4:5], s16, v[34:35]
	s_add_u32 s16, s16, 8
	s_addc_u32 s17, s17, 0
	s_add_u32 s18, s18, 1
	s_addc_u32 s19, s19, 0
	v_or_b32_e32 v22, v4, v22
	s_cmp_lg_u32 s21, 0
	v_or_b32_e32 v23, v5, v23
	s_cbranch_scc1 .LBB16_85
	s_branch .LBB16_88
.LBB16_86:                              ;   in Loop: Header=BB16_35 Depth=1
	s_branch .LBB16_89
.LBB16_87:                              ;   in Loop: Header=BB16_35 Depth=1
	v_pk_mov_b32 v[22:23], 0, 0
.LBB16_88:                              ;   in Loop: Header=BB16_35 Depth=1
	s_cbranch_execnz .LBB16_90
.LBB16_89:                              ;   in Loop: Header=BB16_35 Depth=1
	global_load_dwordx2 v[22:23], v35, s[0:1]
.LBB16_90:                              ;   in Loop: Header=BB16_35 Depth=1
	v_readfirstlane_b32 s0, v38
	v_cmp_eq_u32_e64 s[0:1], s0, v38
	s_waitcnt vmcnt(0)
	v_pk_mov_b32 v[4:5], 0, 0
	s_and_saveexec_b64 s[16:17], s[0:1]
	s_cbranch_execz .LBB16_96
; %bb.91:                               ;   in Loop: Header=BB16_35 Depth=1
	global_load_dwordx2 v[26:27], v35, s[8:9] offset:24 glc
	s_waitcnt vmcnt(0)
	buffer_invl2
	buffer_wbinvl1_vol
	global_load_dwordx2 v[4:5], v35, s[8:9] offset:40
	global_load_dwordx2 v[8:9], v35, s[8:9]
	s_waitcnt vmcnt(1)
	v_and_b32_e32 v4, v4, v26
	v_and_b32_e32 v5, v5, v27
	v_mul_lo_u32 v5, v5, 24
	v_mul_hi_u32 v24, v4, 24
	v_mul_lo_u32 v4, v4, 24
	v_add_u32_e32 v5, v24, v5
	s_waitcnt vmcnt(0)
	v_add_co_u32_e32 v4, vcc, v8, v4
	v_addc_co_u32_e32 v5, vcc, v9, v5, vcc
	global_load_dwordx2 v[24:25], v[4:5], off glc
	s_waitcnt vmcnt(0)
	global_atomic_cmpswap_x2 v[4:5], v35, v[24:27], s[8:9] offset:24 glc
	s_waitcnt vmcnt(0)
	buffer_invl2
	buffer_wbinvl1_vol
	v_cmp_ne_u64_e32 vcc, v[4:5], v[26:27]
	s_and_saveexec_b64 s[18:19], vcc
	s_cbranch_execz .LBB16_95
; %bb.92:                               ;   in Loop: Header=BB16_35 Depth=1
	s_mov_b64 s[20:21], 0
.LBB16_93:                              ;   Parent Loop BB16_35 Depth=1
                                        ; =>  This Inner Loop Header: Depth=2
	s_sleep 1
	global_load_dwordx2 v[8:9], v35, s[8:9] offset:40
	global_load_dwordx2 v[24:25], v35, s[8:9]
	v_pk_mov_b32 v[26:27], v[4:5], v[4:5] op_sel:[0,1]
	s_waitcnt vmcnt(1)
	v_and_b32_e32 v4, v8, v26
	s_waitcnt vmcnt(0)
	v_mad_u64_u32 v[4:5], s[22:23], v4, 24, v[24:25]
	v_and_b32_e32 v9, v9, v27
	v_mov_b32_e32 v8, v5
	v_mad_u64_u32 v[8:9], s[22:23], v9, 24, v[8:9]
	v_mov_b32_e32 v5, v8
	global_load_dwordx2 v[24:25], v[4:5], off glc
	s_waitcnt vmcnt(0)
	global_atomic_cmpswap_x2 v[4:5], v35, v[24:27], s[8:9] offset:24 glc
	s_waitcnt vmcnt(0)
	buffer_invl2
	buffer_wbinvl1_vol
	v_cmp_eq_u64_e32 vcc, v[4:5], v[26:27]
	s_or_b64 s[20:21], vcc, s[20:21]
	s_andn2_b64 exec, exec, s[20:21]
	s_cbranch_execnz .LBB16_93
; %bb.94:                               ;   in Loop: Header=BB16_35 Depth=1
	s_or_b64 exec, exec, s[20:21]
.LBB16_95:                              ;   in Loop: Header=BB16_35 Depth=1
	s_or_b64 exec, exec, s[18:19]
.LBB16_96:                              ;   in Loop: Header=BB16_35 Depth=1
	s_or_b64 exec, exec, s[16:17]
	global_load_dwordx2 v[8:9], v35, s[8:9] offset:40
	global_load_dwordx4 v[24:27], v35, s[8:9]
	v_readfirstlane_b32 s16, v4
	v_readfirstlane_b32 s17, v5
	s_mov_b64 s[18:19], exec
	s_waitcnt vmcnt(1)
	v_readfirstlane_b32 s20, v8
	v_readfirstlane_b32 s21, v9
	s_and_b64 s[20:21], s[16:17], s[20:21]
	s_mul_i32 s22, s21, 24
	s_mul_hi_u32 s23, s20, 24
	s_mul_i32 s24, s20, 24
	s_add_i32 s22, s23, s22
	v_mov_b32_e32 v4, s22
	s_waitcnt vmcnt(0)
	v_add_co_u32_e32 v36, vcc, s24, v24
	v_addc_co_u32_e32 v37, vcc, v25, v4, vcc
	s_and_saveexec_b64 s[22:23], s[0:1]
	s_cbranch_execz .LBB16_98
; %bb.97:                               ;   in Loop: Header=BB16_35 Depth=1
	v_pk_mov_b32 v[4:5], s[18:19], s[18:19] op_sel:[0,1]
	global_store_dwordx4 v[36:37], v[4:7], off offset:8
.LBB16_98:                              ;   in Loop: Header=BB16_35 Depth=1
	s_or_b64 exec, exec, s[22:23]
	s_lshl_b64 s[18:19], s[20:21], 12
	v_mov_b32_e32 v4, s19
	v_add_co_u32_e32 v26, vcc, s18, v26
	v_addc_co_u32_e32 v27, vcc, v27, v4, vcc
	v_or_b32_e32 v5, v2, v32
	v_cmp_gt_u64_e64 vcc, s[12:13], 56
	s_lshl_b32 s18, s14, 2
	v_cndmask_b32_e32 v2, v5, v2, vcc
	s_add_i32 s18, s18, 28
	v_or_b32_e32 v4, 0, v3
	s_and_b32 s18, s18, 0x1e0
	v_and_b32_e32 v2, 0xffffff1f, v2
	v_cndmask_b32_e32 v9, v4, v3, vcc
	v_or_b32_e32 v8, s18, v2
	v_readfirstlane_b32 s18, v26
	v_readfirstlane_b32 s19, v27
	s_nop 4
	global_store_dwordx4 v33, v[8:11], s[18:19]
	global_store_dwordx4 v33, v[12:15], s[18:19] offset:16
	global_store_dwordx4 v33, v[16:19], s[18:19] offset:32
	;; [unrolled: 1-line block ×3, first 2 shown]
	s_and_saveexec_b64 s[18:19], s[0:1]
	s_cbranch_execz .LBB16_106
; %bb.99:                               ;   in Loop: Header=BB16_35 Depth=1
	global_load_dwordx2 v[12:13], v35, s[8:9] offset:32 glc
	global_load_dwordx2 v[2:3], v35, s[8:9] offset:40
	v_mov_b32_e32 v10, s16
	v_mov_b32_e32 v11, s17
	s_waitcnt vmcnt(0)
	v_readfirstlane_b32 s20, v2
	v_readfirstlane_b32 s21, v3
	s_and_b64 s[20:21], s[20:21], s[16:17]
	s_mul_i32 s21, s21, 24
	s_mul_hi_u32 s22, s20, 24
	s_mul_i32 s20, s20, 24
	s_add_i32 s21, s22, s21
	v_mov_b32_e32 v2, s21
	v_add_co_u32_e32 v8, vcc, s20, v24
	v_addc_co_u32_e32 v9, vcc, v25, v2, vcc
	global_store_dwordx2 v[8:9], v[12:13], off
	buffer_wbl2
	s_waitcnt vmcnt(0)
	global_atomic_cmpswap_x2 v[4:5], v35, v[10:13], s[8:9] offset:32 glc
	s_waitcnt vmcnt(0)
	v_cmp_ne_u64_e32 vcc, v[4:5], v[12:13]
	s_and_saveexec_b64 s[20:21], vcc
	s_cbranch_execz .LBB16_102
; %bb.100:                              ;   in Loop: Header=BB16_35 Depth=1
	s_mov_b64 s[22:23], 0
.LBB16_101:                             ;   Parent Loop BB16_35 Depth=1
                                        ; =>  This Inner Loop Header: Depth=2
	s_sleep 1
	global_store_dwordx2 v[8:9], v[4:5], off
	v_mov_b32_e32 v2, s16
	v_mov_b32_e32 v3, s17
	buffer_wbl2
	s_waitcnt vmcnt(0)
	global_atomic_cmpswap_x2 v[2:3], v35, v[2:5], s[8:9] offset:32 glc
	s_waitcnt vmcnt(0)
	v_cmp_eq_u64_e32 vcc, v[2:3], v[4:5]
	s_or_b64 s[22:23], vcc, s[22:23]
	v_pk_mov_b32 v[4:5], v[2:3], v[2:3] op_sel:[0,1]
	s_andn2_b64 exec, exec, s[22:23]
	s_cbranch_execnz .LBB16_101
.LBB16_102:                             ;   in Loop: Header=BB16_35 Depth=1
	s_or_b64 exec, exec, s[20:21]
	global_load_dwordx2 v[2:3], v35, s[8:9] offset:16
	s_mov_b64 s[22:23], exec
	v_mbcnt_lo_u32_b32 v4, s22, 0
	v_mbcnt_hi_u32_b32 v4, s23, v4
	v_cmp_eq_u32_e32 vcc, 0, v4
	s_and_saveexec_b64 s[20:21], vcc
	s_cbranch_execz .LBB16_104
; %bb.103:                              ;   in Loop: Header=BB16_35 Depth=1
	s_bcnt1_i32_b64 s22, s[22:23]
	v_mov_b32_e32 v34, s22
	buffer_wbl2
	s_waitcnt vmcnt(0)
	global_atomic_add_x2 v[2:3], v[34:35], off offset:8
.LBB16_104:                             ;   in Loop: Header=BB16_35 Depth=1
	s_or_b64 exec, exec, s[20:21]
	s_waitcnt vmcnt(0)
	global_load_dwordx2 v[4:5], v[2:3], off offset:16
	s_waitcnt vmcnt(0)
	v_cmp_eq_u64_e32 vcc, 0, v[4:5]
	s_cbranch_vccnz .LBB16_106
; %bb.105:                              ;   in Loop: Header=BB16_35 Depth=1
	global_load_dword v34, v[2:3], off offset:24
	s_waitcnt vmcnt(0)
	v_and_b32_e32 v2, 0xffffff, v34
	v_readfirstlane_b32 m0, v2
	buffer_wbl2
	global_store_dwordx2 v[4:5], v[34:35], off
	s_sendmsg sendmsg(MSG_INTERRUPT)
.LBB16_106:                             ;   in Loop: Header=BB16_35 Depth=1
	s_or_b64 exec, exec, s[18:19]
	v_add_co_u32_e32 v2, vcc, v26, v33
	v_addc_co_u32_e32 v3, vcc, 0, v27, vcc
	s_branch .LBB16_110
.LBB16_107:                             ;   in Loop: Header=BB16_110 Depth=2
	s_or_b64 exec, exec, s[18:19]
	v_readfirstlane_b32 s18, v4
	s_cmp_eq_u32 s18, 0
	s_cbranch_scc1 .LBB16_109
; %bb.108:                              ;   in Loop: Header=BB16_110 Depth=2
	s_sleep 1
	s_cbranch_execnz .LBB16_110
	s_branch .LBB16_112
.LBB16_109:                             ;   in Loop: Header=BB16_35 Depth=1
	s_branch .LBB16_112
.LBB16_110:                             ;   Parent Loop BB16_35 Depth=1
                                        ; =>  This Inner Loop Header: Depth=2
	v_mov_b32_e32 v4, 1
	s_and_saveexec_b64 s[18:19], s[0:1]
	s_cbranch_execz .LBB16_107
; %bb.111:                              ;   in Loop: Header=BB16_110 Depth=2
	global_load_dword v4, v[36:37], off offset:20 glc
	s_waitcnt vmcnt(0)
	buffer_invl2
	buffer_wbinvl1_vol
	v_and_b32_e32 v4, 1, v4
	s_branch .LBB16_107
.LBB16_112:                             ;   in Loop: Header=BB16_35 Depth=1
	global_load_dwordx4 v[2:5], v[2:3], off
	s_and_saveexec_b64 s[18:19], s[0:1]
	s_cbranch_execz .LBB16_34
; %bb.113:                              ;   in Loop: Header=BB16_35 Depth=1
	global_load_dwordx2 v[4:5], v35, s[8:9] offset:40
	global_load_dwordx2 v[12:13], v35, s[8:9] offset:24 glc
	global_load_dwordx2 v[14:15], v35, s[8:9]
	v_mov_b32_e32 v9, s17
	s_waitcnt vmcnt(2)
	v_add_co_u32_e32 v11, vcc, 1, v4
	v_addc_co_u32_e32 v16, vcc, 0, v5, vcc
	v_add_co_u32_e32 v8, vcc, s16, v11
	v_addc_co_u32_e32 v9, vcc, v16, v9, vcc
	v_cmp_eq_u64_e32 vcc, 0, v[8:9]
	v_cndmask_b32_e32 v9, v9, v16, vcc
	v_cndmask_b32_e32 v8, v8, v11, vcc
	v_and_b32_e32 v5, v9, v5
	v_and_b32_e32 v4, v8, v4
	v_mul_lo_u32 v5, v5, 24
	v_mul_hi_u32 v11, v4, 24
	v_mul_lo_u32 v4, v4, 24
	v_add_u32_e32 v5, v11, v5
	s_waitcnt vmcnt(0)
	v_add_co_u32_e32 v4, vcc, v14, v4
	v_addc_co_u32_e32 v5, vcc, v15, v5, vcc
	v_mov_b32_e32 v10, v12
	global_store_dwordx2 v[4:5], v[12:13], off
	v_mov_b32_e32 v11, v13
	buffer_wbl2
	s_waitcnt vmcnt(0)
	global_atomic_cmpswap_x2 v[10:11], v35, v[8:11], s[8:9] offset:24 glc
	s_waitcnt vmcnt(0)
	v_cmp_ne_u64_e32 vcc, v[10:11], v[12:13]
	s_and_b64 exec, exec, vcc
	s_cbranch_execz .LBB16_34
; %bb.114:                              ;   in Loop: Header=BB16_35 Depth=1
	s_mov_b64 s[0:1], 0
.LBB16_115:                             ;   Parent Loop BB16_35 Depth=1
                                        ; =>  This Inner Loop Header: Depth=2
	s_sleep 1
	global_store_dwordx2 v[4:5], v[10:11], off
	buffer_wbl2
	s_waitcnt vmcnt(0)
	global_atomic_cmpswap_x2 v[12:13], v35, v[8:11], s[8:9] offset:24 glc
	s_waitcnt vmcnt(0)
	v_cmp_eq_u64_e32 vcc, v[12:13], v[10:11]
	s_or_b64 s[0:1], vcc, s[0:1]
	v_pk_mov_b32 v[10:11], v[12:13], v[12:13] op_sel:[0,1]
	s_andn2_b64 exec, exec, s[0:1]
	s_cbranch_execnz .LBB16_115
	s_branch .LBB16_34
.LBB16_116:
	s_branch .LBB16_144
.LBB16_117:
                                        ; implicit-def: $vgpr2_vgpr3
	s_cbranch_execz .LBB16_144
; %bb.118:
	v_readfirstlane_b32 s0, v38
	v_cmp_eq_u32_e64 s[0:1], s0, v38
	v_pk_mov_b32 v[8:9], 0, 0
	s_and_saveexec_b64 s[10:11], s[0:1]
	s_cbranch_execz .LBB16_124
; %bb.119:
	s_waitcnt vmcnt(0)
	v_mov_b32_e32 v2, 0
	global_load_dwordx2 v[6:7], v2, s[8:9] offset:24 glc
	s_waitcnt vmcnt(0)
	buffer_invl2
	buffer_wbinvl1_vol
	global_load_dwordx2 v[4:5], v2, s[8:9] offset:40
	global_load_dwordx2 v[8:9], v2, s[8:9]
	s_waitcnt vmcnt(1)
	v_and_b32_e32 v3, v4, v6
	v_and_b32_e32 v4, v5, v7
	v_mul_lo_u32 v4, v4, 24
	v_mul_hi_u32 v5, v3, 24
	v_mul_lo_u32 v3, v3, 24
	v_add_u32_e32 v5, v5, v4
	s_waitcnt vmcnt(0)
	v_add_co_u32_e32 v4, vcc, v8, v3
	v_addc_co_u32_e32 v5, vcc, v9, v5, vcc
	global_load_dwordx2 v[4:5], v[4:5], off glc
	s_waitcnt vmcnt(0)
	global_atomic_cmpswap_x2 v[8:9], v2, v[4:7], s[8:9] offset:24 glc
	s_waitcnt vmcnt(0)
	buffer_invl2
	buffer_wbinvl1_vol
	v_cmp_ne_u64_e32 vcc, v[8:9], v[6:7]
	s_and_saveexec_b64 s[12:13], vcc
	s_cbranch_execz .LBB16_123
; %bb.120:
	s_mov_b64 s[14:15], 0
.LBB16_121:                             ; =>This Inner Loop Header: Depth=1
	s_sleep 1
	global_load_dwordx2 v[4:5], v2, s[8:9] offset:40
	global_load_dwordx2 v[10:11], v2, s[8:9]
	v_pk_mov_b32 v[6:7], v[8:9], v[8:9] op_sel:[0,1]
	s_waitcnt vmcnt(1)
	v_and_b32_e32 v4, v4, v6
	v_and_b32_e32 v3, v5, v7
	s_waitcnt vmcnt(0)
	v_mad_u64_u32 v[4:5], s[16:17], v4, 24, v[10:11]
	v_mov_b32_e32 v8, v5
	v_mad_u64_u32 v[8:9], s[16:17], v3, 24, v[8:9]
	v_mov_b32_e32 v5, v8
	global_load_dwordx2 v[4:5], v[4:5], off glc
	s_waitcnt vmcnt(0)
	global_atomic_cmpswap_x2 v[8:9], v2, v[4:7], s[8:9] offset:24 glc
	s_waitcnt vmcnt(0)
	buffer_invl2
	buffer_wbinvl1_vol
	v_cmp_eq_u64_e32 vcc, v[8:9], v[6:7]
	s_or_b64 s[14:15], vcc, s[14:15]
	s_andn2_b64 exec, exec, s[14:15]
	s_cbranch_execnz .LBB16_121
; %bb.122:
	s_or_b64 exec, exec, s[14:15]
.LBB16_123:
	s_or_b64 exec, exec, s[12:13]
.LBB16_124:
	s_or_b64 exec, exec, s[10:11]
	s_waitcnt vmcnt(0)
	v_mov_b32_e32 v2, 0
	global_load_dwordx2 v[10:11], v2, s[8:9] offset:40
	global_load_dwordx4 v[4:7], v2, s[8:9]
	v_readfirstlane_b32 s10, v8
	v_readfirstlane_b32 s11, v9
	s_mov_b64 s[12:13], exec
	s_waitcnt vmcnt(1)
	v_readfirstlane_b32 s14, v10
	v_readfirstlane_b32 s15, v11
	s_and_b64 s[14:15], s[10:11], s[14:15]
	s_mul_i32 s16, s15, 24
	s_mul_hi_u32 s17, s14, 24
	s_mul_i32 s18, s14, 24
	s_add_i32 s16, s17, s16
	v_mov_b32_e32 v3, s16
	s_waitcnt vmcnt(0)
	v_add_co_u32_e32 v8, vcc, s18, v4
	v_addc_co_u32_e32 v9, vcc, v5, v3, vcc
	s_and_saveexec_b64 s[16:17], s[0:1]
	s_cbranch_execz .LBB16_126
; %bb.125:
	v_pk_mov_b32 v[10:11], s[12:13], s[12:13] op_sel:[0,1]
	v_mov_b32_e32 v12, 2
	v_mov_b32_e32 v13, 1
	global_store_dwordx4 v[8:9], v[10:13], off offset:8
.LBB16_126:
	s_or_b64 exec, exec, s[16:17]
	s_lshl_b64 s[12:13], s[14:15], 12
	v_mov_b32_e32 v3, s13
	v_add_co_u32_e32 v10, vcc, s12, v6
	s_movk_i32 s12, 0xff1f
	v_addc_co_u32_e32 v11, vcc, v7, v3, vcc
	v_and_or_b32 v0, v0, s12, 32
	s_mov_b32 s12, 0
	v_mov_b32_e32 v3, v2
	v_readfirstlane_b32 s16, v10
	v_readfirstlane_b32 s17, v11
	s_mov_b32 s13, s12
	v_add_co_u32_e32 v6, vcc, v10, v33
	s_mov_b32 s14, s12
	s_mov_b32 s15, s12
	s_nop 0
	global_store_dwordx4 v33, v[0:3], s[16:17]
	v_addc_co_u32_e32 v7, vcc, 0, v11, vcc
	v_pk_mov_b32 v[0:1], s[12:13], s[12:13] op_sel:[0,1]
	v_pk_mov_b32 v[2:3], s[14:15], s[14:15] op_sel:[0,1]
	global_store_dwordx4 v33, v[0:3], s[16:17] offset:16
	global_store_dwordx4 v33, v[0:3], s[16:17] offset:32
	;; [unrolled: 1-line block ×3, first 2 shown]
	s_and_saveexec_b64 s[12:13], s[0:1]
	s_cbranch_execz .LBB16_134
; %bb.127:
	v_mov_b32_e32 v10, 0
	global_load_dwordx2 v[14:15], v10, s[8:9] offset:32 glc
	global_load_dwordx2 v[0:1], v10, s[8:9] offset:40
	v_mov_b32_e32 v12, s10
	v_mov_b32_e32 v13, s11
	s_waitcnt vmcnt(0)
	v_readfirstlane_b32 s14, v0
	v_readfirstlane_b32 s15, v1
	s_and_b64 s[14:15], s[14:15], s[10:11]
	s_mul_i32 s15, s15, 24
	s_mul_hi_u32 s16, s14, 24
	s_mul_i32 s14, s14, 24
	s_add_i32 s15, s16, s15
	v_mov_b32_e32 v0, s15
	v_add_co_u32_e32 v4, vcc, s14, v4
	v_addc_co_u32_e32 v5, vcc, v5, v0, vcc
	global_store_dwordx2 v[4:5], v[14:15], off
	buffer_wbl2
	s_waitcnt vmcnt(0)
	global_atomic_cmpswap_x2 v[2:3], v10, v[12:15], s[8:9] offset:32 glc
	s_waitcnt vmcnt(0)
	v_cmp_ne_u64_e32 vcc, v[2:3], v[14:15]
	s_and_saveexec_b64 s[14:15], vcc
	s_cbranch_execz .LBB16_130
; %bb.128:
	s_mov_b64 s[16:17], 0
.LBB16_129:                             ; =>This Inner Loop Header: Depth=1
	s_sleep 1
	global_store_dwordx2 v[4:5], v[2:3], off
	v_mov_b32_e32 v0, s10
	v_mov_b32_e32 v1, s11
	buffer_wbl2
	s_waitcnt vmcnt(0)
	global_atomic_cmpswap_x2 v[0:1], v10, v[0:3], s[8:9] offset:32 glc
	s_waitcnt vmcnt(0)
	v_cmp_eq_u64_e32 vcc, v[0:1], v[2:3]
	s_or_b64 s[16:17], vcc, s[16:17]
	v_pk_mov_b32 v[2:3], v[0:1], v[0:1] op_sel:[0,1]
	s_andn2_b64 exec, exec, s[16:17]
	s_cbranch_execnz .LBB16_129
.LBB16_130:
	s_or_b64 exec, exec, s[14:15]
	v_mov_b32_e32 v3, 0
	global_load_dwordx2 v[0:1], v3, s[8:9] offset:16
	s_mov_b64 s[14:15], exec
	v_mbcnt_lo_u32_b32 v2, s14, 0
	v_mbcnt_hi_u32_b32 v2, s15, v2
	v_cmp_eq_u32_e32 vcc, 0, v2
	s_and_saveexec_b64 s[16:17], vcc
	s_cbranch_execz .LBB16_132
; %bb.131:
	s_bcnt1_i32_b64 s14, s[14:15]
	v_mov_b32_e32 v2, s14
	buffer_wbl2
	s_waitcnt vmcnt(0)
	global_atomic_add_x2 v[0:1], v[2:3], off offset:8
.LBB16_132:
	s_or_b64 exec, exec, s[16:17]
	s_waitcnt vmcnt(0)
	global_load_dwordx2 v[2:3], v[0:1], off offset:16
	s_waitcnt vmcnt(0)
	v_cmp_eq_u64_e32 vcc, 0, v[2:3]
	s_cbranch_vccnz .LBB16_134
; %bb.133:
	global_load_dword v0, v[0:1], off offset:24
	v_mov_b32_e32 v1, 0
	buffer_wbl2
	s_waitcnt vmcnt(0)
	global_store_dwordx2 v[2:3], v[0:1], off
	v_and_b32_e32 v0, 0xffffff, v0
	v_readfirstlane_b32 m0, v0
	s_sendmsg sendmsg(MSG_INTERRUPT)
.LBB16_134:
	s_or_b64 exec, exec, s[12:13]
	s_branch .LBB16_138
.LBB16_135:                             ;   in Loop: Header=BB16_138 Depth=1
	s_or_b64 exec, exec, s[12:13]
	v_readfirstlane_b32 s12, v0
	s_cmp_eq_u32 s12, 0
	s_cbranch_scc1 .LBB16_137
; %bb.136:                              ;   in Loop: Header=BB16_138 Depth=1
	s_sleep 1
	s_cbranch_execnz .LBB16_138
	s_branch .LBB16_140
.LBB16_137:
	s_branch .LBB16_140
.LBB16_138:                             ; =>This Inner Loop Header: Depth=1
	v_mov_b32_e32 v0, 1
	s_and_saveexec_b64 s[12:13], s[0:1]
	s_cbranch_execz .LBB16_135
; %bb.139:                              ;   in Loop: Header=BB16_138 Depth=1
	global_load_dword v0, v[8:9], off offset:20 glc
	s_waitcnt vmcnt(0)
	buffer_invl2
	buffer_wbinvl1_vol
	v_and_b32_e32 v0, 1, v0
	s_branch .LBB16_135
.LBB16_140:
	global_load_dwordx2 v[2:3], v[6:7], off
	s_and_saveexec_b64 s[12:13], s[0:1]
	s_cbranch_execz .LBB16_143
; %bb.141:
	v_mov_b32_e32 v8, 0
	global_load_dwordx2 v[0:1], v8, s[8:9] offset:40
	global_load_dwordx2 v[10:11], v8, s[8:9] offset:24 glc
	global_load_dwordx2 v[12:13], v8, s[8:9]
	v_mov_b32_e32 v5, s11
	s_mov_b64 s[0:1], 0
	s_waitcnt vmcnt(2)
	v_add_co_u32_e32 v7, vcc, 1, v0
	v_addc_co_u32_e32 v9, vcc, 0, v1, vcc
	v_add_co_u32_e32 v4, vcc, s10, v7
	v_addc_co_u32_e32 v5, vcc, v9, v5, vcc
	v_cmp_eq_u64_e32 vcc, 0, v[4:5]
	v_cndmask_b32_e32 v5, v5, v9, vcc
	v_cndmask_b32_e32 v4, v4, v7, vcc
	v_and_b32_e32 v1, v5, v1
	v_and_b32_e32 v0, v4, v0
	v_mul_lo_u32 v1, v1, 24
	v_mul_hi_u32 v7, v0, 24
	v_mul_lo_u32 v0, v0, 24
	v_add_u32_e32 v1, v7, v1
	s_waitcnt vmcnt(0)
	v_add_co_u32_e32 v0, vcc, v12, v0
	v_addc_co_u32_e32 v1, vcc, v13, v1, vcc
	v_mov_b32_e32 v6, v10
	global_store_dwordx2 v[0:1], v[10:11], off
	v_mov_b32_e32 v7, v11
	buffer_wbl2
	s_waitcnt vmcnt(0)
	global_atomic_cmpswap_x2 v[6:7], v8, v[4:7], s[8:9] offset:24 glc
	s_waitcnt vmcnt(0)
	v_cmp_ne_u64_e32 vcc, v[6:7], v[10:11]
	s_and_b64 exec, exec, vcc
	s_cbranch_execz .LBB16_143
.LBB16_142:                             ; =>This Inner Loop Header: Depth=1
	s_sleep 1
	global_store_dwordx2 v[0:1], v[6:7], off
	buffer_wbl2
	s_waitcnt vmcnt(0)
	global_atomic_cmpswap_x2 v[10:11], v8, v[4:7], s[8:9] offset:24 glc
	s_waitcnt vmcnt(0)
	v_cmp_eq_u64_e32 vcc, v[10:11], v[6:7]
	s_or_b64 s[0:1], vcc, s[0:1]
	v_pk_mov_b32 v[6:7], v[10:11], v[10:11] op_sel:[0,1]
	s_andn2_b64 exec, exec, s[0:1]
	s_cbranch_execnz .LBB16_142
.LBB16_143:
	s_or_b64 exec, exec, s[12:13]
.LBB16_144:
	v_readfirstlane_b32 s0, v38
	v_cmp_eq_u32_e64 s[0:1], s0, v38
	s_waitcnt vmcnt(0)
	v_pk_mov_b32 v[0:1], 0, 0
	s_and_saveexec_b64 s[10:11], s[0:1]
	s_cbranch_execz .LBB16_150
; %bb.145:
	v_mov_b32_e32 v4, 0
	global_load_dwordx2 v[8:9], v4, s[8:9] offset:24 glc
	s_waitcnt vmcnt(0)
	buffer_invl2
	buffer_wbinvl1_vol
	global_load_dwordx2 v[0:1], v4, s[8:9] offset:40
	global_load_dwordx2 v[6:7], v4, s[8:9]
	s_waitcnt vmcnt(1)
	v_and_b32_e32 v0, v0, v8
	v_and_b32_e32 v1, v1, v9
	v_mul_lo_u32 v1, v1, 24
	v_mul_hi_u32 v5, v0, 24
	v_mul_lo_u32 v0, v0, 24
	v_add_u32_e32 v1, v5, v1
	s_waitcnt vmcnt(0)
	v_add_co_u32_e32 v0, vcc, v6, v0
	v_addc_co_u32_e32 v1, vcc, v7, v1, vcc
	global_load_dwordx2 v[6:7], v[0:1], off glc
	s_waitcnt vmcnt(0)
	global_atomic_cmpswap_x2 v[0:1], v4, v[6:9], s[8:9] offset:24 glc
	s_waitcnt vmcnt(0)
	buffer_invl2
	buffer_wbinvl1_vol
	v_cmp_ne_u64_e32 vcc, v[0:1], v[8:9]
	s_and_saveexec_b64 s[12:13], vcc
	s_cbranch_execz .LBB16_149
; %bb.146:
	s_mov_b64 s[14:15], 0
.LBB16_147:                             ; =>This Inner Loop Header: Depth=1
	s_sleep 1
	global_load_dwordx2 v[6:7], v4, s[8:9] offset:40
	global_load_dwordx2 v[10:11], v4, s[8:9]
	v_pk_mov_b32 v[8:9], v[0:1], v[0:1] op_sel:[0,1]
	s_waitcnt vmcnt(1)
	v_and_b32_e32 v0, v6, v8
	s_waitcnt vmcnt(0)
	v_mad_u64_u32 v[0:1], s[16:17], v0, 24, v[10:11]
	v_and_b32_e32 v5, v7, v9
	v_mov_b32_e32 v6, v1
	v_mad_u64_u32 v[6:7], s[16:17], v5, 24, v[6:7]
	v_mov_b32_e32 v1, v6
	global_load_dwordx2 v[6:7], v[0:1], off glc
	s_waitcnt vmcnt(0)
	global_atomic_cmpswap_x2 v[0:1], v4, v[6:9], s[8:9] offset:24 glc
	s_waitcnt vmcnt(0)
	buffer_invl2
	buffer_wbinvl1_vol
	v_cmp_eq_u64_e32 vcc, v[0:1], v[8:9]
	s_or_b64 s[14:15], vcc, s[14:15]
	s_andn2_b64 exec, exec, s[14:15]
	s_cbranch_execnz .LBB16_147
; %bb.148:
	s_or_b64 exec, exec, s[14:15]
.LBB16_149:
	s_or_b64 exec, exec, s[12:13]
.LBB16_150:
	s_or_b64 exec, exec, s[10:11]
	v_mov_b32_e32 v5, 0
	global_load_dwordx2 v[10:11], v5, s[8:9] offset:40
	global_load_dwordx4 v[6:9], v5, s[8:9]
	v_readfirstlane_b32 s10, v0
	v_readfirstlane_b32 s11, v1
	s_mov_b64 s[12:13], exec
	s_waitcnt vmcnt(1)
	v_readfirstlane_b32 s14, v10
	v_readfirstlane_b32 s15, v11
	s_and_b64 s[14:15], s[10:11], s[14:15]
	s_mul_i32 s16, s15, 24
	s_mul_hi_u32 s17, s14, 24
	s_mul_i32 s18, s14, 24
	s_add_i32 s16, s17, s16
	v_mov_b32_e32 v0, s16
	s_waitcnt vmcnt(0)
	v_add_co_u32_e32 v10, vcc, s18, v6
	v_addc_co_u32_e32 v11, vcc, v7, v0, vcc
	s_and_saveexec_b64 s[16:17], s[0:1]
	s_cbranch_execz .LBB16_152
; %bb.151:
	v_pk_mov_b32 v[12:13], s[12:13], s[12:13] op_sel:[0,1]
	v_mov_b32_e32 v14, 2
	v_mov_b32_e32 v15, 1
	global_store_dwordx4 v[10:11], v[12:15], off offset:8
.LBB16_152:
	s_or_b64 exec, exec, s[16:17]
	s_lshl_b64 s[12:13], s[14:15], 12
	v_mov_b32_e32 v1, s13
	v_add_co_u32_e32 v0, vcc, s12, v8
	s_movk_i32 s12, 0xff1d
	v_addc_co_u32_e32 v1, vcc, v9, v1, vcc
	v_and_or_b32 v2, v2, s12, 34
	s_mov_b32 s12, 0
	v_mov_b32_e32 v4, v29
	v_readfirstlane_b32 s16, v0
	v_readfirstlane_b32 s17, v1
	s_mov_b32 s13, s12
	s_mov_b32 s14, s12
	;; [unrolled: 1-line block ×3, first 2 shown]
	s_nop 1
	global_store_dwordx4 v33, v[2:5], s[16:17]
	v_pk_mov_b32 v[0:1], s[12:13], s[12:13] op_sel:[0,1]
	v_pk_mov_b32 v[2:3], s[14:15], s[14:15] op_sel:[0,1]
	global_store_dwordx4 v33, v[0:3], s[16:17] offset:16
	global_store_dwordx4 v33, v[0:3], s[16:17] offset:32
	;; [unrolled: 1-line block ×3, first 2 shown]
	s_and_saveexec_b64 s[12:13], s[0:1]
	s_cbranch_execz .LBB16_160
; %bb.153:
	v_mov_b32_e32 v8, 0
	global_load_dwordx2 v[14:15], v8, s[8:9] offset:32 glc
	global_load_dwordx2 v[0:1], v8, s[8:9] offset:40
	v_mov_b32_e32 v12, s10
	v_mov_b32_e32 v13, s11
	s_waitcnt vmcnt(0)
	v_readfirstlane_b32 s14, v0
	v_readfirstlane_b32 s15, v1
	s_and_b64 s[14:15], s[14:15], s[10:11]
	s_mul_i32 s15, s15, 24
	s_mul_hi_u32 s16, s14, 24
	s_mul_i32 s14, s14, 24
	s_add_i32 s15, s16, s15
	v_mov_b32_e32 v0, s15
	v_add_co_u32_e32 v4, vcc, s14, v6
	v_addc_co_u32_e32 v5, vcc, v7, v0, vcc
	global_store_dwordx2 v[4:5], v[14:15], off
	buffer_wbl2
	s_waitcnt vmcnt(0)
	global_atomic_cmpswap_x2 v[2:3], v8, v[12:15], s[8:9] offset:32 glc
	s_waitcnt vmcnt(0)
	v_cmp_ne_u64_e32 vcc, v[2:3], v[14:15]
	s_and_saveexec_b64 s[14:15], vcc
	s_cbranch_execz .LBB16_156
; %bb.154:
	s_mov_b64 s[16:17], 0
.LBB16_155:                             ; =>This Inner Loop Header: Depth=1
	s_sleep 1
	global_store_dwordx2 v[4:5], v[2:3], off
	v_mov_b32_e32 v0, s10
	v_mov_b32_e32 v1, s11
	buffer_wbl2
	s_waitcnt vmcnt(0)
	global_atomic_cmpswap_x2 v[0:1], v8, v[0:3], s[8:9] offset:32 glc
	s_waitcnt vmcnt(0)
	v_cmp_eq_u64_e32 vcc, v[0:1], v[2:3]
	s_or_b64 s[16:17], vcc, s[16:17]
	v_pk_mov_b32 v[2:3], v[0:1], v[0:1] op_sel:[0,1]
	s_andn2_b64 exec, exec, s[16:17]
	s_cbranch_execnz .LBB16_155
.LBB16_156:
	s_or_b64 exec, exec, s[14:15]
	v_mov_b32_e32 v3, 0
	global_load_dwordx2 v[0:1], v3, s[8:9] offset:16
	s_mov_b64 s[14:15], exec
	v_mbcnt_lo_u32_b32 v2, s14, 0
	v_mbcnt_hi_u32_b32 v2, s15, v2
	v_cmp_eq_u32_e32 vcc, 0, v2
	s_and_saveexec_b64 s[16:17], vcc
	s_cbranch_execz .LBB16_158
; %bb.157:
	s_bcnt1_i32_b64 s14, s[14:15]
	v_mov_b32_e32 v2, s14
	buffer_wbl2
	s_waitcnt vmcnt(0)
	global_atomic_add_x2 v[0:1], v[2:3], off offset:8
.LBB16_158:
	s_or_b64 exec, exec, s[16:17]
	s_waitcnt vmcnt(0)
	global_load_dwordx2 v[2:3], v[0:1], off offset:16
	s_waitcnt vmcnt(0)
	v_cmp_eq_u64_e32 vcc, 0, v[2:3]
	s_cbranch_vccnz .LBB16_160
; %bb.159:
	global_load_dword v0, v[0:1], off offset:24
	v_mov_b32_e32 v1, 0
	buffer_wbl2
	s_waitcnt vmcnt(0)
	global_store_dwordx2 v[2:3], v[0:1], off
	v_and_b32_e32 v0, 0xffffff, v0
	v_readfirstlane_b32 m0, v0
	s_sendmsg sendmsg(MSG_INTERRUPT)
.LBB16_160:
	s_or_b64 exec, exec, s[12:13]
	s_branch .LBB16_164
.LBB16_161:                             ;   in Loop: Header=BB16_164 Depth=1
	s_or_b64 exec, exec, s[12:13]
	v_readfirstlane_b32 s12, v0
	s_cmp_eq_u32 s12, 0
	s_cbranch_scc1 .LBB16_163
; %bb.162:                              ;   in Loop: Header=BB16_164 Depth=1
	s_sleep 1
	s_cbranch_execnz .LBB16_164
	s_branch .LBB16_166
.LBB16_163:
	s_branch .LBB16_166
.LBB16_164:                             ; =>This Inner Loop Header: Depth=1
	v_mov_b32_e32 v0, 1
	s_and_saveexec_b64 s[12:13], s[0:1]
	s_cbranch_execz .LBB16_161
; %bb.165:                              ;   in Loop: Header=BB16_164 Depth=1
	global_load_dword v0, v[10:11], off offset:20 glc
	s_waitcnt vmcnt(0)
	buffer_invl2
	buffer_wbinvl1_vol
	v_and_b32_e32 v0, 1, v0
	s_branch .LBB16_161
.LBB16_166:
	s_and_saveexec_b64 s[12:13], s[0:1]
	s_cbranch_execz .LBB16_169
; %bb.167:
	v_mov_b32_e32 v6, 0
	global_load_dwordx2 v[4:5], v6, s[8:9] offset:40
	global_load_dwordx2 v[8:9], v6, s[8:9] offset:24 glc
	global_load_dwordx2 v[10:11], v6, s[8:9]
	v_mov_b32_e32 v1, s11
	s_mov_b64 s[0:1], 0
	s_waitcnt vmcnt(2)
	v_add_co_u32_e32 v3, vcc, 1, v4
	v_addc_co_u32_e32 v7, vcc, 0, v5, vcc
	v_add_co_u32_e32 v0, vcc, s10, v3
	v_addc_co_u32_e32 v1, vcc, v7, v1, vcc
	v_cmp_eq_u64_e32 vcc, 0, v[0:1]
	v_cndmask_b32_e32 v1, v1, v7, vcc
	v_cndmask_b32_e32 v0, v0, v3, vcc
	v_and_b32_e32 v3, v1, v5
	v_and_b32_e32 v4, v0, v4
	v_mul_lo_u32 v3, v3, 24
	v_mul_hi_u32 v5, v4, 24
	v_mul_lo_u32 v4, v4, 24
	v_add_u32_e32 v3, v5, v3
	s_waitcnt vmcnt(0)
	v_add_co_u32_e32 v4, vcc, v10, v4
	v_addc_co_u32_e32 v5, vcc, v11, v3, vcc
	v_mov_b32_e32 v2, v8
	global_store_dwordx2 v[4:5], v[8:9], off
	v_mov_b32_e32 v3, v9
	buffer_wbl2
	s_waitcnt vmcnt(0)
	global_atomic_cmpswap_x2 v[2:3], v6, v[0:3], s[8:9] offset:24 glc
	s_waitcnt vmcnt(0)
	v_cmp_ne_u64_e32 vcc, v[2:3], v[8:9]
	s_and_b64 exec, exec, vcc
	s_cbranch_execz .LBB16_169
.LBB16_168:                             ; =>This Inner Loop Header: Depth=1
	s_sleep 1
	global_store_dwordx2 v[4:5], v[2:3], off
	buffer_wbl2
	s_waitcnt vmcnt(0)
	global_atomic_cmpswap_x2 v[8:9], v6, v[0:3], s[8:9] offset:24 glc
	s_waitcnt vmcnt(0)
	v_cmp_eq_u64_e32 vcc, v[8:9], v[2:3]
	s_or_b64 s[0:1], vcc, s[0:1]
	v_pk_mov_b32 v[2:3], v[8:9], v[8:9] op_sel:[0,1]
	s_andn2_b64 exec, exec, s[0:1]
	s_cbranch_execnz .LBB16_168
.LBB16_169:
	s_or_b64 exec, exec, s[12:13]
	global_load_dword v0, v[30:31], off
	v_add_u32_e32 v2, 1, v28
	s_or_b64 s[4:5], s[4:5], exec
	s_or_b64 exec, exec, s[6:7]
	s_and_saveexec_b64 s[0:1], s[4:5]
	s_cbranch_execz .LBB16_3
.LBB16_170:
	s_waitcnt vmcnt(0)
	v_ashrrev_i32_e32 v1, 31, v0
	v_lshlrev_b64 v[0:1], 2, v[0:1]
	v_mov_b32_e32 v3, s3
	v_add_co_u32_e32 v0, vcc, s2, v0
	v_addc_co_u32_e32 v1, vcc, v3, v1, vcc
	global_store_dword v[0:1], v2, off
	s_endpgm
	.section	.rodata,"a",@progbits
	.p2align	6, 0x0
	.amdhsa_kernel _Z19findLevelNodeRangesPKiPii
		.amdhsa_group_segment_fixed_size 0
		.amdhsa_private_segment_fixed_size 0
		.amdhsa_kernarg_size 280
		.amdhsa_user_sgpr_count 6
		.amdhsa_user_sgpr_private_segment_buffer 1
		.amdhsa_user_sgpr_dispatch_ptr 0
		.amdhsa_user_sgpr_queue_ptr 0
		.amdhsa_user_sgpr_kernarg_segment_ptr 1
		.amdhsa_user_sgpr_dispatch_id 0
		.amdhsa_user_sgpr_flat_scratch_init 0
		.amdhsa_user_sgpr_kernarg_preload_length 0
		.amdhsa_user_sgpr_kernarg_preload_offset 0
		.amdhsa_user_sgpr_private_segment_size 0
		.amdhsa_uses_dynamic_stack 0
		.amdhsa_system_sgpr_private_segment_wavefront_offset 0
		.amdhsa_system_sgpr_workgroup_id_x 1
		.amdhsa_system_sgpr_workgroup_id_y 0
		.amdhsa_system_sgpr_workgroup_id_z 0
		.amdhsa_system_sgpr_workgroup_info 0
		.amdhsa_system_vgpr_workitem_id 0
		.amdhsa_next_free_vgpr 39
		.amdhsa_next_free_sgpr 25
		.amdhsa_accum_offset 40
		.amdhsa_reserve_vcc 1
		.amdhsa_reserve_flat_scratch 0
		.amdhsa_float_round_mode_32 0
		.amdhsa_float_round_mode_16_64 0
		.amdhsa_float_denorm_mode_32 3
		.amdhsa_float_denorm_mode_16_64 3
		.amdhsa_dx10_clamp 1
		.amdhsa_ieee_mode 1
		.amdhsa_fp16_overflow 0
		.amdhsa_tg_split 0
		.amdhsa_exception_fp_ieee_invalid_op 0
		.amdhsa_exception_fp_denorm_src 0
		.amdhsa_exception_fp_ieee_div_zero 0
		.amdhsa_exception_fp_ieee_overflow 0
		.amdhsa_exception_fp_ieee_underflow 0
		.amdhsa_exception_fp_ieee_inexact 0
		.amdhsa_exception_int_div_zero 0
	.end_amdhsa_kernel
	.text
.Lfunc_end16:
	.size	_Z19findLevelNodeRangesPKiPii, .Lfunc_end16-_Z19findLevelNodeRangesPKiPii
                                        ; -- End function
	.section	.AMDGPU.csdata,"",@progbits
; Kernel info:
; codeLenInByte = 6360
; NumSgprs: 29
; NumVgprs: 39
; NumAgprs: 0
; TotalNumVgprs: 39
; ScratchSize: 0
; MemoryBound: 0
; FloatMode: 240
; IeeeMode: 1
; LDSByteSize: 0 bytes/workgroup (compile time only)
; SGPRBlocks: 3
; VGPRBlocks: 4
; NumSGPRsForWavesPerEU: 29
; NumVGPRsForWavesPerEU: 39
; AccumOffset: 40
; Occupancy: 8
; WaveLimiterHint : 1
; COMPUTE_PGM_RSRC2:SCRATCH_EN: 0
; COMPUTE_PGM_RSRC2:USER_SGPR: 6
; COMPUTE_PGM_RSRC2:TRAP_HANDLER: 0
; COMPUTE_PGM_RSRC2:TGID_X_EN: 1
; COMPUTE_PGM_RSRC2:TGID_Y_EN: 0
; COMPUTE_PGM_RSRC2:TGID_Z_EN: 0
; COMPUTE_PGM_RSRC2:TIDIG_COMP_CNT: 0
; COMPUTE_PGM_RSRC3_GFX90A:ACCUM_OFFSET: 9
; COMPUTE_PGM_RSRC3_GFX90A:TG_SPLIT: 0
	.text
	.protected	_Z14parseOutputResPKyPKjS2_iPiS3_S3_ii ; -- Begin function _Z14parseOutputResPKyPKjS2_iPiS3_S3_ii
	.globl	_Z14parseOutputResPKyPKjS2_iPiS3_S3_ii
	.p2align	8
	.type	_Z14parseOutputResPKyPKjS2_iPiS3_S3_ii,@function
_Z14parseOutputResPKyPKjS2_iPiS3_S3_ii: ; @_Z14parseOutputResPKyPKjS2_iPiS3_S3_ii
; %bb.0:
	s_add_u32 flat_scratch_lo, s6, s9
	s_load_dword s6, s[4:5], 0x4c
	s_load_dwordx2 s[12:13], s[4:5], 0x38
	s_addc_u32 flat_scratch_hi, s7, 0
	s_add_u32 s0, s0, s9
	s_addc_u32 s1, s1, 0
	s_waitcnt lgkmcnt(0)
	s_and_b32 s6, s6, 0xffff
	s_mul_i32 s8, s8, s6
	v_add_u32_e32 v0, s8, v0
	v_cmp_gt_i32_e32 vcc, s12, v0
	s_mov_b32 s32, 0
	s_and_saveexec_b64 s[6:7], vcc
	s_cbranch_execz .LBB17_25
; %bb.1:
	s_load_dwordx4 s[8:11], s[4:5], 0x0
	s_load_dwordx2 s[6:7], s[4:5], 0x10
	v_ashrrev_i32_e32 v1, 31, v0
	v_lshlrev_b64 v[2:3], 3, v[0:1]
	s_load_dword s26, s[4:5], 0x18
	s_waitcnt lgkmcnt(0)
	v_mov_b32_e32 v4, s9
	v_add_co_u32_e32 v2, vcc, s8, v2
	v_addc_co_u32_e32 v3, vcc, v4, v3, vcc
	global_load_dwordx2 v[2:3], v[2:3], off
	v_cvt_f32_u32_e32 v4, s26
	v_rcp_iflag_f32_e32 v8, v4
	s_waitcnt vmcnt(0)
	v_ashrrev_i64 v[4:5], 33, v[2:3]
	v_cmp_lt_i32_e32 vcc, s13, v4
	s_and_saveexec_b64 s[8:9], vcc
	s_cbranch_execz .LBB17_11
; %bb.2:
	v_xor_b32_sdwa v5, v4, v4 dst_sel:DWORD dst_unused:UNUSED_PAD src0_sel:WORD_1 src1_sel:DWORD
	s_mov_b32 s12, 0x85ebca6b
	v_mul_lo_u32 v5, v5, s12
	v_lshrrev_b32_e32 v6, 13, v5
	v_xor_b32_e32 v5, v6, v5
	v_mul_f32_e32 v6, 0x4f7ffffe, v8
	v_cvt_u32_f32_e32 v6, v6
	s_mov_b32 s12, 0xc2b2ae35
	v_mul_lo_u32 v5, v5, s12
	s_sub_i32 s12, 0, s26
	v_mul_lo_u32 v7, s12, v6
	v_mul_hi_u32 v7, v6, v7
	v_xor_b32_sdwa v5, v5, v5 dst_sel:DWORD dst_unused:UNUSED_PAD src0_sel:WORD_1 src1_sel:DWORD
	v_add_u32_e32 v6, v6, v7
	v_mul_hi_u32 v6, v5, v6
	v_mul_lo_u32 v6, v6, s26
	v_sub_u32_e32 v5, v5, v6
	v_subrev_u32_e32 v6, s26, v5
	v_cmp_le_u32_e32 vcc, s26, v5
	v_cndmask_b32_e32 v5, v5, v6, vcc
	v_subrev_u32_e32 v6, s26, v5
	v_cmp_le_u32_e32 vcc, s26, v5
	v_cndmask_b32_e32 v6, v5, v6, vcc
	v_mov_b32_e32 v7, 0
	v_lshlrev_b64 v[10:11], 2, v[6:7]
	v_mov_b32_e32 v5, s11
	v_add_co_u32_e32 v10, vcc, s10, v10
	v_addc_co_u32_e32 v11, vcc, v5, v11, vcc
	global_load_dword v5, v[10:11], off
	s_mov_b64 s[16:17], -1
                                        ; implicit-def: $sgpr12
	s_waitcnt vmcnt(0)
	v_cmp_ne_u32_e32 vcc, v5, v4
	s_and_saveexec_b64 s[14:15], vcc
	s_cbranch_execz .LBB17_8
; %bb.3:
	s_mov_b64 s[16:17], 0
                                        ; implicit-def: $sgpr18_sgpr19
                                        ; implicit-def: $sgpr22_sgpr23
                                        ; implicit-def: $sgpr20_sgpr21
	s_branch .LBB17_5
.LBB17_4:                               ;   in Loop: Header=BB17_5 Depth=1
	s_or_b64 exec, exec, s[24:25]
	s_xor_b64 s[24:25], s[20:21], -1
	s_and_b64 s[28:29], exec, s[22:23]
	s_or_b64 s[16:17], s[28:29], s[16:17]
	s_andn2_b64 s[18:19], s[18:19], exec
	s_and_b64 s[24:25], s[24:25], exec
	s_or_b64 s[18:19], s[18:19], s[24:25]
	s_andn2_b64 exec, exec, s[16:17]
	s_cbranch_execz .LBB17_7
.LBB17_5:                               ; =>This Inner Loop Header: Depth=1
	v_cmp_ne_u32_e32 vcc, -1, v5
	s_or_b64 s[20:21], s[20:21], exec
	s_or_b64 s[22:23], s[22:23], exec
                                        ; implicit-def: $vgpr5
	s_and_saveexec_b64 s[24:25], vcc
	s_cbranch_execz .LBB17_4
; %bb.6:                                ;   in Loop: Header=BB17_5 Depth=1
	v_add_u32_e32 v5, 1, v6
	v_cmp_ne_u32_e32 vcc, s26, v5
	v_cndmask_b32_e32 v6, 0, v5, vcc
	v_lshlrev_b64 v[10:11], 2, v[6:7]
	v_mov_b32_e32 v5, s11
	v_add_co_u32_e32 v10, vcc, s10, v10
	v_addc_co_u32_e32 v11, vcc, v5, v11, vcc
	global_load_dword v5, v[10:11], off
	s_andn2_b64 s[22:23], s[22:23], exec
	s_andn2_b64 s[20:21], s[20:21], exec
	s_waitcnt vmcnt(0)
	v_cmp_eq_u32_e32 vcc, v5, v4
	s_and_b64 s[28:29], vcc, exec
	s_or_b64 s[22:23], s[22:23], s[28:29]
	s_branch .LBB17_4
.LBB17_7:
	s_or_b64 exec, exec, s[16:17]
	s_mov_b32 s12, -1
	s_orn2_b64 s[16:17], s[18:19], exec
.LBB17_8:
	s_or_b64 exec, exec, s[14:15]
	v_mov_b32_e32 v4, s12
	s_and_saveexec_b64 s[14:15], s[16:17]
	s_cbranch_execz .LBB17_10
; %bb.9:
	v_lshlrev_b64 v[4:5], 2, v[6:7]
	v_mov_b32_e32 v6, s7
	v_add_co_u32_e32 v4, vcc, s6, v4
	v_addc_co_u32_e32 v5, vcc, v6, v5, vcc
	global_load_dword v4, v[4:5], off
.LBB17_10:
	s_or_b64 exec, exec, s[14:15]
.LBB17_11:
	s_or_b64 exec, exec, s[8:9]
	v_ashrrev_i32_e32 v6, 1, v2
	v_cmp_lt_i32_e32 vcc, s13, v6
	s_and_saveexec_b64 s[8:9], vcc
	s_cbranch_execz .LBB17_21
; %bb.12:
	v_xor_b32_sdwa v5, v6, v6 dst_sel:DWORD dst_unused:UNUSED_PAD src0_sel:WORD_1 src1_sel:DWORD
	s_mov_b32 s12, 0x85ebca6b
	v_mul_lo_u32 v5, v5, s12
	v_lshrrev_b32_e32 v7, 13, v5
	v_xor_b32_e32 v5, v7, v5
	v_mul_f32_e32 v7, 0x4f7ffffe, v8
	v_cvt_u32_f32_e32 v7, v7
	s_mov_b32 s12, 0xc2b2ae35
	v_mul_lo_u32 v5, v5, s12
	s_sub_i32 s12, 0, s26
	v_mul_lo_u32 v8, s12, v7
	v_mul_hi_u32 v8, v7, v8
	v_xor_b32_sdwa v5, v5, v5 dst_sel:DWORD dst_unused:UNUSED_PAD src0_sel:WORD_1 src1_sel:DWORD
	v_add_u32_e32 v7, v7, v8
	v_mul_hi_u32 v7, v5, v7
	v_mul_lo_u32 v7, v7, s26
	v_sub_u32_e32 v5, v5, v7
	v_subrev_u32_e32 v7, s26, v5
	v_cmp_le_u32_e32 vcc, s26, v5
	v_cndmask_b32_e32 v5, v5, v7, vcc
	v_subrev_u32_e32 v7, s26, v5
	v_cmp_le_u32_e32 vcc, s26, v5
	v_cndmask_b32_e32 v8, v5, v7, vcc
	v_mov_b32_e32 v9, 0
	v_lshlrev_b64 v[10:11], 2, v[8:9]
	v_mov_b32_e32 v5, s11
	v_add_co_u32_e32 v10, vcc, s10, v10
	v_addc_co_u32_e32 v11, vcc, v5, v11, vcc
	global_load_dword v5, v[10:11], off
	s_mov_b64 s[14:15], -1
                                        ; implicit-def: $sgpr18
	s_waitcnt vmcnt(0)
	v_cmp_ne_u32_e32 vcc, v5, v6
	s_and_saveexec_b64 s[12:13], vcc
	s_cbranch_execz .LBB17_18
; %bb.13:
	s_mov_b64 s[14:15], 0
                                        ; implicit-def: $sgpr16_sgpr17
                                        ; implicit-def: $sgpr20_sgpr21
                                        ; implicit-def: $sgpr18_sgpr19
	s_branch .LBB17_15
.LBB17_14:                              ;   in Loop: Header=BB17_15 Depth=1
	s_or_b64 exec, exec, s[22:23]
	s_xor_b64 s[22:23], s[18:19], -1
	s_and_b64 s[24:25], exec, s[20:21]
	s_or_b64 s[14:15], s[24:25], s[14:15]
	s_andn2_b64 s[16:17], s[16:17], exec
	s_and_b64 s[22:23], s[22:23], exec
	s_or_b64 s[16:17], s[16:17], s[22:23]
	s_andn2_b64 exec, exec, s[14:15]
	s_cbranch_execz .LBB17_17
.LBB17_15:                              ; =>This Inner Loop Header: Depth=1
	v_cmp_ne_u32_e32 vcc, -1, v5
	s_or_b64 s[18:19], s[18:19], exec
	s_or_b64 s[20:21], s[20:21], exec
                                        ; implicit-def: $vgpr5
	s_and_saveexec_b64 s[22:23], vcc
	s_cbranch_execz .LBB17_14
; %bb.16:                               ;   in Loop: Header=BB17_15 Depth=1
	v_add_u32_e32 v5, 1, v8
	v_cmp_ne_u32_e32 vcc, s26, v5
	v_cndmask_b32_e32 v8, 0, v5, vcc
	v_lshlrev_b64 v[10:11], 2, v[8:9]
	v_mov_b32_e32 v5, s11
	v_add_co_u32_e32 v10, vcc, s10, v10
	v_addc_co_u32_e32 v11, vcc, v5, v11, vcc
	global_load_dword v5, v[10:11], off
	s_andn2_b64 s[20:21], s[20:21], exec
	s_andn2_b64 s[18:19], s[18:19], exec
	s_waitcnt vmcnt(0)
	v_cmp_eq_u32_e32 vcc, v5, v6
	s_and_b64 s[24:25], vcc, exec
	s_or_b64 s[20:21], s[20:21], s[24:25]
	s_branch .LBB17_14
.LBB17_17:
	s_or_b64 exec, exec, s[14:15]
	s_mov_b32 s18, -1
	s_orn2_b64 s[14:15], s[16:17], exec
.LBB17_18:
	s_or_b64 exec, exec, s[12:13]
	v_mov_b32_e32 v6, s18
	s_and_saveexec_b64 s[10:11], s[14:15]
	s_cbranch_execz .LBB17_20
; %bb.19:
	v_lshlrev_b64 v[6:7], 2, v[8:9]
	v_mov_b32_e32 v5, s7
	v_add_co_u32_e32 v6, vcc, s6, v6
	v_addc_co_u32_e32 v7, vcc, v5, v7, vcc
	global_load_dword v6, v[6:7], off
.LBB17_20:
	s_or_b64 exec, exec, s[10:11]
.LBB17_21:
	s_or_b64 exec, exec, s[8:9]
	s_waitcnt vmcnt(0)
	v_cmp_ne_u32_e32 vcc, -1, v4
	s_mov_b64 s[28:29], 0
	s_and_saveexec_b64 s[6:7], vcc
	s_xor_b64 s[26:27], exec, s[6:7]
	s_cbranch_execnz .LBB17_26
; %bb.22:
	s_andn2_saveexec_b64 s[26:27], s[26:27]
	s_cbranch_execnz .LBB17_31
.LBB17_23:
	s_or_b64 exec, exec, s[26:27]
	s_and_b64 exec, exec, s[28:29]
.LBB17_24:
	; divergent unreachable
.LBB17_25:
	s_endpgm
.LBB17_26:
	v_cmp_ne_u32_e32 vcc, -1, v6
	s_and_saveexec_b64 s[6:7], vcc
	s_xor_b64 s[6:7], exec, s[6:7]
	s_cbranch_execz .LBB17_28
; %bb.27:
	s_load_dwordx4 s[8:11], s[4:5], 0x20
	s_load_dwordx2 s[12:13], s[4:5], 0x30
	v_lshlrev_b64 v[0:1], 2, v[0:1]
	v_and_b32_e32 v3, 1, v3
	v_lshl_or_b32 v3, v4, 1, v3
	s_waitcnt lgkmcnt(0)
	v_mov_b32_e32 v5, s9
	v_add_co_u32_e32 v8, vcc, s8, v0
	v_addc_co_u32_e32 v9, vcc, v5, v1, vcc
	global_store_dword v[8:9], v3, off
	v_and_b32_e32 v2, 1, v2
	v_mov_b32_e32 v3, s11
	v_add_co_u32_e32 v0, vcc, s10, v0
	v_lshl_or_b32 v2, v6, 1, v2
	v_addc_co_u32_e32 v1, vcc, v3, v1, vcc
	v_mov_b32_e32 v5, 0
	global_store_dword v[0:1], v2, off
	v_lshlrev_b64 v[0:1], 2, v[4:5]
	v_mov_b32_e32 v2, s13
	v_add_co_u32_e32 v0, vcc, s12, v0
	v_mov_b32_e32 v10, 1
	v_addc_co_u32_e32 v1, vcc, v2, v1, vcc
	v_mov_b32_e32 v7, v5
	global_atomic_add v[0:1], v10, off
	v_lshlrev_b64 v[0:1], 2, v[6:7]
	v_add_co_u32_e32 v0, vcc, s12, v0
	v_addc_co_u32_e32 v1, vcc, v2, v1, vcc
	global_atomic_add v[0:1], v10, off
.LBB17_28:
	s_or_saveexec_b64 s[28:29], s[6:7]
	s_mov_b64 s[6:7], 0
	s_xor_b64 exec, exec, s[28:29]
	s_cbranch_execz .LBB17_30
; %bb.29:
	s_add_u32 s8, s4, 64
	s_addc_u32 s9, s5, 0
	s_getpc_b64 s[6:7]
	s_add_u32 s6, s6, .str.13@rel32@lo+4
	s_addc_u32 s7, s7, .str.13@rel32@hi+12
	s_getpc_b64 s[10:11]
	s_add_u32 s10, s10, .str.1@rel32@lo+4
	s_addc_u32 s11, s11, .str.1@rel32@hi+12
	s_getpc_b64 s[12:13]
	s_add_u32 s12, s12, __PRETTY_FUNCTION__._Z14parseOutputResPKyPKjS2_iPiS3_S3_ii@rel32@lo+4
	s_addc_u32 s13, s13, __PRETTY_FUNCTION__._Z14parseOutputResPKyPKjS2_iPiS3_S3_ii@rel32@hi+12
	v_mov_b32_e32 v0, s6
	v_mov_b32_e32 v1, s7
	;; [unrolled: 1-line block ×7, first 2 shown]
	s_getpc_b64 s[14:15]
	s_add_u32 s14, s14, __assert_fail@rel32@lo+4
	s_addc_u32 s15, s15, __assert_fail@rel32@hi+12
	s_mov_b64 s[34:35], s[4:5]
	s_swappc_b64 s[30:31], s[14:15]
	s_mov_b64 s[4:5], s[34:35]
	s_mov_b64 s[6:7], exec
.LBB17_30:
	s_or_b64 exec, exec, s[28:29]
	s_and_b64 s[28:29], s[6:7], exec
	s_andn2_saveexec_b64 s[26:27], s[26:27]
	s_cbranch_execz .LBB17_23
.LBB17_31:
	s_add_u32 s8, s4, 64
	s_addc_u32 s9, s5, 0
	s_getpc_b64 s[4:5]
	s_add_u32 s4, s4, .str.12@rel32@lo+4
	s_addc_u32 s5, s5, .str.12@rel32@hi+12
	s_getpc_b64 s[6:7]
	s_add_u32 s6, s6, .str.1@rel32@lo+4
	s_addc_u32 s7, s7, .str.1@rel32@hi+12
	s_getpc_b64 s[10:11]
	s_add_u32 s10, s10, __PRETTY_FUNCTION__._Z14parseOutputResPKyPKjS2_iPiS3_S3_ii@rel32@lo+4
	s_addc_u32 s11, s11, __PRETTY_FUNCTION__._Z14parseOutputResPKyPKjS2_iPiS3_S3_ii@rel32@hi+12
	v_mov_b32_e32 v0, s4
	v_mov_b32_e32 v1, s5
	v_mov_b32_e32 v2, s6
	v_mov_b32_e32 v3, s7
	v_mov_b32_e32 v4, 0x367
	v_mov_b32_e32 v5, s10
	v_mov_b32_e32 v6, s11
	s_getpc_b64 s[12:13]
	s_add_u32 s12, s12, __assert_fail@rel32@lo+4
	s_addc_u32 s13, s13, __assert_fail@rel32@hi+12
	s_swappc_b64 s[30:31], s[12:13]
	s_or_b64 s[28:29], s[28:29], exec
	s_or_b64 exec, exec, s[26:27]
	s_and_b64 exec, exec, s[28:29]
	s_cbranch_execnz .LBB17_24
	s_branch .LBB17_25
	.section	.rodata,"a",@progbits
	.p2align	6, 0x0
	.amdhsa_kernel _Z14parseOutputResPKyPKjS2_iPiS3_S3_ii
		.amdhsa_group_segment_fixed_size 0
		.amdhsa_private_segment_fixed_size 64
		.amdhsa_kernarg_size 320
		.amdhsa_user_sgpr_count 8
		.amdhsa_user_sgpr_private_segment_buffer 1
		.amdhsa_user_sgpr_dispatch_ptr 0
		.amdhsa_user_sgpr_queue_ptr 0
		.amdhsa_user_sgpr_kernarg_segment_ptr 1
		.amdhsa_user_sgpr_dispatch_id 0
		.amdhsa_user_sgpr_flat_scratch_init 1
		.amdhsa_user_sgpr_kernarg_preload_length 0
		.amdhsa_user_sgpr_kernarg_preload_offset 0
		.amdhsa_user_sgpr_private_segment_size 0
		.amdhsa_uses_dynamic_stack 0
		.amdhsa_system_sgpr_private_segment_wavefront_offset 1
		.amdhsa_system_sgpr_workgroup_id_x 1
		.amdhsa_system_sgpr_workgroup_id_y 0
		.amdhsa_system_sgpr_workgroup_id_z 0
		.amdhsa_system_sgpr_workgroup_info 0
		.amdhsa_system_vgpr_workitem_id 0
		.amdhsa_next_free_vgpr 54
		.amdhsa_next_free_sgpr 36
		.amdhsa_accum_offset 56
		.amdhsa_reserve_vcc 1
		.amdhsa_reserve_flat_scratch 1
		.amdhsa_float_round_mode_32 0
		.amdhsa_float_round_mode_16_64 0
		.amdhsa_float_denorm_mode_32 3
		.amdhsa_float_denorm_mode_16_64 3
		.amdhsa_dx10_clamp 1
		.amdhsa_ieee_mode 1
		.amdhsa_fp16_overflow 0
		.amdhsa_tg_split 0
		.amdhsa_exception_fp_ieee_invalid_op 0
		.amdhsa_exception_fp_denorm_src 0
		.amdhsa_exception_fp_ieee_div_zero 0
		.amdhsa_exception_fp_ieee_overflow 0
		.amdhsa_exception_fp_ieee_underflow 0
		.amdhsa_exception_fp_ieee_inexact 0
		.amdhsa_exception_int_div_zero 0
	.end_amdhsa_kernel
	.text
.Lfunc_end17:
	.size	_Z14parseOutputResPKyPKjS2_iPiS3_S3_ii, .Lfunc_end17-_Z14parseOutputResPKyPKjS2_iPiS3_S3_ii
                                        ; -- End function
	.section	.AMDGPU.csdata,"",@progbits
; Kernel info:
; codeLenInByte = 1472
; NumSgprs: 42
; NumVgprs: 54
; NumAgprs: 0
; TotalNumVgprs: 54
; ScratchSize: 64
; MemoryBound: 0
; FloatMode: 240
; IeeeMode: 1
; LDSByteSize: 0 bytes/workgroup (compile time only)
; SGPRBlocks: 5
; VGPRBlocks: 6
; NumSGPRsForWavesPerEU: 42
; NumVGPRsForWavesPerEU: 54
; AccumOffset: 56
; Occupancy: 8
; WaveLimiterHint : 1
; COMPUTE_PGM_RSRC2:SCRATCH_EN: 1
; COMPUTE_PGM_RSRC2:USER_SGPR: 8
; COMPUTE_PGM_RSRC2:TRAP_HANDLER: 0
; COMPUTE_PGM_RSRC2:TGID_X_EN: 1
; COMPUTE_PGM_RSRC2:TGID_Y_EN: 0
; COMPUTE_PGM_RSRC2:TGID_Z_EN: 0
; COMPUTE_PGM_RSRC2:TIDIG_COMP_CNT: 0
; COMPUTE_PGM_RSRC3_GFX90A:ACCUM_OFFSET: 13
; COMPUTE_PGM_RSRC3_GFX90A:TG_SPLIT: 0
	.text
	.protected	_Z9processPOPKiS0_S0_PKjS2_iPiS3_ii ; -- Begin function _Z9processPOPKiS0_S0_PKjS2_iPiS3_ii
	.globl	_Z9processPOPKiS0_S0_PKjS2_iPiS3_ii
	.p2align	8
	.type	_Z9processPOPKiS0_S0_PKjS2_iPiS3_ii,@function
_Z9processPOPKiS0_S0_PKjS2_iPiS3_ii:    ; @_Z9processPOPKiS0_S0_PKjS2_iPiS3_ii
; %bb.0:
	s_add_u32 flat_scratch_lo, s6, s9
	s_addc_u32 flat_scratch_hi, s7, 0
	s_mov_b64 s[26:27], s[4:5]
	s_load_dword s4, s[4:5], 0x54
	s_nop 0
	s_load_dwordx2 s[14:15], s[26:27], 0x40
	s_add_u32 s0, s0, s9
	s_addc_u32 s1, s1, 0
	s_add_u32 s16, s26, 0x48
	s_addc_u32 s17, s27, 0
	s_waitcnt lgkmcnt(0)
	s_and_b32 s4, s4, 0xffff
	s_mul_i32 s8, s8, s4
	v_add_u32_e32 v0, s8, v0
	v_cmp_gt_i32_e32 vcc, s14, v0
	s_mov_b32 s32, 0
	s_and_saveexec_b64 s[4:5], vcc
	s_cbranch_execz .LBB18_239
; %bb.1:
	s_load_dwordx8 s[4:11], s[26:27], 0x0
	v_ashrrev_i32_e32 v1, 31, v0
	v_lshlrev_b64 v[36:37], 2, v[0:1]
	s_mov_b64 s[18:19], -1
	s_mov_b64 s[34:35], 0
	s_waitcnt lgkmcnt(0)
	v_mov_b32_e32 v1, s5
	v_add_co_u32_e32 v0, vcc, s4, v36
	v_addc_co_u32_e32 v1, vcc, v1, v37, vcc
	global_load_dword v42, v[0:1], off
	s_mov_b64 s[4:5], 0
	s_mov_b64 s[28:29], 0
	s_waitcnt vmcnt(0)
	v_ashrrev_i32_e32 v0, 1, v42
	v_cmp_lt_i32_e32 vcc, s15, v0
	s_and_saveexec_b64 s[12:13], vcc
	s_cbranch_execz .LBB18_231
; %bb.2:
	v_ashrrev_i32_e32 v1, 31, v0
	v_lshlrev_b64 v[2:3], 2, v[0:1]
	v_mov_b32_e32 v1, s7
	v_add_co_u32_e32 v2, vcc, s6, v2
	v_addc_co_u32_e32 v3, vcc, v1, v3, vcc
	global_load_dword v6, v[2:3], off
	v_mov_b32_e32 v1, s9
	s_load_dwordx2 s[4:5], s[26:27], 0x20
	s_mov_b64 s[20:21], 0
	s_mov_b64 s[22:23], 0
	s_waitcnt vmcnt(0)
	v_ashrrev_i32_e32 v7, 31, v6
	v_lshlrev_b64 v[2:3], 2, v[6:7]
	v_add_co_u32_e32 v2, vcc, s8, v2
	v_addc_co_u32_e32 v3, vcc, v1, v3, vcc
	global_load_dword v2, v[2:3], off
	s_mov_b64 s[8:9], 0
	s_waitcnt vmcnt(0)
	v_cmp_ne_u32_e32 vcc, -1, v2
	s_and_saveexec_b64 s[6:7], vcc
	s_cbranch_execz .LBB18_230
; %bb.3:
	s_load_dword s14, s[26:27], 0x28
	v_ashrrev_i32_e32 v43, 1, v2
	s_mov_b32 s8, 0x85ebca6b
	v_xor_b32_sdwa v3, v43, v43 dst_sel:DWORD dst_unused:UNUSED_PAD src0_sel:WORD_1 src1_sel:DWORD
	v_mul_lo_u32 v3, v3, s8
	s_waitcnt lgkmcnt(0)
	v_cvt_f32_u32_e32 v1, s14
	v_lshrrev_b32_e32 v4, 13, v3
	s_sub_i32 s8, 0, s14
	s_mov_b32 s9, 0xc2b2ae35
	v_rcp_iflag_f32_e32 v1, v1
	v_xor_b32_e32 v3, v4, v3
	v_mul_lo_u32 v3, v3, s9
	v_xor_b32_sdwa v3, v3, v3 dst_sel:DWORD dst_unused:UNUSED_PAD src0_sel:WORD_1 src1_sel:DWORD
	v_mul_f32_e32 v1, 0x4f7ffffe, v1
	v_cvt_u32_f32_e32 v1, v1
	v_mov_b32_e32 v5, 0
                                        ; implicit-def: $sgpr22
	v_mul_lo_u32 v4, s8, v1
	v_mul_hi_u32 v4, v1, v4
	v_add_u32_e32 v1, v1, v4
	v_mul_hi_u32 v1, v3, v1
	v_mul_lo_u32 v1, v1, s14
	v_sub_u32_e32 v1, v3, v1
	v_subrev_u32_e32 v3, s14, v1
	v_cmp_le_u32_e32 vcc, s14, v1
	v_cndmask_b32_e32 v1, v1, v3, vcc
	v_subrev_u32_e32 v3, s14, v1
	v_cmp_le_u32_e32 vcc, s14, v1
	v_cndmask_b32_e32 v4, v1, v3, vcc
	v_lshlrev_b64 v[8:9], 2, v[4:5]
	v_mov_b32_e32 v1, s11
	v_add_co_u32_e32 v8, vcc, s10, v8
	v_addc_co_u32_e32 v9, vcc, v1, v9, vcc
	global_load_dword v1, v[8:9], off
	s_waitcnt vmcnt(0)
	v_cmp_ne_u32_e32 vcc, v1, v43
	s_and_saveexec_b64 s[8:9], vcc
	s_cbranch_execz .LBB18_9
; %bb.4:
	s_mov_b64 s[18:19], 0
                                        ; implicit-def: $sgpr20_sgpr21
                                        ; implicit-def: $sgpr24_sgpr25
                                        ; implicit-def: $sgpr22_sgpr23
	s_branch .LBB18_6
.LBB18_5:                               ;   in Loop: Header=BB18_6 Depth=1
	s_or_b64 exec, exec, s[28:29]
	s_xor_b64 s[28:29], s[22:23], -1
	s_and_b64 s[30:31], exec, s[24:25]
	s_or_b64 s[18:19], s[30:31], s[18:19]
	s_andn2_b64 s[20:21], s[20:21], exec
	s_and_b64 s[28:29], s[28:29], exec
	s_or_b64 s[20:21], s[20:21], s[28:29]
	s_andn2_b64 exec, exec, s[18:19]
	s_cbranch_execz .LBB18_8
.LBB18_6:                               ; =>This Inner Loop Header: Depth=1
	v_cmp_ne_u32_e32 vcc, -1, v1
	s_or_b64 s[22:23], s[22:23], exec
	s_or_b64 s[24:25], s[24:25], exec
                                        ; implicit-def: $vgpr1
	s_and_saveexec_b64 s[28:29], vcc
	s_cbranch_execz .LBB18_5
; %bb.7:                                ;   in Loop: Header=BB18_6 Depth=1
	v_add_u32_e32 v1, 1, v4
	v_cmp_ne_u32_e32 vcc, s14, v1
	v_cndmask_b32_e32 v4, 0, v1, vcc
	v_lshlrev_b64 v[8:9], 2, v[4:5]
	v_mov_b32_e32 v1, s11
	v_add_co_u32_e32 v8, vcc, s10, v8
	v_addc_co_u32_e32 v9, vcc, v1, v9, vcc
	global_load_dword v1, v[8:9], off
	s_andn2_b64 s[24:25], s[24:25], exec
	s_andn2_b64 s[22:23], s[22:23], exec
	s_waitcnt vmcnt(0)
	v_cmp_eq_u32_e32 vcc, v1, v43
	s_and_b64 s[30:31], vcc, exec
	s_or_b64 s[24:25], s[24:25], s[30:31]
	s_branch .LBB18_5
.LBB18_8:
	s_or_b64 exec, exec, s[18:19]
	s_mov_b32 s22, -1
	s_orn2_b64 s[18:19], s[20:21], exec
.LBB18_9:
	s_or_b64 exec, exec, s[8:9]
	v_mov_b32_e32 v1, s22
	s_and_saveexec_b64 s[8:9], s[18:19]
	s_cbranch_execz .LBB18_11
; %bb.10:
	v_lshlrev_b64 v[4:5], 2, v[4:5]
	v_mov_b32_e32 v1, s5
	v_add_co_u32_e32 v4, vcc, s4, v4
	v_addc_co_u32_e32 v5, vcc, v1, v5, vcc
	global_load_dword v1, v[4:5], off
.LBB18_11:
	s_or_b64 exec, exec, s[8:9]
	s_waitcnt vmcnt(0)
	v_cmp_eq_u32_e32 vcc, -1, v1
	s_mov_b64 s[18:19], -1
	s_mov_b64 s[8:9], 0
	s_mov_b64 s[4:5], 0
	s_and_saveexec_b64 s[10:11], vcc
	s_cbranch_execz .LBB18_225
; %bb.12:
	s_load_dwordx2 s[16:17], s[16:17], 0x50
	v_mbcnt_lo_u32_b32 v1, -1, 0
	v_mbcnt_hi_u32_b32 v3, -1, v1
	v_readfirstlane_b32 s4, v3
	v_cmp_eq_u32_e64 s[4:5], s4, v3
	v_pk_mov_b32 v[4:5], 0, 0
	s_and_saveexec_b64 s[18:19], s[4:5]
	s_cbranch_execz .LBB18_18
; %bb.13:
	v_mov_b32_e32 v1, 0
	s_waitcnt lgkmcnt(0)
	global_load_dwordx2 v[10:11], v1, s[16:17] offset:24 glc
	s_waitcnt vmcnt(0)
	buffer_invl2
	buffer_wbinvl1_vol
	global_load_dwordx2 v[4:5], v1, s[16:17] offset:40
	global_load_dwordx2 v[8:9], v1, s[16:17]
	s_waitcnt vmcnt(1)
	v_and_b32_e32 v4, v4, v10
	v_and_b32_e32 v5, v5, v11
	v_mul_lo_u32 v5, v5, 24
	v_mul_hi_u32 v7, v4, 24
	v_mul_lo_u32 v4, v4, 24
	v_add_u32_e32 v5, v7, v5
	s_waitcnt vmcnt(0)
	v_add_co_u32_e32 v4, vcc, v8, v4
	v_addc_co_u32_e32 v5, vcc, v9, v5, vcc
	global_load_dwordx2 v[8:9], v[4:5], off glc
	s_waitcnt vmcnt(0)
	global_atomic_cmpswap_x2 v[4:5], v1, v[8:11], s[16:17] offset:24 glc
	s_waitcnt vmcnt(0)
	buffer_invl2
	buffer_wbinvl1_vol
	v_cmp_ne_u64_e32 vcc, v[4:5], v[10:11]
	s_and_saveexec_b64 s[20:21], vcc
	s_cbranch_execz .LBB18_17
; %bb.14:
	s_mov_b64 s[22:23], 0
.LBB18_15:                              ; =>This Inner Loop Header: Depth=1
	s_sleep 1
	global_load_dwordx2 v[8:9], v1, s[16:17] offset:40
	global_load_dwordx2 v[12:13], v1, s[16:17]
	v_pk_mov_b32 v[10:11], v[4:5], v[4:5] op_sel:[0,1]
	s_waitcnt vmcnt(1)
	v_and_b32_e32 v4, v8, v10
	s_waitcnt vmcnt(0)
	v_mad_u64_u32 v[4:5], s[24:25], v4, 24, v[12:13]
	v_and_b32_e32 v7, v9, v11
	v_mov_b32_e32 v8, v5
	v_mad_u64_u32 v[8:9], s[24:25], v7, 24, v[8:9]
	v_mov_b32_e32 v5, v8
	global_load_dwordx2 v[8:9], v[4:5], off glc
	s_waitcnt vmcnt(0)
	global_atomic_cmpswap_x2 v[4:5], v1, v[8:11], s[16:17] offset:24 glc
	s_waitcnt vmcnt(0)
	buffer_invl2
	buffer_wbinvl1_vol
	v_cmp_eq_u64_e32 vcc, v[4:5], v[10:11]
	s_or_b64 s[22:23], vcc, s[22:23]
	s_andn2_b64 exec, exec, s[22:23]
	s_cbranch_execnz .LBB18_15
; %bb.16:
	s_or_b64 exec, exec, s[22:23]
.LBB18_17:
	s_or_b64 exec, exec, s[20:21]
.LBB18_18:
	s_or_b64 exec, exec, s[18:19]
	v_mov_b32_e32 v13, 0
	s_waitcnt lgkmcnt(0)
	global_load_dwordx2 v[14:15], v13, s[16:17] offset:40
	global_load_dwordx4 v[8:11], v13, s[16:17]
	v_readfirstlane_b32 s18, v4
	v_readfirstlane_b32 s19, v5
	s_mov_b64 s[20:21], exec
	s_waitcnt vmcnt(1)
	v_readfirstlane_b32 s22, v14
	v_readfirstlane_b32 s23, v15
	s_and_b64 s[22:23], s[18:19], s[22:23]
	s_mul_i32 s14, s23, 24
	s_mul_hi_u32 s24, s22, 24
	s_mul_i32 s25, s22, 24
	s_add_i32 s14, s24, s14
	v_mov_b32_e32 v1, s14
	s_waitcnt vmcnt(0)
	v_add_co_u32_e32 v4, vcc, s25, v8
	v_addc_co_u32_e32 v5, vcc, v9, v1, vcc
	s_and_saveexec_b64 s[24:25], s[4:5]
	s_cbranch_execz .LBB18_20
; %bb.19:
	v_pk_mov_b32 v[14:15], s[20:21], s[20:21] op_sel:[0,1]
	v_mov_b32_e32 v16, 2
	v_mov_b32_e32 v17, 1
	global_store_dwordx4 v[4:5], v[14:17], off offset:8
.LBB18_20:
	s_or_b64 exec, exec, s[24:25]
	s_lshl_b64 s[20:21], s[22:23], 12
	v_mov_b32_e32 v1, s21
	v_add_co_u32_e32 v10, vcc, s20, v10
	v_addc_co_u32_e32 v1, vcc, v11, v1, vcc
	s_mov_b32 s20, 0
	v_lshlrev_b32_e32 v44, 6, v3
	v_mov_b32_e32 v12, 33
	v_mov_b32_e32 v14, v13
	;; [unrolled: 1-line block ×3, first 2 shown]
	v_readfirstlane_b32 s24, v10
	v_readfirstlane_b32 s25, v1
	s_mov_b32 s21, s20
	v_add_co_u32_e32 v16, vcc, v10, v44
	s_mov_b32 s22, s20
	s_mov_b32 s23, s20
	s_nop 0
	global_store_dwordx4 v44, v[12:15], s[24:25]
	v_pk_mov_b32 v[10:11], s[20:21], s[20:21] op_sel:[0,1]
	v_addc_co_u32_e32 v17, vcc, 0, v1, vcc
	v_pk_mov_b32 v[12:13], s[22:23], s[22:23] op_sel:[0,1]
	global_store_dwordx4 v44, v[10:13], s[24:25] offset:16
	global_store_dwordx4 v44, v[10:13], s[24:25] offset:32
	;; [unrolled: 1-line block ×3, first 2 shown]
	s_and_saveexec_b64 s[20:21], s[4:5]
	s_cbranch_execz .LBB18_28
; %bb.21:
	v_mov_b32_e32 v1, 0
	global_load_dwordx2 v[20:21], v1, s[16:17] offset:32 glc
	global_load_dwordx2 v[10:11], v1, s[16:17] offset:40
	v_mov_b32_e32 v18, s18
	v_mov_b32_e32 v19, s19
	s_waitcnt vmcnt(0)
	v_and_b32_e32 v7, s18, v10
	v_and_b32_e32 v10, s19, v11
	v_mul_lo_u32 v10, v10, 24
	v_mul_hi_u32 v11, v7, 24
	v_mul_lo_u32 v7, v7, 24
	v_add_u32_e32 v10, v11, v10
	v_add_co_u32_e32 v12, vcc, v8, v7
	v_addc_co_u32_e32 v13, vcc, v9, v10, vcc
	global_store_dwordx2 v[12:13], v[20:21], off
	buffer_wbl2
	s_waitcnt vmcnt(0)
	global_atomic_cmpswap_x2 v[10:11], v1, v[18:21], s[16:17] offset:32 glc
	s_waitcnt vmcnt(0)
	v_cmp_ne_u64_e32 vcc, v[10:11], v[20:21]
	s_and_saveexec_b64 s[22:23], vcc
	s_cbranch_execz .LBB18_24
; %bb.22:
	s_mov_b64 s[24:25], 0
.LBB18_23:                              ; =>This Inner Loop Header: Depth=1
	s_sleep 1
	global_store_dwordx2 v[12:13], v[10:11], off
	v_mov_b32_e32 v8, s18
	v_mov_b32_e32 v9, s19
	buffer_wbl2
	s_waitcnt vmcnt(0)
	global_atomic_cmpswap_x2 v[8:9], v1, v[8:11], s[16:17] offset:32 glc
	s_waitcnt vmcnt(0)
	v_cmp_eq_u64_e32 vcc, v[8:9], v[10:11]
	s_or_b64 s[24:25], vcc, s[24:25]
	v_pk_mov_b32 v[10:11], v[8:9], v[8:9] op_sel:[0,1]
	s_andn2_b64 exec, exec, s[24:25]
	s_cbranch_execnz .LBB18_23
.LBB18_24:
	s_or_b64 exec, exec, s[22:23]
	v_mov_b32_e32 v11, 0
	global_load_dwordx2 v[8:9], v11, s[16:17] offset:16
	s_mov_b64 s[22:23], exec
	v_mbcnt_lo_u32_b32 v1, s22, 0
	v_mbcnt_hi_u32_b32 v1, s23, v1
	v_cmp_eq_u32_e32 vcc, 0, v1
	s_and_saveexec_b64 s[24:25], vcc
	s_cbranch_execz .LBB18_26
; %bb.25:
	s_bcnt1_i32_b64 s14, s[22:23]
	v_mov_b32_e32 v10, s14
	buffer_wbl2
	s_waitcnt vmcnt(0)
	global_atomic_add_x2 v[8:9], v[10:11], off offset:8
.LBB18_26:
	s_or_b64 exec, exec, s[24:25]
	s_waitcnt vmcnt(0)
	global_load_dwordx2 v[10:11], v[8:9], off offset:16
	s_waitcnt vmcnt(0)
	v_cmp_eq_u64_e32 vcc, 0, v[10:11]
	s_cbranch_vccnz .LBB18_28
; %bb.27:
	global_load_dword v8, v[8:9], off offset:24
	v_mov_b32_e32 v9, 0
	s_waitcnt vmcnt(0)
	v_and_b32_e32 v1, 0xffffff, v8
	v_readfirstlane_b32 m0, v1
	buffer_wbl2
	global_store_dwordx2 v[10:11], v[8:9], off
	s_sendmsg sendmsg(MSG_INTERRUPT)
.LBB18_28:
	s_or_b64 exec, exec, s[20:21]
	s_branch .LBB18_32
.LBB18_29:                              ;   in Loop: Header=BB18_32 Depth=1
	s_or_b64 exec, exec, s[20:21]
	v_readfirstlane_b32 s14, v1
	s_cmp_eq_u32 s14, 0
	s_cbranch_scc1 .LBB18_31
; %bb.30:                               ;   in Loop: Header=BB18_32 Depth=1
	s_sleep 1
	s_cbranch_execnz .LBB18_32
	s_branch .LBB18_34
.LBB18_31:
	s_branch .LBB18_34
.LBB18_32:                              ; =>This Inner Loop Header: Depth=1
	v_mov_b32_e32 v1, 1
	s_and_saveexec_b64 s[20:21], s[4:5]
	s_cbranch_execz .LBB18_29
; %bb.33:                               ;   in Loop: Header=BB18_32 Depth=1
	global_load_dword v1, v[4:5], off offset:20 glc
	s_waitcnt vmcnt(0)
	buffer_invl2
	buffer_wbinvl1_vol
	v_and_b32_e32 v1, 1, v1
	s_branch .LBB18_29
.LBB18_34:
	global_load_dwordx2 v[8:9], v[16:17], off
	s_and_saveexec_b64 s[20:21], s[4:5]
	s_cbranch_execz .LBB18_37
; %bb.35:
	v_mov_b32_e32 v1, 0
	global_load_dwordx2 v[4:5], v1, s[16:17] offset:40
	global_load_dwordx2 v[14:15], v1, s[16:17] offset:24 glc
	global_load_dwordx2 v[16:17], v1, s[16:17]
	v_mov_b32_e32 v7, s19
	s_mov_b64 s[4:5], 0
	s_waitcnt vmcnt(2)
	v_add_co_u32_e32 v13, vcc, 1, v4
	v_addc_co_u32_e32 v18, vcc, 0, v5, vcc
	v_add_co_u32_e32 v10, vcc, s18, v13
	v_addc_co_u32_e32 v11, vcc, v18, v7, vcc
	v_cmp_eq_u64_e32 vcc, 0, v[10:11]
	v_cndmask_b32_e32 v11, v11, v18, vcc
	v_cndmask_b32_e32 v10, v10, v13, vcc
	v_and_b32_e32 v5, v11, v5
	v_and_b32_e32 v4, v10, v4
	v_mul_lo_u32 v5, v5, 24
	v_mul_hi_u32 v7, v4, 24
	v_mul_lo_u32 v4, v4, 24
	v_add_u32_e32 v5, v7, v5
	s_waitcnt vmcnt(0)
	v_add_co_u32_e32 v4, vcc, v16, v4
	v_addc_co_u32_e32 v5, vcc, v17, v5, vcc
	v_mov_b32_e32 v12, v14
	global_store_dwordx2 v[4:5], v[14:15], off
	v_mov_b32_e32 v13, v15
	buffer_wbl2
	s_waitcnt vmcnt(0)
	global_atomic_cmpswap_x2 v[12:13], v1, v[10:13], s[16:17] offset:24 glc
	s_waitcnt vmcnt(0)
	v_cmp_ne_u64_e32 vcc, v[12:13], v[14:15]
	s_and_b64 exec, exec, vcc
	s_cbranch_execz .LBB18_37
.LBB18_36:                              ; =>This Inner Loop Header: Depth=1
	s_sleep 1
	global_store_dwordx2 v[4:5], v[12:13], off
	buffer_wbl2
	s_waitcnt vmcnt(0)
	global_atomic_cmpswap_x2 v[14:15], v1, v[10:13], s[16:17] offset:24 glc
	s_waitcnt vmcnt(0)
	v_cmp_eq_u64_e32 vcc, v[14:15], v[12:13]
	s_or_b64 s[4:5], vcc, s[4:5]
	v_pk_mov_b32 v[12:13], v[14:15], v[14:15] op_sel:[0,1]
	s_andn2_b64 exec, exec, s[4:5]
	s_cbranch_execnz .LBB18_36
.LBB18_37:
	s_or_b64 exec, exec, s[20:21]
	s_getpc_b64 s[18:19]
	s_add_u32 s18, s18, .str.15@rel32@lo+4
	s_addc_u32 s19, s19, .str.15@rel32@hi+12
	s_cmp_lg_u64 s[18:19], 0
	s_cbranch_scc0 .LBB18_122
; %bb.38:
	s_waitcnt vmcnt(0)
	v_and_b32_e32 v4, 2, v8
	v_mov_b32_e32 v39, 0
	v_and_b32_e32 v10, -3, v8
	v_mov_b32_e32 v11, v9
	s_mov_b64 s[20:21], 36
	v_mov_b32_e32 v14, 2
	v_mov_b32_e32 v15, 1
	s_branch .LBB18_40
.LBB18_39:                              ;   in Loop: Header=BB18_40 Depth=1
	s_or_b64 exec, exec, s[28:29]
	s_sub_u32 s20, s20, s22
	s_subb_u32 s21, s21, s23
	s_add_u32 s18, s18, s22
	s_addc_u32 s19, s19, s23
	s_cmp_lg_u64 s[20:21], 0
	s_cbranch_scc0 .LBB18_121
.LBB18_40:                              ; =>This Loop Header: Depth=1
                                        ;     Child Loop BB18_43 Depth 2
                                        ;     Child Loop BB18_50 Depth 2
	;; [unrolled: 1-line block ×11, first 2 shown]
	v_cmp_lt_u64_e64 s[4:5], s[20:21], 56
	s_and_b64 s[4:5], s[4:5], exec
	v_cmp_gt_u64_e64 s[4:5], s[20:21], 7
	s_cselect_b32 s23, s21, 0
	s_cselect_b32 s22, s20, 56
	s_and_b64 vcc, exec, s[4:5]
	s_cbranch_vccnz .LBB18_45
; %bb.41:                               ;   in Loop: Header=BB18_40 Depth=1
	s_mov_b64 s[4:5], 0
	s_cmp_eq_u64 s[20:21], 0
	v_pk_mov_b32 v[18:19], 0, 0
	s_cbranch_scc1 .LBB18_44
; %bb.42:                               ;   in Loop: Header=BB18_40 Depth=1
	s_lshl_b64 s[24:25], s[22:23], 3
	s_mov_b64 s[28:29], 0
	v_pk_mov_b32 v[18:19], 0, 0
	s_mov_b64 s[30:31], s[18:19]
.LBB18_43:                              ;   Parent Loop BB18_40 Depth=1
                                        ; =>  This Inner Loop Header: Depth=2
	global_load_ubyte v1, v39, s[30:31]
	s_waitcnt vmcnt(0)
	v_and_b32_e32 v38, 0xffff, v1
	v_lshlrev_b64 v[12:13], s28, v[38:39]
	s_add_u32 s28, s28, 8
	s_addc_u32 s29, s29, 0
	s_add_u32 s30, s30, 1
	s_addc_u32 s31, s31, 0
	v_or_b32_e32 v18, v12, v18
	s_cmp_lg_u32 s24, s28
	v_or_b32_e32 v19, v13, v19
	s_cbranch_scc1 .LBB18_43
.LBB18_44:                              ;   in Loop: Header=BB18_40 Depth=1
	s_mov_b32 s14, 0
	s_andn2_b64 vcc, exec, s[4:5]
	s_mov_b64 s[4:5], s[18:19]
	s_cbranch_vccz .LBB18_46
	s_branch .LBB18_47
.LBB18_45:                              ;   in Loop: Header=BB18_40 Depth=1
                                        ; implicit-def: $vgpr18_vgpr19
                                        ; implicit-def: $sgpr14
	s_mov_b64 s[4:5], s[18:19]
.LBB18_46:                              ;   in Loop: Header=BB18_40 Depth=1
	global_load_dwordx2 v[18:19], v39, s[18:19]
	s_add_i32 s14, s22, -8
	s_add_u32 s4, s18, 8
	s_addc_u32 s5, s19, 0
.LBB18_47:                              ;   in Loop: Header=BB18_40 Depth=1
	s_cmp_gt_u32 s14, 7
	s_cbranch_scc1 .LBB18_51
; %bb.48:                               ;   in Loop: Header=BB18_40 Depth=1
	s_cmp_eq_u32 s14, 0
	s_cbranch_scc1 .LBB18_52
; %bb.49:                               ;   in Loop: Header=BB18_40 Depth=1
	s_mov_b64 s[24:25], 0
	v_pk_mov_b32 v[20:21], 0, 0
	s_mov_b64 s[28:29], 0
.LBB18_50:                              ;   Parent Loop BB18_40 Depth=1
                                        ; =>  This Inner Loop Header: Depth=2
	s_add_u32 s30, s4, s28
	s_addc_u32 s31, s5, s29
	global_load_ubyte v1, v39, s[30:31]
	s_add_u32 s28, s28, 1
	s_addc_u32 s29, s29, 0
	s_waitcnt vmcnt(0)
	v_and_b32_e32 v38, 0xffff, v1
	v_lshlrev_b64 v[12:13], s24, v[38:39]
	s_add_u32 s24, s24, 8
	s_addc_u32 s25, s25, 0
	v_or_b32_e32 v20, v12, v20
	s_cmp_lg_u32 s14, s28
	v_or_b32_e32 v21, v13, v21
	s_cbranch_scc1 .LBB18_50
	s_branch .LBB18_53
.LBB18_51:                              ;   in Loop: Header=BB18_40 Depth=1
                                        ; implicit-def: $vgpr20_vgpr21
                                        ; implicit-def: $sgpr30
	s_branch .LBB18_54
.LBB18_52:                              ;   in Loop: Header=BB18_40 Depth=1
	v_pk_mov_b32 v[20:21], 0, 0
.LBB18_53:                              ;   in Loop: Header=BB18_40 Depth=1
	s_mov_b32 s30, 0
	s_cbranch_execnz .LBB18_55
.LBB18_54:                              ;   in Loop: Header=BB18_40 Depth=1
	global_load_dwordx2 v[20:21], v39, s[4:5]
	s_add_i32 s30, s14, -8
	s_add_u32 s4, s4, 8
	s_addc_u32 s5, s5, 0
.LBB18_55:                              ;   in Loop: Header=BB18_40 Depth=1
	s_cmp_gt_u32 s30, 7
	s_cbranch_scc1 .LBB18_59
; %bb.56:                               ;   in Loop: Header=BB18_40 Depth=1
	s_cmp_eq_u32 s30, 0
	s_cbranch_scc1 .LBB18_60
; %bb.57:                               ;   in Loop: Header=BB18_40 Depth=1
	s_mov_b64 s[24:25], 0
	v_pk_mov_b32 v[22:23], 0, 0
	s_mov_b64 s[28:29], 0
.LBB18_58:                              ;   Parent Loop BB18_40 Depth=1
                                        ; =>  This Inner Loop Header: Depth=2
	s_add_u32 s34, s4, s28
	s_addc_u32 s35, s5, s29
	global_load_ubyte v1, v39, s[34:35]
	s_add_u32 s28, s28, 1
	s_addc_u32 s29, s29, 0
	s_waitcnt vmcnt(0)
	v_and_b32_e32 v38, 0xffff, v1
	v_lshlrev_b64 v[12:13], s24, v[38:39]
	s_add_u32 s24, s24, 8
	s_addc_u32 s25, s25, 0
	v_or_b32_e32 v22, v12, v22
	s_cmp_lg_u32 s30, s28
	v_or_b32_e32 v23, v13, v23
	s_cbranch_scc1 .LBB18_58
	s_branch .LBB18_61
.LBB18_59:                              ;   in Loop: Header=BB18_40 Depth=1
                                        ; implicit-def: $sgpr14
	s_branch .LBB18_62
.LBB18_60:                              ;   in Loop: Header=BB18_40 Depth=1
	v_pk_mov_b32 v[22:23], 0, 0
.LBB18_61:                              ;   in Loop: Header=BB18_40 Depth=1
	s_mov_b32 s14, 0
	s_cbranch_execnz .LBB18_63
.LBB18_62:                              ;   in Loop: Header=BB18_40 Depth=1
	global_load_dwordx2 v[22:23], v39, s[4:5]
	s_add_i32 s14, s30, -8
	s_add_u32 s4, s4, 8
	s_addc_u32 s5, s5, 0
.LBB18_63:                              ;   in Loop: Header=BB18_40 Depth=1
	s_cmp_gt_u32 s14, 7
	s_cbranch_scc1 .LBB18_67
; %bb.64:                               ;   in Loop: Header=BB18_40 Depth=1
	s_cmp_eq_u32 s14, 0
	s_cbranch_scc1 .LBB18_68
; %bb.65:                               ;   in Loop: Header=BB18_40 Depth=1
	s_mov_b64 s[24:25], 0
	v_pk_mov_b32 v[24:25], 0, 0
	s_mov_b64 s[28:29], 0
.LBB18_66:                              ;   Parent Loop BB18_40 Depth=1
                                        ; =>  This Inner Loop Header: Depth=2
	s_add_u32 s30, s4, s28
	s_addc_u32 s31, s5, s29
	global_load_ubyte v1, v39, s[30:31]
	s_add_u32 s28, s28, 1
	s_addc_u32 s29, s29, 0
	s_waitcnt vmcnt(0)
	v_and_b32_e32 v38, 0xffff, v1
	v_lshlrev_b64 v[12:13], s24, v[38:39]
	s_add_u32 s24, s24, 8
	s_addc_u32 s25, s25, 0
	v_or_b32_e32 v24, v12, v24
	s_cmp_lg_u32 s14, s28
	v_or_b32_e32 v25, v13, v25
	s_cbranch_scc1 .LBB18_66
	s_branch .LBB18_69
.LBB18_67:                              ;   in Loop: Header=BB18_40 Depth=1
                                        ; implicit-def: $vgpr24_vgpr25
                                        ; implicit-def: $sgpr30
	s_branch .LBB18_70
.LBB18_68:                              ;   in Loop: Header=BB18_40 Depth=1
	v_pk_mov_b32 v[24:25], 0, 0
.LBB18_69:                              ;   in Loop: Header=BB18_40 Depth=1
	s_mov_b32 s30, 0
	s_cbranch_execnz .LBB18_71
.LBB18_70:                              ;   in Loop: Header=BB18_40 Depth=1
	global_load_dwordx2 v[24:25], v39, s[4:5]
	s_add_i32 s30, s14, -8
	s_add_u32 s4, s4, 8
	s_addc_u32 s5, s5, 0
.LBB18_71:                              ;   in Loop: Header=BB18_40 Depth=1
	s_cmp_gt_u32 s30, 7
	s_cbranch_scc1 .LBB18_75
; %bb.72:                               ;   in Loop: Header=BB18_40 Depth=1
	s_cmp_eq_u32 s30, 0
	s_cbranch_scc1 .LBB18_76
; %bb.73:                               ;   in Loop: Header=BB18_40 Depth=1
	s_mov_b64 s[24:25], 0
	v_pk_mov_b32 v[26:27], 0, 0
	s_mov_b64 s[28:29], 0
.LBB18_74:                              ;   Parent Loop BB18_40 Depth=1
                                        ; =>  This Inner Loop Header: Depth=2
	s_add_u32 s34, s4, s28
	s_addc_u32 s35, s5, s29
	global_load_ubyte v1, v39, s[34:35]
	s_add_u32 s28, s28, 1
	s_addc_u32 s29, s29, 0
	s_waitcnt vmcnt(0)
	v_and_b32_e32 v38, 0xffff, v1
	v_lshlrev_b64 v[12:13], s24, v[38:39]
	s_add_u32 s24, s24, 8
	s_addc_u32 s25, s25, 0
	v_or_b32_e32 v26, v12, v26
	s_cmp_lg_u32 s30, s28
	v_or_b32_e32 v27, v13, v27
	s_cbranch_scc1 .LBB18_74
	s_branch .LBB18_77
.LBB18_75:                              ;   in Loop: Header=BB18_40 Depth=1
                                        ; implicit-def: $sgpr14
	s_branch .LBB18_78
.LBB18_76:                              ;   in Loop: Header=BB18_40 Depth=1
	v_pk_mov_b32 v[26:27], 0, 0
.LBB18_77:                              ;   in Loop: Header=BB18_40 Depth=1
	s_mov_b32 s14, 0
	s_cbranch_execnz .LBB18_79
.LBB18_78:                              ;   in Loop: Header=BB18_40 Depth=1
	global_load_dwordx2 v[26:27], v39, s[4:5]
	s_add_i32 s14, s30, -8
	s_add_u32 s4, s4, 8
	s_addc_u32 s5, s5, 0
.LBB18_79:                              ;   in Loop: Header=BB18_40 Depth=1
	s_cmp_gt_u32 s14, 7
	s_cbranch_scc1 .LBB18_83
; %bb.80:                               ;   in Loop: Header=BB18_40 Depth=1
	s_cmp_eq_u32 s14, 0
	s_cbranch_scc1 .LBB18_84
; %bb.81:                               ;   in Loop: Header=BB18_40 Depth=1
	s_mov_b64 s[24:25], 0
	v_pk_mov_b32 v[28:29], 0, 0
	s_mov_b64 s[28:29], 0
.LBB18_82:                              ;   Parent Loop BB18_40 Depth=1
                                        ; =>  This Inner Loop Header: Depth=2
	s_add_u32 s30, s4, s28
	s_addc_u32 s31, s5, s29
	global_load_ubyte v1, v39, s[30:31]
	s_add_u32 s28, s28, 1
	s_addc_u32 s29, s29, 0
	s_waitcnt vmcnt(0)
	v_and_b32_e32 v38, 0xffff, v1
	v_lshlrev_b64 v[12:13], s24, v[38:39]
	s_add_u32 s24, s24, 8
	s_addc_u32 s25, s25, 0
	v_or_b32_e32 v28, v12, v28
	s_cmp_lg_u32 s14, s28
	v_or_b32_e32 v29, v13, v29
	s_cbranch_scc1 .LBB18_82
	s_branch .LBB18_85
.LBB18_83:                              ;   in Loop: Header=BB18_40 Depth=1
                                        ; implicit-def: $vgpr28_vgpr29
                                        ; implicit-def: $sgpr30
	s_branch .LBB18_86
.LBB18_84:                              ;   in Loop: Header=BB18_40 Depth=1
	v_pk_mov_b32 v[28:29], 0, 0
.LBB18_85:                              ;   in Loop: Header=BB18_40 Depth=1
	s_mov_b32 s30, 0
	s_cbranch_execnz .LBB18_87
.LBB18_86:                              ;   in Loop: Header=BB18_40 Depth=1
	global_load_dwordx2 v[28:29], v39, s[4:5]
	s_add_i32 s30, s14, -8
	s_add_u32 s4, s4, 8
	s_addc_u32 s5, s5, 0
.LBB18_87:                              ;   in Loop: Header=BB18_40 Depth=1
	s_cmp_gt_u32 s30, 7
	s_cbranch_scc1 .LBB18_91
; %bb.88:                               ;   in Loop: Header=BB18_40 Depth=1
	s_cmp_eq_u32 s30, 0
	s_cbranch_scc1 .LBB18_92
; %bb.89:                               ;   in Loop: Header=BB18_40 Depth=1
	s_mov_b64 s[24:25], 0
	v_pk_mov_b32 v[30:31], 0, 0
	s_mov_b64 s[28:29], s[4:5]
.LBB18_90:                              ;   Parent Loop BB18_40 Depth=1
                                        ; =>  This Inner Loop Header: Depth=2
	global_load_ubyte v1, v39, s[28:29]
	s_add_i32 s30, s30, -1
	s_waitcnt vmcnt(0)
	v_and_b32_e32 v38, 0xffff, v1
	v_lshlrev_b64 v[12:13], s24, v[38:39]
	s_add_u32 s24, s24, 8
	s_addc_u32 s25, s25, 0
	s_add_u32 s28, s28, 1
	s_addc_u32 s29, s29, 0
	v_or_b32_e32 v30, v12, v30
	s_cmp_lg_u32 s30, 0
	v_or_b32_e32 v31, v13, v31
	s_cbranch_scc1 .LBB18_90
	s_branch .LBB18_93
.LBB18_91:                              ;   in Loop: Header=BB18_40 Depth=1
	s_branch .LBB18_94
.LBB18_92:                              ;   in Loop: Header=BB18_40 Depth=1
	v_pk_mov_b32 v[30:31], 0, 0
.LBB18_93:                              ;   in Loop: Header=BB18_40 Depth=1
	s_cbranch_execnz .LBB18_95
.LBB18_94:                              ;   in Loop: Header=BB18_40 Depth=1
	global_load_dwordx2 v[30:31], v39, s[4:5]
.LBB18_95:                              ;   in Loop: Header=BB18_40 Depth=1
	v_readfirstlane_b32 s4, v3
	v_cmp_eq_u32_e64 s[4:5], s4, v3
	s_waitcnt vmcnt(0)
	v_pk_mov_b32 v[12:13], 0, 0
	s_and_saveexec_b64 s[24:25], s[4:5]
	s_cbranch_execz .LBB18_101
; %bb.96:                               ;   in Loop: Header=BB18_40 Depth=1
	global_load_dwordx2 v[34:35], v39, s[16:17] offset:24 glc
	s_waitcnt vmcnt(0)
	buffer_invl2
	buffer_wbinvl1_vol
	global_load_dwordx2 v[12:13], v39, s[16:17] offset:40
	global_load_dwordx2 v[16:17], v39, s[16:17]
	s_waitcnt vmcnt(1)
	v_and_b32_e32 v1, v12, v34
	v_and_b32_e32 v5, v13, v35
	v_mul_lo_u32 v5, v5, 24
	v_mul_hi_u32 v7, v1, 24
	v_mul_lo_u32 v1, v1, 24
	v_add_u32_e32 v5, v7, v5
	s_waitcnt vmcnt(0)
	v_add_co_u32_e32 v12, vcc, v16, v1
	v_addc_co_u32_e32 v13, vcc, v17, v5, vcc
	global_load_dwordx2 v[32:33], v[12:13], off glc
	s_waitcnt vmcnt(0)
	global_atomic_cmpswap_x2 v[12:13], v39, v[32:35], s[16:17] offset:24 glc
	s_waitcnt vmcnt(0)
	buffer_invl2
	buffer_wbinvl1_vol
	v_cmp_ne_u64_e32 vcc, v[12:13], v[34:35]
	s_and_saveexec_b64 s[28:29], vcc
	s_cbranch_execz .LBB18_100
; %bb.97:                               ;   in Loop: Header=BB18_40 Depth=1
	s_mov_b64 s[30:31], 0
.LBB18_98:                              ;   Parent Loop BB18_40 Depth=1
                                        ; =>  This Inner Loop Header: Depth=2
	s_sleep 1
	global_load_dwordx2 v[16:17], v39, s[16:17] offset:40
	global_load_dwordx2 v[32:33], v39, s[16:17]
	v_pk_mov_b32 v[34:35], v[12:13], v[12:13] op_sel:[0,1]
	s_waitcnt vmcnt(1)
	v_and_b32_e32 v5, v16, v34
	s_waitcnt vmcnt(0)
	v_mad_u64_u32 v[12:13], s[34:35], v5, 24, v[32:33]
	v_and_b32_e32 v1, v17, v35
	v_mov_b32_e32 v16, v13
	v_mad_u64_u32 v[16:17], s[34:35], v1, 24, v[16:17]
	v_mov_b32_e32 v13, v16
	global_load_dwordx2 v[32:33], v[12:13], off glc
	s_waitcnt vmcnt(0)
	global_atomic_cmpswap_x2 v[12:13], v39, v[32:35], s[16:17] offset:24 glc
	s_waitcnt vmcnt(0)
	buffer_invl2
	buffer_wbinvl1_vol
	v_cmp_eq_u64_e32 vcc, v[12:13], v[34:35]
	s_or_b64 s[30:31], vcc, s[30:31]
	s_andn2_b64 exec, exec, s[30:31]
	s_cbranch_execnz .LBB18_98
; %bb.99:                               ;   in Loop: Header=BB18_40 Depth=1
	s_or_b64 exec, exec, s[30:31]
.LBB18_100:                             ;   in Loop: Header=BB18_40 Depth=1
	s_or_b64 exec, exec, s[28:29]
.LBB18_101:                             ;   in Loop: Header=BB18_40 Depth=1
	s_or_b64 exec, exec, s[24:25]
	global_load_dwordx2 v[16:17], v39, s[16:17] offset:40
	global_load_dwordx4 v[32:35], v39, s[16:17]
	v_readfirstlane_b32 s24, v12
	v_readfirstlane_b32 s25, v13
	s_mov_b64 s[28:29], exec
	s_waitcnt vmcnt(1)
	v_readfirstlane_b32 s30, v16
	v_readfirstlane_b32 s31, v17
	s_and_b64 s[30:31], s[24:25], s[30:31]
	s_mul_i32 s14, s31, 24
	s_mul_hi_u32 s33, s30, 24
	s_mul_i32 s34, s30, 24
	s_add_i32 s14, s33, s14
	v_mov_b32_e32 v1, s14
	s_waitcnt vmcnt(0)
	v_add_co_u32_e32 v40, vcc, s34, v32
	v_addc_co_u32_e32 v41, vcc, v33, v1, vcc
	s_and_saveexec_b64 s[34:35], s[4:5]
	s_cbranch_execz .LBB18_103
; %bb.102:                              ;   in Loop: Header=BB18_40 Depth=1
	v_pk_mov_b32 v[12:13], s[28:29], s[28:29] op_sel:[0,1]
	global_store_dwordx4 v[40:41], v[12:15], off offset:8
.LBB18_103:                             ;   in Loop: Header=BB18_40 Depth=1
	s_or_b64 exec, exec, s[34:35]
	s_lshl_b64 s[28:29], s[30:31], 12
	v_mov_b32_e32 v1, s29
	v_add_co_u32_e32 v34, vcc, s28, v34
	v_addc_co_u32_e32 v1, vcc, v35, v1, vcc
	v_or_b32_e32 v5, 0, v11
	v_or_b32_e32 v7, v10, v4
	v_cmp_gt_u64_e64 vcc, s[20:21], 56
	s_lshl_b32 s14, s22, 2
	v_cndmask_b32_e32 v17, v5, v11, vcc
	v_cndmask_b32_e32 v5, v7, v10, vcc
	s_add_i32 s14, s14, 28
	s_and_b32 s14, s14, 0x1e0
	v_and_b32_e32 v5, 0xffffff1f, v5
	v_or_b32_e32 v16, s14, v5
	v_readfirstlane_b32 s28, v34
	v_readfirstlane_b32 s29, v1
	s_nop 4
	global_store_dwordx4 v44, v[16:19], s[28:29]
	global_store_dwordx4 v44, v[20:23], s[28:29] offset:16
	global_store_dwordx4 v44, v[24:27], s[28:29] offset:32
	;; [unrolled: 1-line block ×3, first 2 shown]
	s_and_saveexec_b64 s[28:29], s[4:5]
	s_cbranch_execz .LBB18_111
; %bb.104:                              ;   in Loop: Header=BB18_40 Depth=1
	global_load_dwordx2 v[20:21], v39, s[16:17] offset:32 glc
	global_load_dwordx2 v[10:11], v39, s[16:17] offset:40
	v_mov_b32_e32 v18, s24
	v_mov_b32_e32 v19, s25
	s_waitcnt vmcnt(0)
	v_readfirstlane_b32 s30, v10
	v_readfirstlane_b32 s31, v11
	s_and_b64 s[30:31], s[30:31], s[24:25]
	s_mul_i32 s14, s31, 24
	s_mul_hi_u32 s31, s30, 24
	s_mul_i32 s30, s30, 24
	s_add_i32 s14, s31, s14
	v_mov_b32_e32 v5, s14
	v_add_co_u32_e32 v16, vcc, s30, v32
	v_addc_co_u32_e32 v17, vcc, v33, v5, vcc
	global_store_dwordx2 v[16:17], v[20:21], off
	buffer_wbl2
	s_waitcnt vmcnt(0)
	global_atomic_cmpswap_x2 v[12:13], v39, v[18:21], s[16:17] offset:32 glc
	s_waitcnt vmcnt(0)
	v_cmp_ne_u64_e32 vcc, v[12:13], v[20:21]
	s_and_saveexec_b64 s[30:31], vcc
	s_cbranch_execz .LBB18_107
; %bb.105:                              ;   in Loop: Header=BB18_40 Depth=1
	s_mov_b64 s[34:35], 0
.LBB18_106:                             ;   Parent Loop BB18_40 Depth=1
                                        ; =>  This Inner Loop Header: Depth=2
	s_sleep 1
	global_store_dwordx2 v[16:17], v[12:13], off
	v_mov_b32_e32 v10, s24
	v_mov_b32_e32 v11, s25
	buffer_wbl2
	s_waitcnt vmcnt(0)
	global_atomic_cmpswap_x2 v[10:11], v39, v[10:13], s[16:17] offset:32 glc
	s_waitcnt vmcnt(0)
	v_cmp_eq_u64_e32 vcc, v[10:11], v[12:13]
	s_or_b64 s[34:35], vcc, s[34:35]
	v_pk_mov_b32 v[12:13], v[10:11], v[10:11] op_sel:[0,1]
	s_andn2_b64 exec, exec, s[34:35]
	s_cbranch_execnz .LBB18_106
.LBB18_107:                             ;   in Loop: Header=BB18_40 Depth=1
	s_or_b64 exec, exec, s[30:31]
	global_load_dwordx2 v[10:11], v39, s[16:17] offset:16
	s_mov_b64 s[34:35], exec
	v_mbcnt_lo_u32_b32 v5, s34, 0
	v_mbcnt_hi_u32_b32 v5, s35, v5
	v_cmp_eq_u32_e32 vcc, 0, v5
	s_and_saveexec_b64 s[30:31], vcc
	s_cbranch_execz .LBB18_109
; %bb.108:                              ;   in Loop: Header=BB18_40 Depth=1
	s_bcnt1_i32_b64 s14, s[34:35]
	v_mov_b32_e32 v38, s14
	buffer_wbl2
	s_waitcnt vmcnt(0)
	global_atomic_add_x2 v[10:11], v[38:39], off offset:8
.LBB18_109:                             ;   in Loop: Header=BB18_40 Depth=1
	s_or_b64 exec, exec, s[30:31]
	s_waitcnt vmcnt(0)
	global_load_dwordx2 v[12:13], v[10:11], off offset:16
	s_waitcnt vmcnt(0)
	v_cmp_eq_u64_e32 vcc, 0, v[12:13]
	s_cbranch_vccnz .LBB18_111
; %bb.110:                              ;   in Loop: Header=BB18_40 Depth=1
	global_load_dword v38, v[10:11], off offset:24
	s_waitcnt vmcnt(0)
	v_and_b32_e32 v5, 0xffffff, v38
	v_readfirstlane_b32 m0, v5
	buffer_wbl2
	global_store_dwordx2 v[12:13], v[38:39], off
	s_sendmsg sendmsg(MSG_INTERRUPT)
.LBB18_111:                             ;   in Loop: Header=BB18_40 Depth=1
	s_or_b64 exec, exec, s[28:29]
	v_add_co_u32_e32 v10, vcc, v34, v44
	v_addc_co_u32_e32 v11, vcc, 0, v1, vcc
	s_branch .LBB18_115
.LBB18_112:                             ;   in Loop: Header=BB18_115 Depth=2
	s_or_b64 exec, exec, s[28:29]
	v_readfirstlane_b32 s14, v1
	s_cmp_eq_u32 s14, 0
	s_cbranch_scc1 .LBB18_114
; %bb.113:                              ;   in Loop: Header=BB18_115 Depth=2
	s_sleep 1
	s_cbranch_execnz .LBB18_115
	s_branch .LBB18_117
.LBB18_114:                             ;   in Loop: Header=BB18_40 Depth=1
	s_branch .LBB18_117
.LBB18_115:                             ;   Parent Loop BB18_40 Depth=1
                                        ; =>  This Inner Loop Header: Depth=2
	v_mov_b32_e32 v1, 1
	s_and_saveexec_b64 s[28:29], s[4:5]
	s_cbranch_execz .LBB18_112
; %bb.116:                              ;   in Loop: Header=BB18_115 Depth=2
	global_load_dword v1, v[40:41], off offset:20 glc
	s_waitcnt vmcnt(0)
	buffer_invl2
	buffer_wbinvl1_vol
	v_and_b32_e32 v1, 1, v1
	s_branch .LBB18_112
.LBB18_117:                             ;   in Loop: Header=BB18_40 Depth=1
	global_load_dwordx4 v[10:13], v[10:11], off
	s_and_saveexec_b64 s[28:29], s[4:5]
	s_cbranch_execz .LBB18_39
; %bb.118:                              ;   in Loop: Header=BB18_40 Depth=1
	global_load_dwordx2 v[12:13], v39, s[16:17] offset:40
	global_load_dwordx2 v[20:21], v39, s[16:17] offset:24 glc
	global_load_dwordx2 v[22:23], v39, s[16:17]
	v_mov_b32_e32 v1, s25
	s_waitcnt vmcnt(2)
	v_add_co_u32_e32 v5, vcc, 1, v12
	v_addc_co_u32_e32 v7, vcc, 0, v13, vcc
	v_add_co_u32_e32 v16, vcc, s24, v5
	v_addc_co_u32_e32 v17, vcc, v7, v1, vcc
	v_cmp_eq_u64_e32 vcc, 0, v[16:17]
	v_cndmask_b32_e32 v17, v17, v7, vcc
	v_cndmask_b32_e32 v16, v16, v5, vcc
	v_and_b32_e32 v1, v17, v13
	v_and_b32_e32 v5, v16, v12
	v_mul_lo_u32 v1, v1, 24
	v_mul_hi_u32 v7, v5, 24
	v_mul_lo_u32 v5, v5, 24
	v_add_u32_e32 v1, v7, v1
	s_waitcnt vmcnt(0)
	v_add_co_u32_e32 v12, vcc, v22, v5
	v_addc_co_u32_e32 v13, vcc, v23, v1, vcc
	v_mov_b32_e32 v18, v20
	global_store_dwordx2 v[12:13], v[20:21], off
	v_mov_b32_e32 v19, v21
	buffer_wbl2
	s_waitcnt vmcnt(0)
	global_atomic_cmpswap_x2 v[18:19], v39, v[16:19], s[16:17] offset:24 glc
	s_waitcnt vmcnt(0)
	v_cmp_ne_u64_e32 vcc, v[18:19], v[20:21]
	s_and_b64 exec, exec, vcc
	s_cbranch_execz .LBB18_39
; %bb.119:                              ;   in Loop: Header=BB18_40 Depth=1
	s_mov_b64 s[4:5], 0
.LBB18_120:                             ;   Parent Loop BB18_40 Depth=1
                                        ; =>  This Inner Loop Header: Depth=2
	s_sleep 1
	global_store_dwordx2 v[12:13], v[18:19], off
	buffer_wbl2
	s_waitcnt vmcnt(0)
	global_atomic_cmpswap_x2 v[20:21], v39, v[16:19], s[16:17] offset:24 glc
	s_waitcnt vmcnt(0)
	v_cmp_eq_u64_e32 vcc, v[20:21], v[18:19]
	s_or_b64 s[4:5], vcc, s[4:5]
	v_pk_mov_b32 v[18:19], v[20:21], v[20:21] op_sel:[0,1]
	s_andn2_b64 exec, exec, s[4:5]
	s_cbranch_execnz .LBB18_120
	s_branch .LBB18_39
.LBB18_121:
	s_branch .LBB18_149
.LBB18_122:
                                        ; implicit-def: $vgpr10_vgpr11
	s_cbranch_execz .LBB18_149
; %bb.123:
	v_readfirstlane_b32 s4, v3
	v_cmp_eq_u32_e64 s[4:5], s4, v3
	v_pk_mov_b32 v[4:5], 0, 0
	s_and_saveexec_b64 s[18:19], s[4:5]
	s_cbranch_execz .LBB18_129
; %bb.124:
	v_mov_b32_e32 v1, 0
	global_load_dwordx2 v[12:13], v1, s[16:17] offset:24 glc
	s_waitcnt vmcnt(0)
	buffer_invl2
	buffer_wbinvl1_vol
	global_load_dwordx2 v[4:5], v1, s[16:17] offset:40
	global_load_dwordx2 v[10:11], v1, s[16:17]
	s_waitcnt vmcnt(1)
	v_and_b32_e32 v4, v4, v12
	v_and_b32_e32 v5, v5, v13
	v_mul_lo_u32 v5, v5, 24
	v_mul_hi_u32 v7, v4, 24
	v_mul_lo_u32 v4, v4, 24
	v_add_u32_e32 v5, v7, v5
	s_waitcnt vmcnt(0)
	v_add_co_u32_e32 v4, vcc, v10, v4
	v_addc_co_u32_e32 v5, vcc, v11, v5, vcc
	global_load_dwordx2 v[10:11], v[4:5], off glc
	s_waitcnt vmcnt(0)
	global_atomic_cmpswap_x2 v[4:5], v1, v[10:13], s[16:17] offset:24 glc
	s_waitcnt vmcnt(0)
	buffer_invl2
	buffer_wbinvl1_vol
	v_cmp_ne_u64_e32 vcc, v[4:5], v[12:13]
	s_and_saveexec_b64 s[20:21], vcc
	s_cbranch_execz .LBB18_128
; %bb.125:
	s_mov_b64 s[22:23], 0
.LBB18_126:                             ; =>This Inner Loop Header: Depth=1
	s_sleep 1
	global_load_dwordx2 v[10:11], v1, s[16:17] offset:40
	global_load_dwordx2 v[14:15], v1, s[16:17]
	v_pk_mov_b32 v[12:13], v[4:5], v[4:5] op_sel:[0,1]
	s_waitcnt vmcnt(1)
	v_and_b32_e32 v4, v10, v12
	s_waitcnt vmcnt(0)
	v_mad_u64_u32 v[4:5], s[24:25], v4, 24, v[14:15]
	v_and_b32_e32 v7, v11, v13
	v_mov_b32_e32 v10, v5
	v_mad_u64_u32 v[10:11], s[24:25], v7, 24, v[10:11]
	v_mov_b32_e32 v5, v10
	global_load_dwordx2 v[10:11], v[4:5], off glc
	s_waitcnt vmcnt(0)
	global_atomic_cmpswap_x2 v[4:5], v1, v[10:13], s[16:17] offset:24 glc
	s_waitcnt vmcnt(0)
	buffer_invl2
	buffer_wbinvl1_vol
	v_cmp_eq_u64_e32 vcc, v[4:5], v[12:13]
	s_or_b64 s[22:23], vcc, s[22:23]
	s_andn2_b64 exec, exec, s[22:23]
	s_cbranch_execnz .LBB18_126
; %bb.127:
	s_or_b64 exec, exec, s[22:23]
.LBB18_128:
	s_or_b64 exec, exec, s[20:21]
.LBB18_129:
	s_or_b64 exec, exec, s[18:19]
	s_waitcnt vmcnt(0)
	v_mov_b32_e32 v10, 0
	global_load_dwordx2 v[16:17], v10, s[16:17] offset:40
	global_load_dwordx4 v[12:15], v10, s[16:17]
	v_readfirstlane_b32 s18, v4
	v_readfirstlane_b32 s19, v5
	s_mov_b64 s[20:21], exec
	s_waitcnt vmcnt(1)
	v_readfirstlane_b32 s22, v16
	v_readfirstlane_b32 s23, v17
	s_and_b64 s[22:23], s[18:19], s[22:23]
	s_mul_i32 s14, s23, 24
	s_mul_hi_u32 s24, s22, 24
	s_mul_i32 s25, s22, 24
	s_add_i32 s14, s24, s14
	v_mov_b32_e32 v1, s14
	s_waitcnt vmcnt(0)
	v_add_co_u32_e32 v4, vcc, s25, v12
	v_addc_co_u32_e32 v5, vcc, v13, v1, vcc
	s_and_saveexec_b64 s[24:25], s[4:5]
	s_cbranch_execz .LBB18_131
; %bb.130:
	v_pk_mov_b32 v[16:17], s[20:21], s[20:21] op_sel:[0,1]
	v_mov_b32_e32 v18, 2
	v_mov_b32_e32 v19, 1
	global_store_dwordx4 v[4:5], v[16:19], off offset:8
.LBB18_131:
	s_or_b64 exec, exec, s[24:25]
	s_lshl_b64 s[20:21], s[22:23], 12
	v_mov_b32_e32 v1, s21
	v_add_co_u32_e32 v16, vcc, s20, v14
	v_addc_co_u32_e32 v1, vcc, v15, v1, vcc
	s_movk_i32 s14, 0xff1f
	s_mov_b32 s20, 0
	v_and_or_b32 v8, v8, s14, 32
	v_mov_b32_e32 v11, v10
	v_readfirstlane_b32 s24, v16
	v_readfirstlane_b32 s25, v1
	s_mov_b32 s21, s20
	v_add_co_u32_e32 v14, vcc, v16, v44
	s_mov_b32 s22, s20
	s_mov_b32 s23, s20
	s_nop 0
	global_store_dwordx4 v44, v[8:11], s[24:25]
	v_addc_co_u32_e32 v15, vcc, 0, v1, vcc
	v_pk_mov_b32 v[8:9], s[20:21], s[20:21] op_sel:[0,1]
	v_pk_mov_b32 v[10:11], s[22:23], s[22:23] op_sel:[0,1]
	global_store_dwordx4 v44, v[8:11], s[24:25] offset:16
	global_store_dwordx4 v44, v[8:11], s[24:25] offset:32
	;; [unrolled: 1-line block ×3, first 2 shown]
	s_and_saveexec_b64 s[20:21], s[4:5]
	s_cbranch_execz .LBB18_139
; %bb.132:
	v_mov_b32_e32 v1, 0
	global_load_dwordx2 v[18:19], v1, s[16:17] offset:32 glc
	global_load_dwordx2 v[8:9], v1, s[16:17] offset:40
	v_mov_b32_e32 v16, s18
	v_mov_b32_e32 v17, s19
	s_waitcnt vmcnt(0)
	v_readfirstlane_b32 s22, v8
	v_readfirstlane_b32 s23, v9
	s_and_b64 s[22:23], s[22:23], s[18:19]
	s_mul_i32 s14, s23, 24
	s_mul_hi_u32 s23, s22, 24
	s_mul_i32 s22, s22, 24
	s_add_i32 s14, s23, s14
	v_mov_b32_e32 v7, s14
	v_add_co_u32_e32 v12, vcc, s22, v12
	v_addc_co_u32_e32 v13, vcc, v13, v7, vcc
	global_store_dwordx2 v[12:13], v[18:19], off
	buffer_wbl2
	s_waitcnt vmcnt(0)
	global_atomic_cmpswap_x2 v[10:11], v1, v[16:19], s[16:17] offset:32 glc
	s_waitcnt vmcnt(0)
	v_cmp_ne_u64_e32 vcc, v[10:11], v[18:19]
	s_and_saveexec_b64 s[22:23], vcc
	s_cbranch_execz .LBB18_135
; %bb.133:
	s_mov_b64 s[24:25], 0
.LBB18_134:                             ; =>This Inner Loop Header: Depth=1
	s_sleep 1
	global_store_dwordx2 v[12:13], v[10:11], off
	v_mov_b32_e32 v8, s18
	v_mov_b32_e32 v9, s19
	buffer_wbl2
	s_waitcnt vmcnt(0)
	global_atomic_cmpswap_x2 v[8:9], v1, v[8:11], s[16:17] offset:32 glc
	s_waitcnt vmcnt(0)
	v_cmp_eq_u64_e32 vcc, v[8:9], v[10:11]
	s_or_b64 s[24:25], vcc, s[24:25]
	v_pk_mov_b32 v[10:11], v[8:9], v[8:9] op_sel:[0,1]
	s_andn2_b64 exec, exec, s[24:25]
	s_cbranch_execnz .LBB18_134
.LBB18_135:
	s_or_b64 exec, exec, s[22:23]
	v_mov_b32_e32 v11, 0
	global_load_dwordx2 v[8:9], v11, s[16:17] offset:16
	s_mov_b64 s[22:23], exec
	v_mbcnt_lo_u32_b32 v1, s22, 0
	v_mbcnt_hi_u32_b32 v1, s23, v1
	v_cmp_eq_u32_e32 vcc, 0, v1
	s_and_saveexec_b64 s[24:25], vcc
	s_cbranch_execz .LBB18_137
; %bb.136:
	s_bcnt1_i32_b64 s14, s[22:23]
	v_mov_b32_e32 v10, s14
	buffer_wbl2
	s_waitcnt vmcnt(0)
	global_atomic_add_x2 v[8:9], v[10:11], off offset:8
.LBB18_137:
	s_or_b64 exec, exec, s[24:25]
	s_waitcnt vmcnt(0)
	global_load_dwordx2 v[10:11], v[8:9], off offset:16
	s_waitcnt vmcnt(0)
	v_cmp_eq_u64_e32 vcc, 0, v[10:11]
	s_cbranch_vccnz .LBB18_139
; %bb.138:
	global_load_dword v8, v[8:9], off offset:24
	v_mov_b32_e32 v9, 0
	s_waitcnt vmcnt(0)
	v_and_b32_e32 v1, 0xffffff, v8
	v_readfirstlane_b32 m0, v1
	buffer_wbl2
	global_store_dwordx2 v[10:11], v[8:9], off
	s_sendmsg sendmsg(MSG_INTERRUPT)
.LBB18_139:
	s_or_b64 exec, exec, s[20:21]
	s_branch .LBB18_143
.LBB18_140:                             ;   in Loop: Header=BB18_143 Depth=1
	s_or_b64 exec, exec, s[20:21]
	v_readfirstlane_b32 s14, v1
	s_cmp_eq_u32 s14, 0
	s_cbranch_scc1 .LBB18_142
; %bb.141:                              ;   in Loop: Header=BB18_143 Depth=1
	s_sleep 1
	s_cbranch_execnz .LBB18_143
	s_branch .LBB18_145
.LBB18_142:
	s_branch .LBB18_145
.LBB18_143:                             ; =>This Inner Loop Header: Depth=1
	v_mov_b32_e32 v1, 1
	s_and_saveexec_b64 s[20:21], s[4:5]
	s_cbranch_execz .LBB18_140
; %bb.144:                              ;   in Loop: Header=BB18_143 Depth=1
	global_load_dword v1, v[4:5], off offset:20 glc
	s_waitcnt vmcnt(0)
	buffer_invl2
	buffer_wbinvl1_vol
	v_and_b32_e32 v1, 1, v1
	s_branch .LBB18_140
.LBB18_145:
	global_load_dwordx2 v[10:11], v[14:15], off
	s_and_saveexec_b64 s[20:21], s[4:5]
	s_cbranch_execz .LBB18_148
; %bb.146:
	v_mov_b32_e32 v1, 0
	global_load_dwordx2 v[4:5], v1, s[16:17] offset:40
	global_load_dwordx2 v[8:9], v1, s[16:17] offset:24 glc
	global_load_dwordx2 v[16:17], v1, s[16:17]
	v_mov_b32_e32 v7, s19
	s_mov_b64 s[4:5], 0
	s_waitcnt vmcnt(2)
	v_add_co_u32_e32 v15, vcc, 1, v4
	v_addc_co_u32_e32 v18, vcc, 0, v5, vcc
	v_add_co_u32_e32 v12, vcc, s18, v15
	v_addc_co_u32_e32 v13, vcc, v18, v7, vcc
	v_cmp_eq_u64_e32 vcc, 0, v[12:13]
	v_cndmask_b32_e32 v13, v13, v18, vcc
	v_cndmask_b32_e32 v12, v12, v15, vcc
	v_and_b32_e32 v5, v13, v5
	v_and_b32_e32 v4, v12, v4
	v_mul_lo_u32 v5, v5, 24
	v_mul_hi_u32 v7, v4, 24
	v_mul_lo_u32 v4, v4, 24
	v_add_u32_e32 v5, v7, v5
	s_waitcnt vmcnt(0)
	v_add_co_u32_e32 v4, vcc, v16, v4
	v_addc_co_u32_e32 v5, vcc, v17, v5, vcc
	v_mov_b32_e32 v14, v8
	global_store_dwordx2 v[4:5], v[8:9], off
	v_mov_b32_e32 v15, v9
	buffer_wbl2
	s_waitcnt vmcnt(0)
	global_atomic_cmpswap_x2 v[14:15], v1, v[12:15], s[16:17] offset:24 glc
	s_waitcnt vmcnt(0)
	v_cmp_ne_u64_e32 vcc, v[14:15], v[8:9]
	s_and_b64 exec, exec, vcc
	s_cbranch_execz .LBB18_148
.LBB18_147:                             ; =>This Inner Loop Header: Depth=1
	s_sleep 1
	global_store_dwordx2 v[4:5], v[14:15], off
	buffer_wbl2
	s_waitcnt vmcnt(0)
	global_atomic_cmpswap_x2 v[8:9], v1, v[12:15], s[16:17] offset:24 glc
	s_waitcnt vmcnt(0)
	v_cmp_eq_u64_e32 vcc, v[8:9], v[14:15]
	s_or_b64 s[4:5], vcc, s[4:5]
	v_pk_mov_b32 v[14:15], v[8:9], v[8:9] op_sel:[0,1]
	s_andn2_b64 exec, exec, s[4:5]
	s_cbranch_execnz .LBB18_147
.LBB18_148:
	s_or_b64 exec, exec, s[20:21]
.LBB18_149:
	v_readfirstlane_b32 s4, v3
	v_cmp_eq_u32_e64 s[4:5], s4, v3
	v_pk_mov_b32 v[4:5], 0, 0
	s_and_saveexec_b64 s[18:19], s[4:5]
	s_cbranch_execz .LBB18_155
; %bb.150:
	v_mov_b32_e32 v1, 0
	global_load_dwordx2 v[14:15], v1, s[16:17] offset:24 glc
	s_waitcnt vmcnt(0)
	buffer_invl2
	buffer_wbinvl1_vol
	global_load_dwordx2 v[4:5], v1, s[16:17] offset:40
	global_load_dwordx2 v[8:9], v1, s[16:17]
	s_waitcnt vmcnt(1)
	v_and_b32_e32 v4, v4, v14
	v_and_b32_e32 v5, v5, v15
	v_mul_lo_u32 v5, v5, 24
	v_mul_hi_u32 v7, v4, 24
	v_mul_lo_u32 v4, v4, 24
	v_add_u32_e32 v5, v7, v5
	s_waitcnt vmcnt(0)
	v_add_co_u32_e32 v4, vcc, v8, v4
	v_addc_co_u32_e32 v5, vcc, v9, v5, vcc
	global_load_dwordx2 v[12:13], v[4:5], off glc
	s_waitcnt vmcnt(0)
	global_atomic_cmpswap_x2 v[4:5], v1, v[12:15], s[16:17] offset:24 glc
	s_waitcnt vmcnt(0)
	buffer_invl2
	buffer_wbinvl1_vol
	v_cmp_ne_u64_e32 vcc, v[4:5], v[14:15]
	s_and_saveexec_b64 s[20:21], vcc
	s_cbranch_execz .LBB18_154
; %bb.151:
	s_mov_b64 s[22:23], 0
.LBB18_152:                             ; =>This Inner Loop Header: Depth=1
	s_sleep 1
	global_load_dwordx2 v[8:9], v1, s[16:17] offset:40
	global_load_dwordx2 v[12:13], v1, s[16:17]
	v_pk_mov_b32 v[14:15], v[4:5], v[4:5] op_sel:[0,1]
	s_waitcnt vmcnt(1)
	v_and_b32_e32 v4, v8, v14
	s_waitcnt vmcnt(0)
	v_mad_u64_u32 v[4:5], s[24:25], v4, 24, v[12:13]
	v_and_b32_e32 v7, v9, v15
	v_mov_b32_e32 v8, v5
	v_mad_u64_u32 v[8:9], s[24:25], v7, 24, v[8:9]
	v_mov_b32_e32 v5, v8
	global_load_dwordx2 v[12:13], v[4:5], off glc
	s_waitcnt vmcnt(0)
	global_atomic_cmpswap_x2 v[4:5], v1, v[12:15], s[16:17] offset:24 glc
	s_waitcnt vmcnt(0)
	buffer_invl2
	buffer_wbinvl1_vol
	v_cmp_eq_u64_e32 vcc, v[4:5], v[14:15]
	s_or_b64 s[22:23], vcc, s[22:23]
	s_andn2_b64 exec, exec, s[22:23]
	s_cbranch_execnz .LBB18_152
; %bb.153:
	s_or_b64 exec, exec, s[22:23]
.LBB18_154:
	s_or_b64 exec, exec, s[20:21]
.LBB18_155:
	s_or_b64 exec, exec, s[18:19]
	s_waitcnt vmcnt(0)
	v_mov_b32_e32 v13, 0
	global_load_dwordx2 v[8:9], v13, s[16:17] offset:40
	global_load_dwordx4 v[14:17], v13, s[16:17]
	v_readfirstlane_b32 s18, v4
	v_readfirstlane_b32 s19, v5
	s_mov_b64 s[20:21], exec
	s_waitcnt vmcnt(1)
	v_readfirstlane_b32 s22, v8
	v_readfirstlane_b32 s23, v9
	s_and_b64 s[22:23], s[18:19], s[22:23]
	s_mul_i32 s14, s23, 24
	s_mul_hi_u32 s24, s22, 24
	s_mul_i32 s25, s22, 24
	s_add_i32 s14, s24, s14
	v_mov_b32_e32 v1, s14
	s_waitcnt vmcnt(0)
	v_add_co_u32_e32 v4, vcc, s25, v14
	v_addc_co_u32_e32 v5, vcc, v15, v1, vcc
	s_and_saveexec_b64 s[24:25], s[4:5]
	s_cbranch_execz .LBB18_157
; %bb.156:
	v_pk_mov_b32 v[18:19], s[20:21], s[20:21] op_sel:[0,1]
	v_mov_b32_e32 v20, 2
	v_mov_b32_e32 v21, 1
	global_store_dwordx4 v[4:5], v[18:21], off offset:8
.LBB18_157:
	s_or_b64 exec, exec, s[24:25]
	s_lshl_b64 s[20:21], s[22:23], 12
	v_mov_b32_e32 v1, s21
	v_add_co_u32_e32 v8, vcc, s20, v16
	v_addc_co_u32_e32 v1, vcc, v17, v1, vcc
	s_mov_b32 s20, 0
	s_movk_i32 s14, 0xff1f
	v_and_or_b32 v10, v10, s14, 32
	v_mov_b32_e32 v12, v0
	v_readfirstlane_b32 s24, v8
	v_readfirstlane_b32 s25, v1
	s_mov_b32 s21, s20
	v_add_co_u32_e32 v16, vcc, v8, v44
	s_mov_b32 s22, s20
	s_mov_b32 s23, s20
	s_nop 0
	global_store_dwordx4 v44, v[10:13], s[24:25]
	v_pk_mov_b32 v[8:9], s[20:21], s[20:21] op_sel:[0,1]
	v_addc_co_u32_e32 v17, vcc, 0, v1, vcc
	v_pk_mov_b32 v[10:11], s[22:23], s[22:23] op_sel:[0,1]
	global_store_dwordx4 v44, v[8:11], s[24:25] offset:16
	global_store_dwordx4 v44, v[8:11], s[24:25] offset:32
	;; [unrolled: 1-line block ×3, first 2 shown]
	s_and_saveexec_b64 s[20:21], s[4:5]
	s_cbranch_execz .LBB18_165
; %bb.158:
	v_mov_b32_e32 v7, 0
	global_load_dwordx2 v[12:13], v7, s[16:17] offset:32 glc
	global_load_dwordx2 v[0:1], v7, s[16:17] offset:40
	v_mov_b32_e32 v10, s18
	v_mov_b32_e32 v11, s19
	s_waitcnt vmcnt(0)
	v_readfirstlane_b32 s22, v0
	v_readfirstlane_b32 s23, v1
	s_and_b64 s[22:23], s[22:23], s[18:19]
	s_mul_i32 s14, s23, 24
	s_mul_hi_u32 s23, s22, 24
	s_mul_i32 s22, s22, 24
	s_add_i32 s14, s23, s14
	v_mov_b32_e32 v1, s14
	v_add_co_u32_e32 v0, vcc, s22, v14
	v_addc_co_u32_e32 v1, vcc, v15, v1, vcc
	global_store_dwordx2 v[0:1], v[12:13], off
	buffer_wbl2
	s_waitcnt vmcnt(0)
	global_atomic_cmpswap_x2 v[10:11], v7, v[10:13], s[16:17] offset:32 glc
	s_waitcnt vmcnt(0)
	v_cmp_ne_u64_e32 vcc, v[10:11], v[12:13]
	s_and_saveexec_b64 s[22:23], vcc
	s_cbranch_execz .LBB18_161
; %bb.159:
	s_mov_b64 s[24:25], 0
.LBB18_160:                             ; =>This Inner Loop Header: Depth=1
	s_sleep 1
	global_store_dwordx2 v[0:1], v[10:11], off
	v_mov_b32_e32 v8, s18
	v_mov_b32_e32 v9, s19
	buffer_wbl2
	s_waitcnt vmcnt(0)
	global_atomic_cmpswap_x2 v[8:9], v7, v[8:11], s[16:17] offset:32 glc
	s_waitcnt vmcnt(0)
	v_cmp_eq_u64_e32 vcc, v[8:9], v[10:11]
	s_or_b64 s[24:25], vcc, s[24:25]
	v_pk_mov_b32 v[10:11], v[8:9], v[8:9] op_sel:[0,1]
	s_andn2_b64 exec, exec, s[24:25]
	s_cbranch_execnz .LBB18_160
.LBB18_161:
	s_or_b64 exec, exec, s[22:23]
	v_mov_b32_e32 v9, 0
	global_load_dwordx2 v[0:1], v9, s[16:17] offset:16
	s_mov_b64 s[22:23], exec
	v_mbcnt_lo_u32_b32 v7, s22, 0
	v_mbcnt_hi_u32_b32 v7, s23, v7
	v_cmp_eq_u32_e32 vcc, 0, v7
	s_and_saveexec_b64 s[24:25], vcc
	s_cbranch_execz .LBB18_163
; %bb.162:
	s_bcnt1_i32_b64 s14, s[22:23]
	v_mov_b32_e32 v8, s14
	buffer_wbl2
	s_waitcnt vmcnt(0)
	global_atomic_add_x2 v[0:1], v[8:9], off offset:8
.LBB18_163:
	s_or_b64 exec, exec, s[24:25]
	s_waitcnt vmcnt(0)
	global_load_dwordx2 v[8:9], v[0:1], off offset:16
	s_waitcnt vmcnt(0)
	v_cmp_eq_u64_e32 vcc, 0, v[8:9]
	s_cbranch_vccnz .LBB18_165
; %bb.164:
	global_load_dword v0, v[0:1], off offset:24
	v_mov_b32_e32 v1, 0
	buffer_wbl2
	s_waitcnt vmcnt(0)
	global_store_dwordx2 v[8:9], v[0:1], off
	v_and_b32_e32 v0, 0xffffff, v0
	v_readfirstlane_b32 m0, v0
	s_sendmsg sendmsg(MSG_INTERRUPT)
.LBB18_165:
	s_or_b64 exec, exec, s[20:21]
	s_branch .LBB18_169
.LBB18_166:                             ;   in Loop: Header=BB18_169 Depth=1
	s_or_b64 exec, exec, s[20:21]
	v_readfirstlane_b32 s14, v0
	s_cmp_eq_u32 s14, 0
	s_cbranch_scc1 .LBB18_168
; %bb.167:                              ;   in Loop: Header=BB18_169 Depth=1
	s_sleep 1
	s_cbranch_execnz .LBB18_169
	s_branch .LBB18_171
.LBB18_168:
	s_branch .LBB18_171
.LBB18_169:                             ; =>This Inner Loop Header: Depth=1
	v_mov_b32_e32 v0, 1
	s_and_saveexec_b64 s[20:21], s[4:5]
	s_cbranch_execz .LBB18_166
; %bb.170:                              ;   in Loop: Header=BB18_169 Depth=1
	global_load_dword v0, v[4:5], off offset:20 glc
	s_waitcnt vmcnt(0)
	buffer_invl2
	buffer_wbinvl1_vol
	v_and_b32_e32 v0, 1, v0
	s_branch .LBB18_166
.LBB18_171:
	global_load_dwordx2 v[4:5], v[16:17], off
	s_and_saveexec_b64 s[20:21], s[4:5]
	s_cbranch_execz .LBB18_174
; %bb.172:
	v_mov_b32_e32 v7, 0
	global_load_dwordx2 v[0:1], v7, s[16:17] offset:40
	global_load_dwordx2 v[12:13], v7, s[16:17] offset:24 glc
	global_load_dwordx2 v[14:15], v7, s[16:17]
	v_mov_b32_e32 v9, s19
	s_mov_b64 s[4:5], 0
	s_waitcnt vmcnt(2)
	v_add_co_u32_e32 v11, vcc, 1, v0
	v_addc_co_u32_e32 v16, vcc, 0, v1, vcc
	v_add_co_u32_e32 v8, vcc, s18, v11
	v_addc_co_u32_e32 v9, vcc, v16, v9, vcc
	v_cmp_eq_u64_e32 vcc, 0, v[8:9]
	v_cndmask_b32_e32 v9, v9, v16, vcc
	v_cndmask_b32_e32 v8, v8, v11, vcc
	v_and_b32_e32 v1, v9, v1
	v_and_b32_e32 v0, v8, v0
	v_mul_lo_u32 v1, v1, 24
	v_mul_hi_u32 v11, v0, 24
	v_mul_lo_u32 v0, v0, 24
	v_add_u32_e32 v1, v11, v1
	s_waitcnt vmcnt(0)
	v_add_co_u32_e32 v0, vcc, v14, v0
	v_addc_co_u32_e32 v1, vcc, v15, v1, vcc
	v_mov_b32_e32 v10, v12
	global_store_dwordx2 v[0:1], v[12:13], off
	v_mov_b32_e32 v11, v13
	buffer_wbl2
	s_waitcnt vmcnt(0)
	global_atomic_cmpswap_x2 v[10:11], v7, v[8:11], s[16:17] offset:24 glc
	s_waitcnt vmcnt(0)
	v_cmp_ne_u64_e32 vcc, v[10:11], v[12:13]
	s_and_b64 exec, exec, vcc
	s_cbranch_execz .LBB18_174
.LBB18_173:                             ; =>This Inner Loop Header: Depth=1
	s_sleep 1
	global_store_dwordx2 v[0:1], v[10:11], off
	buffer_wbl2
	s_waitcnt vmcnt(0)
	global_atomic_cmpswap_x2 v[12:13], v7, v[8:11], s[16:17] offset:24 glc
	s_waitcnt vmcnt(0)
	v_cmp_eq_u64_e32 vcc, v[12:13], v[10:11]
	s_or_b64 s[4:5], vcc, s[4:5]
	v_pk_mov_b32 v[10:11], v[12:13], v[12:13] op_sel:[0,1]
	s_andn2_b64 exec, exec, s[4:5]
	s_cbranch_execnz .LBB18_173
.LBB18_174:
	s_or_b64 exec, exec, s[20:21]
	v_readfirstlane_b32 s4, v3
	v_cmp_eq_u32_e64 s[4:5], s4, v3
	v_pk_mov_b32 v[0:1], 0, 0
	s_and_saveexec_b64 s[18:19], s[4:5]
	s_cbranch_execz .LBB18_180
; %bb.175:
	v_mov_b32_e32 v7, 0
	global_load_dwordx2 v[10:11], v7, s[16:17] offset:24 glc
	s_waitcnt vmcnt(0)
	buffer_invl2
	buffer_wbinvl1_vol
	global_load_dwordx2 v[0:1], v7, s[16:17] offset:40
	global_load_dwordx2 v[8:9], v7, s[16:17]
	s_waitcnt vmcnt(1)
	v_and_b32_e32 v0, v0, v10
	v_and_b32_e32 v1, v1, v11
	v_mul_lo_u32 v1, v1, 24
	v_mul_hi_u32 v12, v0, 24
	v_mul_lo_u32 v0, v0, 24
	v_add_u32_e32 v1, v12, v1
	s_waitcnt vmcnt(0)
	v_add_co_u32_e32 v0, vcc, v8, v0
	v_addc_co_u32_e32 v1, vcc, v9, v1, vcc
	global_load_dwordx2 v[8:9], v[0:1], off glc
	s_waitcnt vmcnt(0)
	global_atomic_cmpswap_x2 v[0:1], v7, v[8:11], s[16:17] offset:24 glc
	s_waitcnt vmcnt(0)
	buffer_invl2
	buffer_wbinvl1_vol
	v_cmp_ne_u64_e32 vcc, v[0:1], v[10:11]
	s_and_saveexec_b64 s[20:21], vcc
	s_cbranch_execz .LBB18_179
; %bb.176:
	s_mov_b64 s[22:23], 0
.LBB18_177:                             ; =>This Inner Loop Header: Depth=1
	s_sleep 1
	global_load_dwordx2 v[8:9], v7, s[16:17] offset:40
	global_load_dwordx2 v[12:13], v7, s[16:17]
	v_pk_mov_b32 v[10:11], v[0:1], v[0:1] op_sel:[0,1]
	s_waitcnt vmcnt(1)
	v_and_b32_e32 v0, v8, v10
	s_waitcnt vmcnt(0)
	v_mad_u64_u32 v[0:1], s[24:25], v0, 24, v[12:13]
	v_and_b32_e32 v9, v9, v11
	v_mov_b32_e32 v8, v1
	v_mad_u64_u32 v[8:9], s[24:25], v9, 24, v[8:9]
	v_mov_b32_e32 v1, v8
	global_load_dwordx2 v[8:9], v[0:1], off glc
	s_waitcnt vmcnt(0)
	global_atomic_cmpswap_x2 v[0:1], v7, v[8:11], s[16:17] offset:24 glc
	s_waitcnt vmcnt(0)
	buffer_invl2
	buffer_wbinvl1_vol
	v_cmp_eq_u64_e32 vcc, v[0:1], v[10:11]
	s_or_b64 s[22:23], vcc, s[22:23]
	s_andn2_b64 exec, exec, s[22:23]
	s_cbranch_execnz .LBB18_177
; %bb.178:
	s_or_b64 exec, exec, s[22:23]
.LBB18_179:
	s_or_b64 exec, exec, s[20:21]
.LBB18_180:
	s_or_b64 exec, exec, s[18:19]
	v_mov_b32_e32 v7, 0
	global_load_dwordx2 v[12:13], v7, s[16:17] offset:40
	global_load_dwordx4 v[8:11], v7, s[16:17]
	v_readfirstlane_b32 s18, v0
	v_readfirstlane_b32 s19, v1
	s_mov_b64 s[20:21], exec
	s_waitcnt vmcnt(1)
	v_readfirstlane_b32 s22, v12
	v_readfirstlane_b32 s23, v13
	s_and_b64 s[22:23], s[18:19], s[22:23]
	s_mul_i32 s14, s23, 24
	s_mul_hi_u32 s24, s22, 24
	s_mul_i32 s25, s22, 24
	s_add_i32 s14, s24, s14
	v_mov_b32_e32 v1, s14
	s_waitcnt vmcnt(0)
	v_add_co_u32_e32 v0, vcc, s25, v8
	v_addc_co_u32_e32 v1, vcc, v9, v1, vcc
	s_and_saveexec_b64 s[24:25], s[4:5]
	s_cbranch_execz .LBB18_182
; %bb.181:
	v_pk_mov_b32 v[12:13], s[20:21], s[20:21] op_sel:[0,1]
	v_mov_b32_e32 v14, 2
	v_mov_b32_e32 v15, 1
	global_store_dwordx4 v[0:1], v[12:15], off offset:8
.LBB18_182:
	s_or_b64 exec, exec, s[24:25]
	s_lshl_b64 s[20:21], s[22:23], 12
	v_mov_b32_e32 v13, s21
	v_add_co_u32_e32 v12, vcc, s20, v10
	v_addc_co_u32_e32 v13, vcc, v11, v13, vcc
	s_mov_b32 s20, 0
	s_movk_i32 s14, 0xff1f
	v_and_or_b32 v4, v4, s14, 32
	v_readfirstlane_b32 s24, v12
	v_readfirstlane_b32 s25, v13
	s_mov_b32 s21, s20
	v_add_co_u32_e32 v10, vcc, v12, v44
	s_mov_b32 s22, s20
	s_mov_b32 s23, s20
	s_nop 0
	global_store_dwordx4 v44, v[4:7], s[24:25]
	v_addc_co_u32_e32 v11, vcc, 0, v13, vcc
	v_pk_mov_b32 v[4:5], s[20:21], s[20:21] op_sel:[0,1]
	v_pk_mov_b32 v[6:7], s[22:23], s[22:23] op_sel:[0,1]
	global_store_dwordx4 v44, v[4:7], s[24:25] offset:16
	global_store_dwordx4 v44, v[4:7], s[24:25] offset:32
	;; [unrolled: 1-line block ×3, first 2 shown]
	s_and_saveexec_b64 s[20:21], s[4:5]
	s_cbranch_execz .LBB18_190
; %bb.183:
	v_mov_b32_e32 v12, 0
	global_load_dwordx2 v[16:17], v12, s[16:17] offset:32 glc
	global_load_dwordx2 v[4:5], v12, s[16:17] offset:40
	v_mov_b32_e32 v14, s18
	v_mov_b32_e32 v15, s19
	s_waitcnt vmcnt(0)
	v_readfirstlane_b32 s22, v4
	v_readfirstlane_b32 s23, v5
	s_and_b64 s[22:23], s[22:23], s[18:19]
	s_mul_i32 s14, s23, 24
	s_mul_hi_u32 s23, s22, 24
	s_mul_i32 s22, s22, 24
	s_add_i32 s14, s23, s14
	v_mov_b32_e32 v4, s14
	v_add_co_u32_e32 v8, vcc, s22, v8
	v_addc_co_u32_e32 v9, vcc, v9, v4, vcc
	global_store_dwordx2 v[8:9], v[16:17], off
	buffer_wbl2
	s_waitcnt vmcnt(0)
	global_atomic_cmpswap_x2 v[6:7], v12, v[14:17], s[16:17] offset:32 glc
	s_waitcnt vmcnt(0)
	v_cmp_ne_u64_e32 vcc, v[6:7], v[16:17]
	s_and_saveexec_b64 s[22:23], vcc
	s_cbranch_execz .LBB18_186
; %bb.184:
	s_mov_b64 s[24:25], 0
.LBB18_185:                             ; =>This Inner Loop Header: Depth=1
	s_sleep 1
	global_store_dwordx2 v[8:9], v[6:7], off
	v_mov_b32_e32 v4, s18
	v_mov_b32_e32 v5, s19
	buffer_wbl2
	s_waitcnt vmcnt(0)
	global_atomic_cmpswap_x2 v[4:5], v12, v[4:7], s[16:17] offset:32 glc
	s_waitcnt vmcnt(0)
	v_cmp_eq_u64_e32 vcc, v[4:5], v[6:7]
	s_or_b64 s[24:25], vcc, s[24:25]
	v_pk_mov_b32 v[6:7], v[4:5], v[4:5] op_sel:[0,1]
	s_andn2_b64 exec, exec, s[24:25]
	s_cbranch_execnz .LBB18_185
.LBB18_186:
	s_or_b64 exec, exec, s[22:23]
	v_mov_b32_e32 v7, 0
	global_load_dwordx2 v[4:5], v7, s[16:17] offset:16
	s_mov_b64 s[22:23], exec
	v_mbcnt_lo_u32_b32 v6, s22, 0
	v_mbcnt_hi_u32_b32 v6, s23, v6
	v_cmp_eq_u32_e32 vcc, 0, v6
	s_and_saveexec_b64 s[24:25], vcc
	s_cbranch_execz .LBB18_188
; %bb.187:
	s_bcnt1_i32_b64 s14, s[22:23]
	v_mov_b32_e32 v6, s14
	buffer_wbl2
	s_waitcnt vmcnt(0)
	global_atomic_add_x2 v[4:5], v[6:7], off offset:8
.LBB18_188:
	s_or_b64 exec, exec, s[24:25]
	s_waitcnt vmcnt(0)
	global_load_dwordx2 v[6:7], v[4:5], off offset:16
	s_waitcnt vmcnt(0)
	v_cmp_eq_u64_e32 vcc, 0, v[6:7]
	s_cbranch_vccnz .LBB18_190
; %bb.189:
	global_load_dword v4, v[4:5], off offset:24
	v_mov_b32_e32 v5, 0
	buffer_wbl2
	s_waitcnt vmcnt(0)
	global_store_dwordx2 v[6:7], v[4:5], off
	v_and_b32_e32 v4, 0xffffff, v4
	v_readfirstlane_b32 m0, v4
	s_sendmsg sendmsg(MSG_INTERRUPT)
.LBB18_190:
	s_or_b64 exec, exec, s[20:21]
	s_branch .LBB18_194
.LBB18_191:                             ;   in Loop: Header=BB18_194 Depth=1
	s_or_b64 exec, exec, s[20:21]
	v_readfirstlane_b32 s14, v4
	s_cmp_eq_u32 s14, 0
	s_cbranch_scc1 .LBB18_193
; %bb.192:                              ;   in Loop: Header=BB18_194 Depth=1
	s_sleep 1
	s_cbranch_execnz .LBB18_194
	s_branch .LBB18_196
.LBB18_193:
	s_branch .LBB18_196
.LBB18_194:                             ; =>This Inner Loop Header: Depth=1
	v_mov_b32_e32 v4, 1
	s_and_saveexec_b64 s[20:21], s[4:5]
	s_cbranch_execz .LBB18_191
; %bb.195:                              ;   in Loop: Header=BB18_194 Depth=1
	global_load_dword v4, v[0:1], off offset:20 glc
	s_waitcnt vmcnt(0)
	buffer_invl2
	buffer_wbinvl1_vol
	v_and_b32_e32 v4, 1, v4
	s_branch .LBB18_191
.LBB18_196:
	global_load_dwordx2 v[0:1], v[10:11], off
	s_and_saveexec_b64 s[20:21], s[4:5]
	s_cbranch_execz .LBB18_199
; %bb.197:
	v_mov_b32_e32 v10, 0
	global_load_dwordx2 v[8:9], v10, s[16:17] offset:40
	global_load_dwordx2 v[12:13], v10, s[16:17] offset:24 glc
	global_load_dwordx2 v[14:15], v10, s[16:17]
	v_mov_b32_e32 v5, s19
	s_mov_b64 s[4:5], 0
	s_waitcnt vmcnt(2)
	v_add_co_u32_e32 v7, vcc, 1, v8
	v_addc_co_u32_e32 v11, vcc, 0, v9, vcc
	v_add_co_u32_e32 v4, vcc, s18, v7
	v_addc_co_u32_e32 v5, vcc, v11, v5, vcc
	v_cmp_eq_u64_e32 vcc, 0, v[4:5]
	v_cndmask_b32_e32 v5, v5, v11, vcc
	v_cndmask_b32_e32 v4, v4, v7, vcc
	v_and_b32_e32 v7, v5, v9
	v_and_b32_e32 v8, v4, v8
	v_mul_lo_u32 v7, v7, 24
	v_mul_hi_u32 v9, v8, 24
	v_mul_lo_u32 v8, v8, 24
	v_add_u32_e32 v7, v9, v7
	s_waitcnt vmcnt(0)
	v_add_co_u32_e32 v8, vcc, v14, v8
	v_addc_co_u32_e32 v9, vcc, v15, v7, vcc
	v_mov_b32_e32 v6, v12
	global_store_dwordx2 v[8:9], v[12:13], off
	v_mov_b32_e32 v7, v13
	buffer_wbl2
	s_waitcnt vmcnt(0)
	global_atomic_cmpswap_x2 v[6:7], v10, v[4:7], s[16:17] offset:24 glc
	s_waitcnt vmcnt(0)
	v_cmp_ne_u64_e32 vcc, v[6:7], v[12:13]
	s_and_b64 exec, exec, vcc
	s_cbranch_execz .LBB18_199
.LBB18_198:                             ; =>This Inner Loop Header: Depth=1
	s_sleep 1
	global_store_dwordx2 v[8:9], v[6:7], off
	buffer_wbl2
	s_waitcnt vmcnt(0)
	global_atomic_cmpswap_x2 v[12:13], v10, v[4:7], s[16:17] offset:24 glc
	s_waitcnt vmcnt(0)
	v_cmp_eq_u64_e32 vcc, v[12:13], v[6:7]
	s_or_b64 s[4:5], vcc, s[4:5]
	v_pk_mov_b32 v[6:7], v[12:13], v[12:13] op_sel:[0,1]
	s_andn2_b64 exec, exec, s[4:5]
	s_cbranch_execnz .LBB18_198
.LBB18_199:
	s_or_b64 exec, exec, s[20:21]
	v_readfirstlane_b32 s4, v3
	v_cmp_eq_u32_e64 s[4:5], s4, v3
	v_pk_mov_b32 v[8:9], 0, 0
	s_and_saveexec_b64 s[18:19], s[4:5]
	s_cbranch_execz .LBB18_205
; %bb.200:
	v_mov_b32_e32 v3, 0
	global_load_dwordx2 v[6:7], v3, s[16:17] offset:24 glc
	s_waitcnt vmcnt(0)
	buffer_invl2
	buffer_wbinvl1_vol
	global_load_dwordx2 v[4:5], v3, s[16:17] offset:40
	global_load_dwordx2 v[8:9], v3, s[16:17]
	s_waitcnt vmcnt(1)
	v_and_b32_e32 v4, v4, v6
	v_and_b32_e32 v5, v5, v7
	v_mul_lo_u32 v5, v5, 24
	v_mul_hi_u32 v10, v4, 24
	v_mul_lo_u32 v4, v4, 24
	v_add_u32_e32 v5, v10, v5
	s_waitcnt vmcnt(0)
	v_add_co_u32_e32 v4, vcc, v8, v4
	v_addc_co_u32_e32 v5, vcc, v9, v5, vcc
	global_load_dwordx2 v[4:5], v[4:5], off glc
	s_waitcnt vmcnt(0)
	global_atomic_cmpswap_x2 v[8:9], v3, v[4:7], s[16:17] offset:24 glc
	s_waitcnt vmcnt(0)
	buffer_invl2
	buffer_wbinvl1_vol
	v_cmp_ne_u64_e32 vcc, v[8:9], v[6:7]
	s_and_saveexec_b64 s[20:21], vcc
	s_cbranch_execz .LBB18_204
; %bb.201:
	s_mov_b64 s[22:23], 0
.LBB18_202:                             ; =>This Inner Loop Header: Depth=1
	s_sleep 1
	global_load_dwordx2 v[4:5], v3, s[16:17] offset:40
	global_load_dwordx2 v[10:11], v3, s[16:17]
	v_pk_mov_b32 v[6:7], v[8:9], v[8:9] op_sel:[0,1]
	s_waitcnt vmcnt(1)
	v_and_b32_e32 v4, v4, v6
	v_and_b32_e32 v9, v5, v7
	s_waitcnt vmcnt(0)
	v_mad_u64_u32 v[4:5], s[24:25], v4, 24, v[10:11]
	v_mov_b32_e32 v8, v5
	v_mad_u64_u32 v[8:9], s[24:25], v9, 24, v[8:9]
	v_mov_b32_e32 v5, v8
	global_load_dwordx2 v[4:5], v[4:5], off glc
	s_waitcnt vmcnt(0)
	global_atomic_cmpswap_x2 v[8:9], v3, v[4:7], s[16:17] offset:24 glc
	s_waitcnt vmcnt(0)
	buffer_invl2
	buffer_wbinvl1_vol
	v_cmp_eq_u64_e32 vcc, v[8:9], v[6:7]
	s_or_b64 s[22:23], vcc, s[22:23]
	s_andn2_b64 exec, exec, s[22:23]
	s_cbranch_execnz .LBB18_202
; %bb.203:
	s_or_b64 exec, exec, s[22:23]
.LBB18_204:
	s_or_b64 exec, exec, s[20:21]
.LBB18_205:
	s_or_b64 exec, exec, s[18:19]
	v_mov_b32_e32 v3, 0
	global_load_dwordx2 v[10:11], v3, s[16:17] offset:40
	global_load_dwordx4 v[4:7], v3, s[16:17]
	v_readfirstlane_b32 s18, v8
	v_readfirstlane_b32 s19, v9
	s_mov_b64 s[20:21], exec
	s_waitcnt vmcnt(1)
	v_readfirstlane_b32 s22, v10
	v_readfirstlane_b32 s23, v11
	s_and_b64 s[22:23], s[18:19], s[22:23]
	s_mul_i32 s14, s23, 24
	s_mul_hi_u32 s24, s22, 24
	s_mul_i32 s25, s22, 24
	s_add_i32 s14, s24, s14
	v_mov_b32_e32 v9, s14
	s_waitcnt vmcnt(0)
	v_add_co_u32_e32 v8, vcc, s25, v4
	v_addc_co_u32_e32 v9, vcc, v5, v9, vcc
	s_and_saveexec_b64 s[24:25], s[4:5]
	s_cbranch_execz .LBB18_207
; %bb.206:
	v_pk_mov_b32 v[10:11], s[20:21], s[20:21] op_sel:[0,1]
	v_mov_b32_e32 v12, 2
	v_mov_b32_e32 v13, 1
	global_store_dwordx4 v[8:9], v[10:13], off offset:8
.LBB18_207:
	s_or_b64 exec, exec, s[24:25]
	s_lshl_b64 s[20:21], s[22:23], 12
	v_add_co_u32_e32 v6, vcc, s20, v6
	s_mov_b32 s20, 0
	v_mov_b32_e32 v10, s21
	s_mov_b32 s21, s20
	v_addc_co_u32_e32 v7, vcc, v7, v10, vcc
	s_movk_i32 s14, 0xff1d
	s_mov_b32 s22, s20
	s_mov_b32 s23, s20
	v_pk_mov_b32 v[10:11], s[20:21], s[20:21] op_sel:[0,1]
	v_and_or_b32 v0, v0, s14, 34
	v_readfirstlane_b32 s24, v6
	v_readfirstlane_b32 s25, v7
	v_pk_mov_b32 v[12:13], s[22:23], s[22:23] op_sel:[0,1]
	s_nop 3
	global_store_dwordx4 v44, v[0:3], s[24:25]
	global_store_dwordx4 v44, v[10:13], s[24:25] offset:16
	global_store_dwordx4 v44, v[10:13], s[24:25] offset:32
	;; [unrolled: 1-line block ×3, first 2 shown]
	s_and_saveexec_b64 s[20:21], s[4:5]
	s_cbranch_execz .LBB18_215
; %bb.208:
	v_mov_b32_e32 v3, 0
	global_load_dwordx2 v[12:13], v3, s[16:17] offset:32 glc
	global_load_dwordx2 v[0:1], v3, s[16:17] offset:40
	v_mov_b32_e32 v10, s18
	v_mov_b32_e32 v11, s19
	s_waitcnt vmcnt(0)
	v_readfirstlane_b32 s22, v0
	v_readfirstlane_b32 s23, v1
	s_and_b64 s[22:23], s[22:23], s[18:19]
	s_mul_i32 s14, s23, 24
	s_mul_hi_u32 s23, s22, 24
	s_mul_i32 s22, s22, 24
	s_add_i32 s14, s23, s14
	v_mov_b32_e32 v1, s14
	v_add_co_u32_e32 v0, vcc, s22, v4
	v_addc_co_u32_e32 v1, vcc, v5, v1, vcc
	global_store_dwordx2 v[0:1], v[12:13], off
	buffer_wbl2
	s_waitcnt vmcnt(0)
	global_atomic_cmpswap_x2 v[6:7], v3, v[10:13], s[16:17] offset:32 glc
	s_waitcnt vmcnt(0)
	v_cmp_ne_u64_e32 vcc, v[6:7], v[12:13]
	s_and_saveexec_b64 s[22:23], vcc
	s_cbranch_execz .LBB18_211
; %bb.209:
	s_mov_b64 s[24:25], 0
.LBB18_210:                             ; =>This Inner Loop Header: Depth=1
	s_sleep 1
	global_store_dwordx2 v[0:1], v[6:7], off
	v_mov_b32_e32 v4, s18
	v_mov_b32_e32 v5, s19
	buffer_wbl2
	s_waitcnt vmcnt(0)
	global_atomic_cmpswap_x2 v[4:5], v3, v[4:7], s[16:17] offset:32 glc
	s_waitcnt vmcnt(0)
	v_cmp_eq_u64_e32 vcc, v[4:5], v[6:7]
	s_or_b64 s[24:25], vcc, s[24:25]
	v_pk_mov_b32 v[6:7], v[4:5], v[4:5] op_sel:[0,1]
	s_andn2_b64 exec, exec, s[24:25]
	s_cbranch_execnz .LBB18_210
.LBB18_211:
	s_or_b64 exec, exec, s[22:23]
	v_mov_b32_e32 v5, 0
	global_load_dwordx2 v[0:1], v5, s[16:17] offset:16
	s_mov_b64 s[22:23], exec
	v_mbcnt_lo_u32_b32 v3, s22, 0
	v_mbcnt_hi_u32_b32 v3, s23, v3
	v_cmp_eq_u32_e32 vcc, 0, v3
	s_and_saveexec_b64 s[24:25], vcc
	s_cbranch_execz .LBB18_213
; %bb.212:
	s_bcnt1_i32_b64 s14, s[22:23]
	v_mov_b32_e32 v4, s14
	buffer_wbl2
	s_waitcnt vmcnt(0)
	global_atomic_add_x2 v[0:1], v[4:5], off offset:8
.LBB18_213:
	s_or_b64 exec, exec, s[24:25]
	s_waitcnt vmcnt(0)
	global_load_dwordx2 v[4:5], v[0:1], off offset:16
	s_waitcnt vmcnt(0)
	v_cmp_eq_u64_e32 vcc, 0, v[4:5]
	s_cbranch_vccnz .LBB18_215
; %bb.214:
	global_load_dword v0, v[0:1], off offset:24
	v_mov_b32_e32 v1, 0
	buffer_wbl2
	s_waitcnt vmcnt(0)
	global_store_dwordx2 v[4:5], v[0:1], off
	v_and_b32_e32 v0, 0xffffff, v0
	v_readfirstlane_b32 m0, v0
	s_sendmsg sendmsg(MSG_INTERRUPT)
.LBB18_215:
	s_or_b64 exec, exec, s[20:21]
	s_branch .LBB18_219
.LBB18_216:                             ;   in Loop: Header=BB18_219 Depth=1
	s_or_b64 exec, exec, s[20:21]
	v_readfirstlane_b32 s14, v0
	s_cmp_eq_u32 s14, 0
	s_cbranch_scc1 .LBB18_218
; %bb.217:                              ;   in Loop: Header=BB18_219 Depth=1
	s_sleep 1
	s_cbranch_execnz .LBB18_219
	s_branch .LBB18_221
.LBB18_218:
	s_branch .LBB18_221
.LBB18_219:                             ; =>This Inner Loop Header: Depth=1
	v_mov_b32_e32 v0, 1
	s_and_saveexec_b64 s[20:21], s[4:5]
	s_cbranch_execz .LBB18_216
; %bb.220:                              ;   in Loop: Header=BB18_219 Depth=1
	global_load_dword v0, v[8:9], off offset:20 glc
	s_waitcnt vmcnt(0)
	buffer_invl2
	buffer_wbinvl1_vol
	v_and_b32_e32 v0, 1, v0
	s_branch .LBB18_216
.LBB18_221:
	s_and_saveexec_b64 s[20:21], s[4:5]
	s_cbranch_execz .LBB18_224
; %bb.222:
	v_mov_b32_e32 v3, 0
	global_load_dwordx2 v[0:1], v3, s[16:17] offset:40
	global_load_dwordx2 v[8:9], v3, s[16:17] offset:24 glc
	global_load_dwordx2 v[10:11], v3, s[16:17]
	v_mov_b32_e32 v5, s19
	s_mov_b64 s[4:5], 0
	s_waitcnt vmcnt(2)
	v_add_co_u32_e32 v7, vcc, 1, v0
	v_addc_co_u32_e32 v12, vcc, 0, v1, vcc
	v_add_co_u32_e32 v4, vcc, s18, v7
	v_addc_co_u32_e32 v5, vcc, v12, v5, vcc
	v_cmp_eq_u64_e32 vcc, 0, v[4:5]
	v_cndmask_b32_e32 v5, v5, v12, vcc
	v_cndmask_b32_e32 v4, v4, v7, vcc
	v_and_b32_e32 v1, v5, v1
	v_and_b32_e32 v0, v4, v0
	v_mul_lo_u32 v1, v1, 24
	v_mul_hi_u32 v7, v0, 24
	v_mul_lo_u32 v0, v0, 24
	v_add_u32_e32 v1, v7, v1
	s_waitcnt vmcnt(0)
	v_add_co_u32_e32 v0, vcc, v10, v0
	v_addc_co_u32_e32 v1, vcc, v11, v1, vcc
	v_mov_b32_e32 v6, v8
	global_store_dwordx2 v[0:1], v[8:9], off
	v_mov_b32_e32 v7, v9
	buffer_wbl2
	s_waitcnt vmcnt(0)
	global_atomic_cmpswap_x2 v[6:7], v3, v[4:7], s[16:17] offset:24 glc
	s_waitcnt vmcnt(0)
	v_cmp_ne_u64_e32 vcc, v[6:7], v[8:9]
	s_and_b64 exec, exec, vcc
	s_cbranch_execz .LBB18_224
.LBB18_223:                             ; =>This Inner Loop Header: Depth=1
	s_sleep 1
	global_store_dwordx2 v[0:1], v[6:7], off
	buffer_wbl2
	s_waitcnt vmcnt(0)
	global_atomic_cmpswap_x2 v[8:9], v3, v[4:7], s[16:17] offset:24 glc
	s_waitcnt vmcnt(0)
	v_cmp_eq_u64_e32 vcc, v[8:9], v[6:7]
	s_or_b64 s[4:5], vcc, s[4:5]
	v_pk_mov_b32 v[6:7], v[8:9], v[8:9] op_sel:[0,1]
	s_andn2_b64 exec, exec, s[4:5]
	s_cbranch_execnz .LBB18_223
.LBB18_224:
	s_or_b64 exec, exec, s[20:21]
	v_cmp_ge_i32_e32 vcc, s15, v43
	s_mov_b64 s[4:5], exec
	s_orn2_b64 s[18:19], vcc, exec
	v_mov_b32_e32 v1, v43
.LBB18_225:
	s_or_b64 exec, exec, s[10:11]
	s_mov_b64 s[14:15], 0
                                        ; implicit-def: $vgpr0
	s_and_saveexec_b64 s[10:11], s[18:19]
	s_cbranch_execz .LBB18_229
; %bb.226:
	v_cmp_ne_u32_e32 vcc, -1, v1
	s_mov_b64 s[8:9], 0
	s_mov_b64 s[14:15], -1
	s_and_saveexec_b64 s[16:17], vcc
; %bb.227:
	v_xor_b32_e32 v0, v2, v42
	v_and_b32_e32 v0, 1, v0
	s_mov_b64 s[8:9], exec
	v_lshl_or_b32 v42, v1, 1, v0
	s_xor_b64 s[14:15], exec, -1
; %bb.228:
	s_or_b64 exec, exec, s[16:17]
	s_andn2_b64 s[4:5], s[4:5], exec
	s_and_b64 s[14:15], s[14:15], exec
	s_and_b64 s[8:9], s[8:9], exec
	v_mov_b32_e32 v0, v1
.LBB18_229:
	s_or_b64 exec, exec, s[10:11]
	s_xor_b64 s[18:19], exec, -1
	s_and_b64 s[22:23], s[4:5], exec
	s_and_b64 s[20:21], s[14:15], exec
	;; [unrolled: 1-line block ×3, first 2 shown]
.LBB18_230:
	s_or_b64 exec, exec, s[6:7]
	s_and_b64 s[28:29], s[18:19], exec
	s_and_b64 s[34:35], s[22:23], exec
	s_waitcnt lgkmcnt(0)
	s_and_b64 s[4:5], s[20:21], exec
	s_orn2_b64 s[18:19], s[8:9], exec
.LBB18_231:
	s_or_b64 exec, exec, s[12:13]
	s_and_saveexec_b64 s[6:7], s[18:19]
	s_cbranch_execz .LBB18_233
; %bb.232:
	s_load_dwordx4 s[8:11], s[26:27], 0x30
	v_ashrrev_i32_e32 v1, 31, v0
	v_lshlrev_b64 v[0:1], 2, v[0:1]
	s_waitcnt lgkmcnt(0)
	v_mov_b32_e32 v3, s9
	v_add_co_u32_e32 v2, vcc, s8, v36
	v_addc_co_u32_e32 v3, vcc, v3, v37, vcc
	global_store_dword v[2:3], v42, off
	v_mov_b32_e32 v2, s11
	v_add_co_u32_e32 v0, vcc, s10, v0
	v_addc_co_u32_e32 v1, vcc, v2, v1, vcc
	v_mov_b32_e32 v2, 1
	global_atomic_add v[0:1], v2, off
.LBB18_233:
	s_or_b64 exec, exec, s[6:7]
	s_mov_b64 s[36:37], 0
	s_and_saveexec_b64 s[6:7], s[4:5]
	s_xor_b64 s[38:39], exec, s[6:7]
	s_cbranch_execnz .LBB18_240
; %bb.234:
	s_or_b64 exec, exec, s[38:39]
	s_and_saveexec_b64 s[4:5], s[34:35]
	s_xor_b64 s[34:35], exec, s[4:5]
	s_cbranch_execnz .LBB18_241
.LBB18_235:
	s_or_b64 exec, exec, s[34:35]
	s_and_saveexec_b64 s[34:35], s[28:29]
	s_cbranch_execz .LBB18_237
.LBB18_236:
	s_add_u32 s8, s26, 0x48
	s_addc_u32 s9, s27, 0
	s_getpc_b64 s[4:5]
	s_add_u32 s4, s4, .str.14@rel32@lo+4
	s_addc_u32 s5, s5, .str.14@rel32@hi+12
	s_getpc_b64 s[6:7]
	s_add_u32 s6, s6, .str.1@rel32@lo+4
	s_addc_u32 s7, s7, .str.1@rel32@hi+12
	s_getpc_b64 s[10:11]
	s_add_u32 s10, s10, __PRETTY_FUNCTION__._Z9processPOPKiS0_S0_PKjS2_iPiS3_ii@rel32@lo+4
	s_addc_u32 s11, s11, __PRETTY_FUNCTION__._Z9processPOPKiS0_S0_PKjS2_iPiS3_ii@rel32@hi+12
	v_mov_b32_e32 v0, s4
	v_mov_b32_e32 v1, s5
	;; [unrolled: 1-line block ×7, first 2 shown]
	s_getpc_b64 s[12:13]
	s_add_u32 s12, s12, __assert_fail@rel32@lo+4
	s_addc_u32 s13, s13, __assert_fail@rel32@hi+12
	s_swappc_b64 s[30:31], s[12:13]
	s_or_b64 s[36:37], s[36:37], exec
.LBB18_237:
	s_or_b64 exec, exec, s[34:35]
	s_and_b64 exec, exec, s[36:37]
; %bb.238:
	; divergent unreachable
.LBB18_239:
	s_endpgm
.LBB18_240:
	s_add_u32 s8, s26, 0x48
	s_addc_u32 s9, s27, 0
	s_getpc_b64 s[4:5]
	s_add_u32 s4, s4, .str.17@rel32@lo+4
	s_addc_u32 s5, s5, .str.17@rel32@hi+12
	s_getpc_b64 s[6:7]
	s_add_u32 s6, s6, .str.1@rel32@lo+4
	s_addc_u32 s7, s7, .str.1@rel32@hi+12
	s_getpc_b64 s[10:11]
	s_add_u32 s10, s10, __PRETTY_FUNCTION__._Z9processPOPKiS0_S0_PKjS2_iPiS3_ii@rel32@lo+4
	s_addc_u32 s11, s11, __PRETTY_FUNCTION__._Z9processPOPKiS0_S0_PKjS2_iPiS3_ii@rel32@hi+12
	v_mov_b32_e32 v0, s4
	v_mov_b32_e32 v1, s5
	;; [unrolled: 1-line block ×7, first 2 shown]
	s_getpc_b64 s[12:13]
	s_add_u32 s12, s12, __assert_fail@rel32@lo+4
	s_addc_u32 s13, s13, __assert_fail@rel32@hi+12
	s_swappc_b64 s[30:31], s[12:13]
	s_mov_b64 s[36:37], exec
	s_or_b64 exec, exec, s[38:39]
	s_and_saveexec_b64 s[4:5], s[34:35]
	s_xor_b64 s[34:35], exec, s[4:5]
	s_cbranch_execz .LBB18_235
.LBB18_241:
	s_add_u32 s8, s26, 0x48
	s_addc_u32 s9, s27, 0
	s_getpc_b64 s[4:5]
	s_add_u32 s4, s4, .str.16@rel32@lo+4
	s_addc_u32 s5, s5, .str.16@rel32@hi+12
	s_getpc_b64 s[6:7]
	s_add_u32 s6, s6, .str.1@rel32@lo+4
	s_addc_u32 s7, s7, .str.1@rel32@hi+12
	s_getpc_b64 s[10:11]
	s_add_u32 s10, s10, __PRETTY_FUNCTION__._Z9processPOPKiS0_S0_PKjS2_iPiS3_ii@rel32@lo+4
	s_addc_u32 s11, s11, __PRETTY_FUNCTION__._Z9processPOPKiS0_S0_PKjS2_iPiS3_ii@rel32@hi+12
	v_mov_b32_e32 v0, s4
	v_mov_b32_e32 v1, s5
	;; [unrolled: 1-line block ×7, first 2 shown]
	s_getpc_b64 s[12:13]
	s_add_u32 s12, s12, __assert_fail@rel32@lo+4
	s_addc_u32 s13, s13, __assert_fail@rel32@hi+12
	s_swappc_b64 s[30:31], s[12:13]
	s_or_b64 s[36:37], s[36:37], exec
	s_or_b64 exec, exec, s[34:35]
	s_and_saveexec_b64 s[34:35], s[28:29]
	s_cbranch_execnz .LBB18_236
	s_branch .LBB18_237
	.section	.rodata,"a",@progbits
	.p2align	6, 0x0
	.amdhsa_kernel _Z9processPOPKiS0_S0_PKjS2_iPiS3_ii
		.amdhsa_group_segment_fixed_size 0
		.amdhsa_private_segment_fixed_size 64
		.amdhsa_kernarg_size 328
		.amdhsa_user_sgpr_count 8
		.amdhsa_user_sgpr_private_segment_buffer 1
		.amdhsa_user_sgpr_dispatch_ptr 0
		.amdhsa_user_sgpr_queue_ptr 0
		.amdhsa_user_sgpr_kernarg_segment_ptr 1
		.amdhsa_user_sgpr_dispatch_id 0
		.amdhsa_user_sgpr_flat_scratch_init 1
		.amdhsa_user_sgpr_kernarg_preload_length 0
		.amdhsa_user_sgpr_kernarg_preload_offset 0
		.amdhsa_user_sgpr_private_segment_size 0
		.amdhsa_uses_dynamic_stack 0
		.amdhsa_system_sgpr_private_segment_wavefront_offset 1
		.amdhsa_system_sgpr_workgroup_id_x 1
		.amdhsa_system_sgpr_workgroup_id_y 0
		.amdhsa_system_sgpr_workgroup_id_z 0
		.amdhsa_system_sgpr_workgroup_info 0
		.amdhsa_system_vgpr_workitem_id 0
		.amdhsa_next_free_vgpr 54
		.amdhsa_next_free_sgpr 40
		.amdhsa_accum_offset 56
		.amdhsa_reserve_vcc 1
		.amdhsa_reserve_flat_scratch 1
		.amdhsa_float_round_mode_32 0
		.amdhsa_float_round_mode_16_64 0
		.amdhsa_float_denorm_mode_32 3
		.amdhsa_float_denorm_mode_16_64 3
		.amdhsa_dx10_clamp 1
		.amdhsa_ieee_mode 1
		.amdhsa_fp16_overflow 0
		.amdhsa_tg_split 0
		.amdhsa_exception_fp_ieee_invalid_op 0
		.amdhsa_exception_fp_denorm_src 0
		.amdhsa_exception_fp_ieee_div_zero 0
		.amdhsa_exception_fp_ieee_overflow 0
		.amdhsa_exception_fp_ieee_underflow 0
		.amdhsa_exception_fp_ieee_inexact 0
		.amdhsa_exception_int_div_zero 0
	.end_amdhsa_kernel
	.text
.Lfunc_end18:
	.size	_Z9processPOPKiS0_S0_PKjS2_iPiS3_ii, .Lfunc_end18-_Z9processPOPKiS0_S0_PKjS2_iPiS3_ii
                                        ; -- End function
	.section	.AMDGPU.csdata,"",@progbits
; Kernel info:
; codeLenInByte = 9940
; NumSgprs: 46
; NumVgprs: 54
; NumAgprs: 0
; TotalNumVgprs: 54
; ScratchSize: 64
; MemoryBound: 0
; FloatMode: 240
; IeeeMode: 1
; LDSByteSize: 0 bytes/workgroup (compile time only)
; SGPRBlocks: 5
; VGPRBlocks: 6
; NumSGPRsForWavesPerEU: 46
; NumVGPRsForWavesPerEU: 54
; AccumOffset: 56
; Occupancy: 8
; WaveLimiterHint : 1
; COMPUTE_PGM_RSRC2:SCRATCH_EN: 1
; COMPUTE_PGM_RSRC2:USER_SGPR: 8
; COMPUTE_PGM_RSRC2:TRAP_HANDLER: 0
; COMPUTE_PGM_RSRC2:TGID_X_EN: 1
; COMPUTE_PGM_RSRC2:TGID_Y_EN: 0
; COMPUTE_PGM_RSRC2:TGID_Z_EN: 0
; COMPUTE_PGM_RSRC2:TIDIG_COMP_CNT: 0
; COMPUTE_PGM_RSRC3_GFX90A:ACCUM_OFFSET: 13
; COMPUTE_PGM_RSRC3_GFX90A:TG_SPLIT: 0
	.section	.text._ZN7rocprim17ROCPRIM_400000_NS6detail31init_lookback_scan_state_kernelINS1_19lookback_scan_stateIiLb0ELb1EEENS1_16block_id_wrapperIjLb0EEEEEvT_jT0_jPNS7_10value_typeE,"axG",@progbits,_ZN7rocprim17ROCPRIM_400000_NS6detail31init_lookback_scan_state_kernelINS1_19lookback_scan_stateIiLb0ELb1EEENS1_16block_id_wrapperIjLb0EEEEEvT_jT0_jPNS7_10value_typeE,comdat
	.protected	_ZN7rocprim17ROCPRIM_400000_NS6detail31init_lookback_scan_state_kernelINS1_19lookback_scan_stateIiLb0ELb1EEENS1_16block_id_wrapperIjLb0EEEEEvT_jT0_jPNS7_10value_typeE ; -- Begin function _ZN7rocprim17ROCPRIM_400000_NS6detail31init_lookback_scan_state_kernelINS1_19lookback_scan_stateIiLb0ELb1EEENS1_16block_id_wrapperIjLb0EEEEEvT_jT0_jPNS7_10value_typeE
	.globl	_ZN7rocprim17ROCPRIM_400000_NS6detail31init_lookback_scan_state_kernelINS1_19lookback_scan_stateIiLb0ELb1EEENS1_16block_id_wrapperIjLb0EEEEEvT_jT0_jPNS7_10value_typeE
	.p2align	8
	.type	_ZN7rocprim17ROCPRIM_400000_NS6detail31init_lookback_scan_state_kernelINS1_19lookback_scan_stateIiLb0ELb1EEENS1_16block_id_wrapperIjLb0EEEEEvT_jT0_jPNS7_10value_typeE,@function
_ZN7rocprim17ROCPRIM_400000_NS6detail31init_lookback_scan_state_kernelINS1_19lookback_scan_stateIiLb0ELb1EEENS1_16block_id_wrapperIjLb0EEEEEvT_jT0_jPNS7_10value_typeE: ; @_ZN7rocprim17ROCPRIM_400000_NS6detail31init_lookback_scan_state_kernelINS1_19lookback_scan_stateIiLb0ELb1EEENS1_16block_id_wrapperIjLb0EEEEEvT_jT0_jPNS7_10value_typeE
; %bb.0:
	s_load_dword s7, s[4:5], 0x2c
	s_load_dwordx2 s[2:3], s[4:5], 0x18
	s_load_dwordx2 s[0:1], s[4:5], 0x0
	s_load_dword s8, s[4:5], 0x8
	s_waitcnt lgkmcnt(0)
	s_and_b32 s7, s7, 0xffff
	s_mul_i32 s6, s6, s7
	s_cmp_eq_u64 s[2:3], 0
	v_add_u32_e32 v0, s6, v0
	s_cbranch_scc1 .LBB19_6
; %bb.1:
	s_load_dword s6, s[4:5], 0x10
	s_mov_b32 s7, 0
	s_waitcnt lgkmcnt(0)
	s_cmp_lt_u32 s6, s8
	s_cselect_b32 s4, s6, 0
	v_cmp_eq_u32_e32 vcc, s4, v0
	s_and_saveexec_b64 s[4:5], vcc
	s_cbranch_execz .LBB19_5
; %bb.2:
	s_add_i32 s6, s6, 64
	s_lshl_b64 s[6:7], s[6:7], 3
	s_add_u32 s6, s0, s6
	s_addc_u32 s7, s1, s7
	v_mov_b32_e32 v4, 0
	global_load_dwordx2 v[2:3], v4, s[6:7] glc
	s_waitcnt vmcnt(0)
	v_and_b32_e32 v5, 0xff, v3
	v_cmp_ne_u64_e32 vcc, 0, v[4:5]
	s_cbranch_vccnz .LBB19_4
.LBB19_3:                               ; =>This Inner Loop Header: Depth=1
	global_load_dwordx2 v[2:3], v4, s[6:7] glc
	s_waitcnt vmcnt(0)
	v_and_b32_e32 v5, 0xff, v3
	v_cmp_eq_u64_e32 vcc, 0, v[4:5]
	s_cbranch_vccnz .LBB19_3
.LBB19_4:
	v_mov_b32_e32 v1, 0
	global_store_dword v1, v2, s[2:3]
.LBB19_5:
	s_or_b64 exec, exec, s[4:5]
.LBB19_6:
	v_cmp_gt_u32_e32 vcc, s8, v0
	s_and_saveexec_b64 s[2:3], vcc
	s_cbranch_execnz .LBB19_9
; %bb.7:
	s_or_b64 exec, exec, s[2:3]
	v_cmp_gt_u32_e32 vcc, 64, v0
	s_and_saveexec_b64 s[2:3], vcc
	s_cbranch_execnz .LBB19_10
.LBB19_8:
	s_endpgm
.LBB19_9:
	v_add_u32_e32 v2, 64, v0
	v_mov_b32_e32 v3, 0
	v_lshlrev_b64 v[4:5], 3, v[2:3]
	v_mov_b32_e32 v1, s1
	v_add_co_u32_e32 v4, vcc, s0, v4
	v_addc_co_u32_e32 v5, vcc, v1, v5, vcc
	v_mov_b32_e32 v2, v3
	global_store_dwordx2 v[4:5], v[2:3], off
	s_or_b64 exec, exec, s[2:3]
	v_cmp_gt_u32_e32 vcc, 64, v0
	s_and_saveexec_b64 s[2:3], vcc
	s_cbranch_execz .LBB19_8
.LBB19_10:
	v_mov_b32_e32 v1, 0
	v_lshlrev_b64 v[2:3], 3, v[0:1]
	v_mov_b32_e32 v0, s1
	v_add_co_u32_e32 v2, vcc, s0, v2
	v_addc_co_u32_e32 v3, vcc, v0, v3, vcc
	v_mov_b32_e32 v5, 0xff
	v_mov_b32_e32 v4, v1
	global_store_dwordx2 v[2:3], v[4:5], off
	s_endpgm
	.section	.rodata,"a",@progbits
	.p2align	6, 0x0
	.amdhsa_kernel _ZN7rocprim17ROCPRIM_400000_NS6detail31init_lookback_scan_state_kernelINS1_19lookback_scan_stateIiLb0ELb1EEENS1_16block_id_wrapperIjLb0EEEEEvT_jT0_jPNS7_10value_typeE
		.amdhsa_group_segment_fixed_size 0
		.amdhsa_private_segment_fixed_size 0
		.amdhsa_kernarg_size 288
		.amdhsa_user_sgpr_count 6
		.amdhsa_user_sgpr_private_segment_buffer 1
		.amdhsa_user_sgpr_dispatch_ptr 0
		.amdhsa_user_sgpr_queue_ptr 0
		.amdhsa_user_sgpr_kernarg_segment_ptr 1
		.amdhsa_user_sgpr_dispatch_id 0
		.amdhsa_user_sgpr_flat_scratch_init 0
		.amdhsa_user_sgpr_kernarg_preload_length 0
		.amdhsa_user_sgpr_kernarg_preload_offset 0
		.amdhsa_user_sgpr_private_segment_size 0
		.amdhsa_uses_dynamic_stack 0
		.amdhsa_system_sgpr_private_segment_wavefront_offset 0
		.amdhsa_system_sgpr_workgroup_id_x 1
		.amdhsa_system_sgpr_workgroup_id_y 0
		.amdhsa_system_sgpr_workgroup_id_z 0
		.amdhsa_system_sgpr_workgroup_info 0
		.amdhsa_system_vgpr_workitem_id 0
		.amdhsa_next_free_vgpr 6
		.amdhsa_next_free_sgpr 9
		.amdhsa_accum_offset 8
		.amdhsa_reserve_vcc 1
		.amdhsa_reserve_flat_scratch 0
		.amdhsa_float_round_mode_32 0
		.amdhsa_float_round_mode_16_64 0
		.amdhsa_float_denorm_mode_32 3
		.amdhsa_float_denorm_mode_16_64 3
		.amdhsa_dx10_clamp 1
		.amdhsa_ieee_mode 1
		.amdhsa_fp16_overflow 0
		.amdhsa_tg_split 0
		.amdhsa_exception_fp_ieee_invalid_op 0
		.amdhsa_exception_fp_denorm_src 0
		.amdhsa_exception_fp_ieee_div_zero 0
		.amdhsa_exception_fp_ieee_overflow 0
		.amdhsa_exception_fp_ieee_underflow 0
		.amdhsa_exception_fp_ieee_inexact 0
		.amdhsa_exception_int_div_zero 0
	.end_amdhsa_kernel
	.section	.text._ZN7rocprim17ROCPRIM_400000_NS6detail31init_lookback_scan_state_kernelINS1_19lookback_scan_stateIiLb0ELb1EEENS1_16block_id_wrapperIjLb0EEEEEvT_jT0_jPNS7_10value_typeE,"axG",@progbits,_ZN7rocprim17ROCPRIM_400000_NS6detail31init_lookback_scan_state_kernelINS1_19lookback_scan_stateIiLb0ELb1EEENS1_16block_id_wrapperIjLb0EEEEEvT_jT0_jPNS7_10value_typeE,comdat
.Lfunc_end19:
	.size	_ZN7rocprim17ROCPRIM_400000_NS6detail31init_lookback_scan_state_kernelINS1_19lookback_scan_stateIiLb0ELb1EEENS1_16block_id_wrapperIjLb0EEEEEvT_jT0_jPNS7_10value_typeE, .Lfunc_end19-_ZN7rocprim17ROCPRIM_400000_NS6detail31init_lookback_scan_state_kernelINS1_19lookback_scan_stateIiLb0ELb1EEENS1_16block_id_wrapperIjLb0EEEEEvT_jT0_jPNS7_10value_typeE
                                        ; -- End function
	.section	.AMDGPU.csdata,"",@progbits
; Kernel info:
; codeLenInByte = 324
; NumSgprs: 13
; NumVgprs: 6
; NumAgprs: 0
; TotalNumVgprs: 6
; ScratchSize: 0
; MemoryBound: 0
; FloatMode: 240
; IeeeMode: 1
; LDSByteSize: 0 bytes/workgroup (compile time only)
; SGPRBlocks: 1
; VGPRBlocks: 0
; NumSGPRsForWavesPerEU: 13
; NumVGPRsForWavesPerEU: 6
; AccumOffset: 8
; Occupancy: 8
; WaveLimiterHint : 0
; COMPUTE_PGM_RSRC2:SCRATCH_EN: 0
; COMPUTE_PGM_RSRC2:USER_SGPR: 6
; COMPUTE_PGM_RSRC2:TRAP_HANDLER: 0
; COMPUTE_PGM_RSRC2:TGID_X_EN: 1
; COMPUTE_PGM_RSRC2:TGID_Y_EN: 0
; COMPUTE_PGM_RSRC2:TGID_Z_EN: 0
; COMPUTE_PGM_RSRC2:TIDIG_COMP_CNT: 0
; COMPUTE_PGM_RSRC3_GFX90A:ACCUM_OFFSET: 1
; COMPUTE_PGM_RSRC3_GFX90A:TG_SPLIT: 0
	.section	.text._ZN7rocprim17ROCPRIM_400000_NS6detail17trampoline_kernelINS0_14default_configENS1_20scan_config_selectorIiEEZZNS1_9scan_implILNS1_25lookback_scan_determinismE0ELb0ELb0ES3_PiS8_iN6thrust23THRUST_200600_302600_NS4plusIvEEiEEDaPvRmT3_T4_T5_mT6_P12ihipStream_tbENKUlT_T0_E_clISt17integral_constantIbLb0EESQ_EEDaSL_SM_EUlSL_E_NS1_11comp_targetILNS1_3genE0ELNS1_11target_archE4294967295ELNS1_3gpuE0ELNS1_3repE0EEENS1_30default_config_static_selectorELNS0_4arch9wavefront6targetE1EEEvT1_,"axG",@progbits,_ZN7rocprim17ROCPRIM_400000_NS6detail17trampoline_kernelINS0_14default_configENS1_20scan_config_selectorIiEEZZNS1_9scan_implILNS1_25lookback_scan_determinismE0ELb0ELb0ES3_PiS8_iN6thrust23THRUST_200600_302600_NS4plusIvEEiEEDaPvRmT3_T4_T5_mT6_P12ihipStream_tbENKUlT_T0_E_clISt17integral_constantIbLb0EESQ_EEDaSL_SM_EUlSL_E_NS1_11comp_targetILNS1_3genE0ELNS1_11target_archE4294967295ELNS1_3gpuE0ELNS1_3repE0EEENS1_30default_config_static_selectorELNS0_4arch9wavefront6targetE1EEEvT1_,comdat
	.protected	_ZN7rocprim17ROCPRIM_400000_NS6detail17trampoline_kernelINS0_14default_configENS1_20scan_config_selectorIiEEZZNS1_9scan_implILNS1_25lookback_scan_determinismE0ELb0ELb0ES3_PiS8_iN6thrust23THRUST_200600_302600_NS4plusIvEEiEEDaPvRmT3_T4_T5_mT6_P12ihipStream_tbENKUlT_T0_E_clISt17integral_constantIbLb0EESQ_EEDaSL_SM_EUlSL_E_NS1_11comp_targetILNS1_3genE0ELNS1_11target_archE4294967295ELNS1_3gpuE0ELNS1_3repE0EEENS1_30default_config_static_selectorELNS0_4arch9wavefront6targetE1EEEvT1_ ; -- Begin function _ZN7rocprim17ROCPRIM_400000_NS6detail17trampoline_kernelINS0_14default_configENS1_20scan_config_selectorIiEEZZNS1_9scan_implILNS1_25lookback_scan_determinismE0ELb0ELb0ES3_PiS8_iN6thrust23THRUST_200600_302600_NS4plusIvEEiEEDaPvRmT3_T4_T5_mT6_P12ihipStream_tbENKUlT_T0_E_clISt17integral_constantIbLb0EESQ_EEDaSL_SM_EUlSL_E_NS1_11comp_targetILNS1_3genE0ELNS1_11target_archE4294967295ELNS1_3gpuE0ELNS1_3repE0EEENS1_30default_config_static_selectorELNS0_4arch9wavefront6targetE1EEEvT1_
	.globl	_ZN7rocprim17ROCPRIM_400000_NS6detail17trampoline_kernelINS0_14default_configENS1_20scan_config_selectorIiEEZZNS1_9scan_implILNS1_25lookback_scan_determinismE0ELb0ELb0ES3_PiS8_iN6thrust23THRUST_200600_302600_NS4plusIvEEiEEDaPvRmT3_T4_T5_mT6_P12ihipStream_tbENKUlT_T0_E_clISt17integral_constantIbLb0EESQ_EEDaSL_SM_EUlSL_E_NS1_11comp_targetILNS1_3genE0ELNS1_11target_archE4294967295ELNS1_3gpuE0ELNS1_3repE0EEENS1_30default_config_static_selectorELNS0_4arch9wavefront6targetE1EEEvT1_
	.p2align	8
	.type	_ZN7rocprim17ROCPRIM_400000_NS6detail17trampoline_kernelINS0_14default_configENS1_20scan_config_selectorIiEEZZNS1_9scan_implILNS1_25lookback_scan_determinismE0ELb0ELb0ES3_PiS8_iN6thrust23THRUST_200600_302600_NS4plusIvEEiEEDaPvRmT3_T4_T5_mT6_P12ihipStream_tbENKUlT_T0_E_clISt17integral_constantIbLb0EESQ_EEDaSL_SM_EUlSL_E_NS1_11comp_targetILNS1_3genE0ELNS1_11target_archE4294967295ELNS1_3gpuE0ELNS1_3repE0EEENS1_30default_config_static_selectorELNS0_4arch9wavefront6targetE1EEEvT1_,@function
_ZN7rocprim17ROCPRIM_400000_NS6detail17trampoline_kernelINS0_14default_configENS1_20scan_config_selectorIiEEZZNS1_9scan_implILNS1_25lookback_scan_determinismE0ELb0ELb0ES3_PiS8_iN6thrust23THRUST_200600_302600_NS4plusIvEEiEEDaPvRmT3_T4_T5_mT6_P12ihipStream_tbENKUlT_T0_E_clISt17integral_constantIbLb0EESQ_EEDaSL_SM_EUlSL_E_NS1_11comp_targetILNS1_3genE0ELNS1_11target_archE4294967295ELNS1_3gpuE0ELNS1_3repE0EEENS1_30default_config_static_selectorELNS0_4arch9wavefront6targetE1EEEvT1_: ; @_ZN7rocprim17ROCPRIM_400000_NS6detail17trampoline_kernelINS0_14default_configENS1_20scan_config_selectorIiEEZZNS1_9scan_implILNS1_25lookback_scan_determinismE0ELb0ELb0ES3_PiS8_iN6thrust23THRUST_200600_302600_NS4plusIvEEiEEDaPvRmT3_T4_T5_mT6_P12ihipStream_tbENKUlT_T0_E_clISt17integral_constantIbLb0EESQ_EEDaSL_SM_EUlSL_E_NS1_11comp_targetILNS1_3genE0ELNS1_11target_archE4294967295ELNS1_3gpuE0ELNS1_3repE0EEENS1_30default_config_static_selectorELNS0_4arch9wavefront6targetE1EEEvT1_
; %bb.0:
	.section	.rodata,"a",@progbits
	.p2align	6, 0x0
	.amdhsa_kernel _ZN7rocprim17ROCPRIM_400000_NS6detail17trampoline_kernelINS0_14default_configENS1_20scan_config_selectorIiEEZZNS1_9scan_implILNS1_25lookback_scan_determinismE0ELb0ELb0ES3_PiS8_iN6thrust23THRUST_200600_302600_NS4plusIvEEiEEDaPvRmT3_T4_T5_mT6_P12ihipStream_tbENKUlT_T0_E_clISt17integral_constantIbLb0EESQ_EEDaSL_SM_EUlSL_E_NS1_11comp_targetILNS1_3genE0ELNS1_11target_archE4294967295ELNS1_3gpuE0ELNS1_3repE0EEENS1_30default_config_static_selectorELNS0_4arch9wavefront6targetE1EEEvT1_
		.amdhsa_group_segment_fixed_size 0
		.amdhsa_private_segment_fixed_size 0
		.amdhsa_kernarg_size 96
		.amdhsa_user_sgpr_count 6
		.amdhsa_user_sgpr_private_segment_buffer 1
		.amdhsa_user_sgpr_dispatch_ptr 0
		.amdhsa_user_sgpr_queue_ptr 0
		.amdhsa_user_sgpr_kernarg_segment_ptr 1
		.amdhsa_user_sgpr_dispatch_id 0
		.amdhsa_user_sgpr_flat_scratch_init 0
		.amdhsa_user_sgpr_kernarg_preload_length 0
		.amdhsa_user_sgpr_kernarg_preload_offset 0
		.amdhsa_user_sgpr_private_segment_size 0
		.amdhsa_uses_dynamic_stack 0
		.amdhsa_system_sgpr_private_segment_wavefront_offset 0
		.amdhsa_system_sgpr_workgroup_id_x 1
		.amdhsa_system_sgpr_workgroup_id_y 0
		.amdhsa_system_sgpr_workgroup_id_z 0
		.amdhsa_system_sgpr_workgroup_info 0
		.amdhsa_system_vgpr_workitem_id 0
		.amdhsa_next_free_vgpr 1
		.amdhsa_next_free_sgpr 0
		.amdhsa_accum_offset 4
		.amdhsa_reserve_vcc 0
		.amdhsa_reserve_flat_scratch 0
		.amdhsa_float_round_mode_32 0
		.amdhsa_float_round_mode_16_64 0
		.amdhsa_float_denorm_mode_32 3
		.amdhsa_float_denorm_mode_16_64 3
		.amdhsa_dx10_clamp 1
		.amdhsa_ieee_mode 1
		.amdhsa_fp16_overflow 0
		.amdhsa_tg_split 0
		.amdhsa_exception_fp_ieee_invalid_op 0
		.amdhsa_exception_fp_denorm_src 0
		.amdhsa_exception_fp_ieee_div_zero 0
		.amdhsa_exception_fp_ieee_overflow 0
		.amdhsa_exception_fp_ieee_underflow 0
		.amdhsa_exception_fp_ieee_inexact 0
		.amdhsa_exception_int_div_zero 0
	.end_amdhsa_kernel
	.section	.text._ZN7rocprim17ROCPRIM_400000_NS6detail17trampoline_kernelINS0_14default_configENS1_20scan_config_selectorIiEEZZNS1_9scan_implILNS1_25lookback_scan_determinismE0ELb0ELb0ES3_PiS8_iN6thrust23THRUST_200600_302600_NS4plusIvEEiEEDaPvRmT3_T4_T5_mT6_P12ihipStream_tbENKUlT_T0_E_clISt17integral_constantIbLb0EESQ_EEDaSL_SM_EUlSL_E_NS1_11comp_targetILNS1_3genE0ELNS1_11target_archE4294967295ELNS1_3gpuE0ELNS1_3repE0EEENS1_30default_config_static_selectorELNS0_4arch9wavefront6targetE1EEEvT1_,"axG",@progbits,_ZN7rocprim17ROCPRIM_400000_NS6detail17trampoline_kernelINS0_14default_configENS1_20scan_config_selectorIiEEZZNS1_9scan_implILNS1_25lookback_scan_determinismE0ELb0ELb0ES3_PiS8_iN6thrust23THRUST_200600_302600_NS4plusIvEEiEEDaPvRmT3_T4_T5_mT6_P12ihipStream_tbENKUlT_T0_E_clISt17integral_constantIbLb0EESQ_EEDaSL_SM_EUlSL_E_NS1_11comp_targetILNS1_3genE0ELNS1_11target_archE4294967295ELNS1_3gpuE0ELNS1_3repE0EEENS1_30default_config_static_selectorELNS0_4arch9wavefront6targetE1EEEvT1_,comdat
.Lfunc_end20:
	.size	_ZN7rocprim17ROCPRIM_400000_NS6detail17trampoline_kernelINS0_14default_configENS1_20scan_config_selectorIiEEZZNS1_9scan_implILNS1_25lookback_scan_determinismE0ELb0ELb0ES3_PiS8_iN6thrust23THRUST_200600_302600_NS4plusIvEEiEEDaPvRmT3_T4_T5_mT6_P12ihipStream_tbENKUlT_T0_E_clISt17integral_constantIbLb0EESQ_EEDaSL_SM_EUlSL_E_NS1_11comp_targetILNS1_3genE0ELNS1_11target_archE4294967295ELNS1_3gpuE0ELNS1_3repE0EEENS1_30default_config_static_selectorELNS0_4arch9wavefront6targetE1EEEvT1_, .Lfunc_end20-_ZN7rocprim17ROCPRIM_400000_NS6detail17trampoline_kernelINS0_14default_configENS1_20scan_config_selectorIiEEZZNS1_9scan_implILNS1_25lookback_scan_determinismE0ELb0ELb0ES3_PiS8_iN6thrust23THRUST_200600_302600_NS4plusIvEEiEEDaPvRmT3_T4_T5_mT6_P12ihipStream_tbENKUlT_T0_E_clISt17integral_constantIbLb0EESQ_EEDaSL_SM_EUlSL_E_NS1_11comp_targetILNS1_3genE0ELNS1_11target_archE4294967295ELNS1_3gpuE0ELNS1_3repE0EEENS1_30default_config_static_selectorELNS0_4arch9wavefront6targetE1EEEvT1_
                                        ; -- End function
	.section	.AMDGPU.csdata,"",@progbits
; Kernel info:
; codeLenInByte = 0
; NumSgprs: 4
; NumVgprs: 0
; NumAgprs: 0
; TotalNumVgprs: 0
; ScratchSize: 0
; MemoryBound: 0
; FloatMode: 240
; IeeeMode: 1
; LDSByteSize: 0 bytes/workgroup (compile time only)
; SGPRBlocks: 0
; VGPRBlocks: 0
; NumSGPRsForWavesPerEU: 4
; NumVGPRsForWavesPerEU: 1
; AccumOffset: 4
; Occupancy: 8
; WaveLimiterHint : 0
; COMPUTE_PGM_RSRC2:SCRATCH_EN: 0
; COMPUTE_PGM_RSRC2:USER_SGPR: 6
; COMPUTE_PGM_RSRC2:TRAP_HANDLER: 0
; COMPUTE_PGM_RSRC2:TGID_X_EN: 1
; COMPUTE_PGM_RSRC2:TGID_Y_EN: 0
; COMPUTE_PGM_RSRC2:TGID_Z_EN: 0
; COMPUTE_PGM_RSRC2:TIDIG_COMP_CNT: 0
; COMPUTE_PGM_RSRC3_GFX90A:ACCUM_OFFSET: 0
; COMPUTE_PGM_RSRC3_GFX90A:TG_SPLIT: 0
	.section	.text._ZN7rocprim17ROCPRIM_400000_NS6detail17trampoline_kernelINS0_14default_configENS1_20scan_config_selectorIiEEZZNS1_9scan_implILNS1_25lookback_scan_determinismE0ELb0ELb0ES3_PiS8_iN6thrust23THRUST_200600_302600_NS4plusIvEEiEEDaPvRmT3_T4_T5_mT6_P12ihipStream_tbENKUlT_T0_E_clISt17integral_constantIbLb0EESQ_EEDaSL_SM_EUlSL_E_NS1_11comp_targetILNS1_3genE5ELNS1_11target_archE942ELNS1_3gpuE9ELNS1_3repE0EEENS1_30default_config_static_selectorELNS0_4arch9wavefront6targetE1EEEvT1_,"axG",@progbits,_ZN7rocprim17ROCPRIM_400000_NS6detail17trampoline_kernelINS0_14default_configENS1_20scan_config_selectorIiEEZZNS1_9scan_implILNS1_25lookback_scan_determinismE0ELb0ELb0ES3_PiS8_iN6thrust23THRUST_200600_302600_NS4plusIvEEiEEDaPvRmT3_T4_T5_mT6_P12ihipStream_tbENKUlT_T0_E_clISt17integral_constantIbLb0EESQ_EEDaSL_SM_EUlSL_E_NS1_11comp_targetILNS1_3genE5ELNS1_11target_archE942ELNS1_3gpuE9ELNS1_3repE0EEENS1_30default_config_static_selectorELNS0_4arch9wavefront6targetE1EEEvT1_,comdat
	.protected	_ZN7rocprim17ROCPRIM_400000_NS6detail17trampoline_kernelINS0_14default_configENS1_20scan_config_selectorIiEEZZNS1_9scan_implILNS1_25lookback_scan_determinismE0ELb0ELb0ES3_PiS8_iN6thrust23THRUST_200600_302600_NS4plusIvEEiEEDaPvRmT3_T4_T5_mT6_P12ihipStream_tbENKUlT_T0_E_clISt17integral_constantIbLb0EESQ_EEDaSL_SM_EUlSL_E_NS1_11comp_targetILNS1_3genE5ELNS1_11target_archE942ELNS1_3gpuE9ELNS1_3repE0EEENS1_30default_config_static_selectorELNS0_4arch9wavefront6targetE1EEEvT1_ ; -- Begin function _ZN7rocprim17ROCPRIM_400000_NS6detail17trampoline_kernelINS0_14default_configENS1_20scan_config_selectorIiEEZZNS1_9scan_implILNS1_25lookback_scan_determinismE0ELb0ELb0ES3_PiS8_iN6thrust23THRUST_200600_302600_NS4plusIvEEiEEDaPvRmT3_T4_T5_mT6_P12ihipStream_tbENKUlT_T0_E_clISt17integral_constantIbLb0EESQ_EEDaSL_SM_EUlSL_E_NS1_11comp_targetILNS1_3genE5ELNS1_11target_archE942ELNS1_3gpuE9ELNS1_3repE0EEENS1_30default_config_static_selectorELNS0_4arch9wavefront6targetE1EEEvT1_
	.globl	_ZN7rocprim17ROCPRIM_400000_NS6detail17trampoline_kernelINS0_14default_configENS1_20scan_config_selectorIiEEZZNS1_9scan_implILNS1_25lookback_scan_determinismE0ELb0ELb0ES3_PiS8_iN6thrust23THRUST_200600_302600_NS4plusIvEEiEEDaPvRmT3_T4_T5_mT6_P12ihipStream_tbENKUlT_T0_E_clISt17integral_constantIbLb0EESQ_EEDaSL_SM_EUlSL_E_NS1_11comp_targetILNS1_3genE5ELNS1_11target_archE942ELNS1_3gpuE9ELNS1_3repE0EEENS1_30default_config_static_selectorELNS0_4arch9wavefront6targetE1EEEvT1_
	.p2align	8
	.type	_ZN7rocprim17ROCPRIM_400000_NS6detail17trampoline_kernelINS0_14default_configENS1_20scan_config_selectorIiEEZZNS1_9scan_implILNS1_25lookback_scan_determinismE0ELb0ELb0ES3_PiS8_iN6thrust23THRUST_200600_302600_NS4plusIvEEiEEDaPvRmT3_T4_T5_mT6_P12ihipStream_tbENKUlT_T0_E_clISt17integral_constantIbLb0EESQ_EEDaSL_SM_EUlSL_E_NS1_11comp_targetILNS1_3genE5ELNS1_11target_archE942ELNS1_3gpuE9ELNS1_3repE0EEENS1_30default_config_static_selectorELNS0_4arch9wavefront6targetE1EEEvT1_,@function
_ZN7rocprim17ROCPRIM_400000_NS6detail17trampoline_kernelINS0_14default_configENS1_20scan_config_selectorIiEEZZNS1_9scan_implILNS1_25lookback_scan_determinismE0ELb0ELb0ES3_PiS8_iN6thrust23THRUST_200600_302600_NS4plusIvEEiEEDaPvRmT3_T4_T5_mT6_P12ihipStream_tbENKUlT_T0_E_clISt17integral_constantIbLb0EESQ_EEDaSL_SM_EUlSL_E_NS1_11comp_targetILNS1_3genE5ELNS1_11target_archE942ELNS1_3gpuE9ELNS1_3repE0EEENS1_30default_config_static_selectorELNS0_4arch9wavefront6targetE1EEEvT1_: ; @_ZN7rocprim17ROCPRIM_400000_NS6detail17trampoline_kernelINS0_14default_configENS1_20scan_config_selectorIiEEZZNS1_9scan_implILNS1_25lookback_scan_determinismE0ELb0ELb0ES3_PiS8_iN6thrust23THRUST_200600_302600_NS4plusIvEEiEEDaPvRmT3_T4_T5_mT6_P12ihipStream_tbENKUlT_T0_E_clISt17integral_constantIbLb0EESQ_EEDaSL_SM_EUlSL_E_NS1_11comp_targetILNS1_3genE5ELNS1_11target_archE942ELNS1_3gpuE9ELNS1_3repE0EEENS1_30default_config_static_selectorELNS0_4arch9wavefront6targetE1EEEvT1_
; %bb.0:
	.section	.rodata,"a",@progbits
	.p2align	6, 0x0
	.amdhsa_kernel _ZN7rocprim17ROCPRIM_400000_NS6detail17trampoline_kernelINS0_14default_configENS1_20scan_config_selectorIiEEZZNS1_9scan_implILNS1_25lookback_scan_determinismE0ELb0ELb0ES3_PiS8_iN6thrust23THRUST_200600_302600_NS4plusIvEEiEEDaPvRmT3_T4_T5_mT6_P12ihipStream_tbENKUlT_T0_E_clISt17integral_constantIbLb0EESQ_EEDaSL_SM_EUlSL_E_NS1_11comp_targetILNS1_3genE5ELNS1_11target_archE942ELNS1_3gpuE9ELNS1_3repE0EEENS1_30default_config_static_selectorELNS0_4arch9wavefront6targetE1EEEvT1_
		.amdhsa_group_segment_fixed_size 0
		.amdhsa_private_segment_fixed_size 0
		.amdhsa_kernarg_size 96
		.amdhsa_user_sgpr_count 6
		.amdhsa_user_sgpr_private_segment_buffer 1
		.amdhsa_user_sgpr_dispatch_ptr 0
		.amdhsa_user_sgpr_queue_ptr 0
		.amdhsa_user_sgpr_kernarg_segment_ptr 1
		.amdhsa_user_sgpr_dispatch_id 0
		.amdhsa_user_sgpr_flat_scratch_init 0
		.amdhsa_user_sgpr_kernarg_preload_length 0
		.amdhsa_user_sgpr_kernarg_preload_offset 0
		.amdhsa_user_sgpr_private_segment_size 0
		.amdhsa_uses_dynamic_stack 0
		.amdhsa_system_sgpr_private_segment_wavefront_offset 0
		.amdhsa_system_sgpr_workgroup_id_x 1
		.amdhsa_system_sgpr_workgroup_id_y 0
		.amdhsa_system_sgpr_workgroup_id_z 0
		.amdhsa_system_sgpr_workgroup_info 0
		.amdhsa_system_vgpr_workitem_id 0
		.amdhsa_next_free_vgpr 1
		.amdhsa_next_free_sgpr 0
		.amdhsa_accum_offset 4
		.amdhsa_reserve_vcc 0
		.amdhsa_reserve_flat_scratch 0
		.amdhsa_float_round_mode_32 0
		.amdhsa_float_round_mode_16_64 0
		.amdhsa_float_denorm_mode_32 3
		.amdhsa_float_denorm_mode_16_64 3
		.amdhsa_dx10_clamp 1
		.amdhsa_ieee_mode 1
		.amdhsa_fp16_overflow 0
		.amdhsa_tg_split 0
		.amdhsa_exception_fp_ieee_invalid_op 0
		.amdhsa_exception_fp_denorm_src 0
		.amdhsa_exception_fp_ieee_div_zero 0
		.amdhsa_exception_fp_ieee_overflow 0
		.amdhsa_exception_fp_ieee_underflow 0
		.amdhsa_exception_fp_ieee_inexact 0
		.amdhsa_exception_int_div_zero 0
	.end_amdhsa_kernel
	.section	.text._ZN7rocprim17ROCPRIM_400000_NS6detail17trampoline_kernelINS0_14default_configENS1_20scan_config_selectorIiEEZZNS1_9scan_implILNS1_25lookback_scan_determinismE0ELb0ELb0ES3_PiS8_iN6thrust23THRUST_200600_302600_NS4plusIvEEiEEDaPvRmT3_T4_T5_mT6_P12ihipStream_tbENKUlT_T0_E_clISt17integral_constantIbLb0EESQ_EEDaSL_SM_EUlSL_E_NS1_11comp_targetILNS1_3genE5ELNS1_11target_archE942ELNS1_3gpuE9ELNS1_3repE0EEENS1_30default_config_static_selectorELNS0_4arch9wavefront6targetE1EEEvT1_,"axG",@progbits,_ZN7rocprim17ROCPRIM_400000_NS6detail17trampoline_kernelINS0_14default_configENS1_20scan_config_selectorIiEEZZNS1_9scan_implILNS1_25lookback_scan_determinismE0ELb0ELb0ES3_PiS8_iN6thrust23THRUST_200600_302600_NS4plusIvEEiEEDaPvRmT3_T4_T5_mT6_P12ihipStream_tbENKUlT_T0_E_clISt17integral_constantIbLb0EESQ_EEDaSL_SM_EUlSL_E_NS1_11comp_targetILNS1_3genE5ELNS1_11target_archE942ELNS1_3gpuE9ELNS1_3repE0EEENS1_30default_config_static_selectorELNS0_4arch9wavefront6targetE1EEEvT1_,comdat
.Lfunc_end21:
	.size	_ZN7rocprim17ROCPRIM_400000_NS6detail17trampoline_kernelINS0_14default_configENS1_20scan_config_selectorIiEEZZNS1_9scan_implILNS1_25lookback_scan_determinismE0ELb0ELb0ES3_PiS8_iN6thrust23THRUST_200600_302600_NS4plusIvEEiEEDaPvRmT3_T4_T5_mT6_P12ihipStream_tbENKUlT_T0_E_clISt17integral_constantIbLb0EESQ_EEDaSL_SM_EUlSL_E_NS1_11comp_targetILNS1_3genE5ELNS1_11target_archE942ELNS1_3gpuE9ELNS1_3repE0EEENS1_30default_config_static_selectorELNS0_4arch9wavefront6targetE1EEEvT1_, .Lfunc_end21-_ZN7rocprim17ROCPRIM_400000_NS6detail17trampoline_kernelINS0_14default_configENS1_20scan_config_selectorIiEEZZNS1_9scan_implILNS1_25lookback_scan_determinismE0ELb0ELb0ES3_PiS8_iN6thrust23THRUST_200600_302600_NS4plusIvEEiEEDaPvRmT3_T4_T5_mT6_P12ihipStream_tbENKUlT_T0_E_clISt17integral_constantIbLb0EESQ_EEDaSL_SM_EUlSL_E_NS1_11comp_targetILNS1_3genE5ELNS1_11target_archE942ELNS1_3gpuE9ELNS1_3repE0EEENS1_30default_config_static_selectorELNS0_4arch9wavefront6targetE1EEEvT1_
                                        ; -- End function
	.section	.AMDGPU.csdata,"",@progbits
; Kernel info:
; codeLenInByte = 0
; NumSgprs: 4
; NumVgprs: 0
; NumAgprs: 0
; TotalNumVgprs: 0
; ScratchSize: 0
; MemoryBound: 0
; FloatMode: 240
; IeeeMode: 1
; LDSByteSize: 0 bytes/workgroup (compile time only)
; SGPRBlocks: 0
; VGPRBlocks: 0
; NumSGPRsForWavesPerEU: 4
; NumVGPRsForWavesPerEU: 1
; AccumOffset: 4
; Occupancy: 8
; WaveLimiterHint : 0
; COMPUTE_PGM_RSRC2:SCRATCH_EN: 0
; COMPUTE_PGM_RSRC2:USER_SGPR: 6
; COMPUTE_PGM_RSRC2:TRAP_HANDLER: 0
; COMPUTE_PGM_RSRC2:TGID_X_EN: 1
; COMPUTE_PGM_RSRC2:TGID_Y_EN: 0
; COMPUTE_PGM_RSRC2:TGID_Z_EN: 0
; COMPUTE_PGM_RSRC2:TIDIG_COMP_CNT: 0
; COMPUTE_PGM_RSRC3_GFX90A:ACCUM_OFFSET: 0
; COMPUTE_PGM_RSRC3_GFX90A:TG_SPLIT: 0
	.section	.text._ZN7rocprim17ROCPRIM_400000_NS6detail17trampoline_kernelINS0_14default_configENS1_20scan_config_selectorIiEEZZNS1_9scan_implILNS1_25lookback_scan_determinismE0ELb0ELb0ES3_PiS8_iN6thrust23THRUST_200600_302600_NS4plusIvEEiEEDaPvRmT3_T4_T5_mT6_P12ihipStream_tbENKUlT_T0_E_clISt17integral_constantIbLb0EESQ_EEDaSL_SM_EUlSL_E_NS1_11comp_targetILNS1_3genE4ELNS1_11target_archE910ELNS1_3gpuE8ELNS1_3repE0EEENS1_30default_config_static_selectorELNS0_4arch9wavefront6targetE1EEEvT1_,"axG",@progbits,_ZN7rocprim17ROCPRIM_400000_NS6detail17trampoline_kernelINS0_14default_configENS1_20scan_config_selectorIiEEZZNS1_9scan_implILNS1_25lookback_scan_determinismE0ELb0ELb0ES3_PiS8_iN6thrust23THRUST_200600_302600_NS4plusIvEEiEEDaPvRmT3_T4_T5_mT6_P12ihipStream_tbENKUlT_T0_E_clISt17integral_constantIbLb0EESQ_EEDaSL_SM_EUlSL_E_NS1_11comp_targetILNS1_3genE4ELNS1_11target_archE910ELNS1_3gpuE8ELNS1_3repE0EEENS1_30default_config_static_selectorELNS0_4arch9wavefront6targetE1EEEvT1_,comdat
	.protected	_ZN7rocprim17ROCPRIM_400000_NS6detail17trampoline_kernelINS0_14default_configENS1_20scan_config_selectorIiEEZZNS1_9scan_implILNS1_25lookback_scan_determinismE0ELb0ELb0ES3_PiS8_iN6thrust23THRUST_200600_302600_NS4plusIvEEiEEDaPvRmT3_T4_T5_mT6_P12ihipStream_tbENKUlT_T0_E_clISt17integral_constantIbLb0EESQ_EEDaSL_SM_EUlSL_E_NS1_11comp_targetILNS1_3genE4ELNS1_11target_archE910ELNS1_3gpuE8ELNS1_3repE0EEENS1_30default_config_static_selectorELNS0_4arch9wavefront6targetE1EEEvT1_ ; -- Begin function _ZN7rocprim17ROCPRIM_400000_NS6detail17trampoline_kernelINS0_14default_configENS1_20scan_config_selectorIiEEZZNS1_9scan_implILNS1_25lookback_scan_determinismE0ELb0ELb0ES3_PiS8_iN6thrust23THRUST_200600_302600_NS4plusIvEEiEEDaPvRmT3_T4_T5_mT6_P12ihipStream_tbENKUlT_T0_E_clISt17integral_constantIbLb0EESQ_EEDaSL_SM_EUlSL_E_NS1_11comp_targetILNS1_3genE4ELNS1_11target_archE910ELNS1_3gpuE8ELNS1_3repE0EEENS1_30default_config_static_selectorELNS0_4arch9wavefront6targetE1EEEvT1_
	.globl	_ZN7rocprim17ROCPRIM_400000_NS6detail17trampoline_kernelINS0_14default_configENS1_20scan_config_selectorIiEEZZNS1_9scan_implILNS1_25lookback_scan_determinismE0ELb0ELb0ES3_PiS8_iN6thrust23THRUST_200600_302600_NS4plusIvEEiEEDaPvRmT3_T4_T5_mT6_P12ihipStream_tbENKUlT_T0_E_clISt17integral_constantIbLb0EESQ_EEDaSL_SM_EUlSL_E_NS1_11comp_targetILNS1_3genE4ELNS1_11target_archE910ELNS1_3gpuE8ELNS1_3repE0EEENS1_30default_config_static_selectorELNS0_4arch9wavefront6targetE1EEEvT1_
	.p2align	8
	.type	_ZN7rocprim17ROCPRIM_400000_NS6detail17trampoline_kernelINS0_14default_configENS1_20scan_config_selectorIiEEZZNS1_9scan_implILNS1_25lookback_scan_determinismE0ELb0ELb0ES3_PiS8_iN6thrust23THRUST_200600_302600_NS4plusIvEEiEEDaPvRmT3_T4_T5_mT6_P12ihipStream_tbENKUlT_T0_E_clISt17integral_constantIbLb0EESQ_EEDaSL_SM_EUlSL_E_NS1_11comp_targetILNS1_3genE4ELNS1_11target_archE910ELNS1_3gpuE8ELNS1_3repE0EEENS1_30default_config_static_selectorELNS0_4arch9wavefront6targetE1EEEvT1_,@function
_ZN7rocprim17ROCPRIM_400000_NS6detail17trampoline_kernelINS0_14default_configENS1_20scan_config_selectorIiEEZZNS1_9scan_implILNS1_25lookback_scan_determinismE0ELb0ELb0ES3_PiS8_iN6thrust23THRUST_200600_302600_NS4plusIvEEiEEDaPvRmT3_T4_T5_mT6_P12ihipStream_tbENKUlT_T0_E_clISt17integral_constantIbLb0EESQ_EEDaSL_SM_EUlSL_E_NS1_11comp_targetILNS1_3genE4ELNS1_11target_archE910ELNS1_3gpuE8ELNS1_3repE0EEENS1_30default_config_static_selectorELNS0_4arch9wavefront6targetE1EEEvT1_: ; @_ZN7rocprim17ROCPRIM_400000_NS6detail17trampoline_kernelINS0_14default_configENS1_20scan_config_selectorIiEEZZNS1_9scan_implILNS1_25lookback_scan_determinismE0ELb0ELb0ES3_PiS8_iN6thrust23THRUST_200600_302600_NS4plusIvEEiEEDaPvRmT3_T4_T5_mT6_P12ihipStream_tbENKUlT_T0_E_clISt17integral_constantIbLb0EESQ_EEDaSL_SM_EUlSL_E_NS1_11comp_targetILNS1_3genE4ELNS1_11target_archE910ELNS1_3gpuE8ELNS1_3repE0EEENS1_30default_config_static_selectorELNS0_4arch9wavefront6targetE1EEEvT1_
; %bb.0:
	s_load_dwordx8 s[16:23], s[4:5], 0x0
	s_load_dword s1, s[4:5], 0x30
	s_mul_i32 s0, s6, 0x500
	v_lshlrev_b32_e32 v22, 2, v0
	s_waitcnt lgkmcnt(0)
	s_lshl_b64 s[18:19], s[18:19], 2
	s_add_u32 s2, s16, s18
	s_addc_u32 s3, s17, s19
	s_add_i32 s7, s1, -1
	s_mul_i32 s8, s7, 0x500
	s_sub_u32 s30, s22, s8
	s_subb_u32 s31, s23, 0
	s_mov_b32 s1, 0
	s_cmp_lg_u32 s6, s7
	s_cselect_b64 s[22:23], -1, 0
	s_lshl_b64 s[24:25], s[0:1], 2
	s_add_u32 s2, s2, s24
	s_addc_u32 s3, s3, s25
	s_mov_b64 s[0:1], -1
	s_and_b64 vcc, exec, s[22:23]
	s_cbranch_vccz .LBB22_2
; %bb.1:
	v_mov_b32_e32 v1, s3
	v_add_co_u32_e32 v2, vcc, s2, v22
	v_addc_co_u32_e32 v1, vcc, 0, v1, vcc
	v_add_co_u32_e32 v2, vcc, 0x1000, v2
	v_addc_co_u32_e32 v3, vcc, 0, v1, vcc
	global_load_dword v4, v22, s[2:3]
	global_load_dword v5, v22, s[2:3] offset:512
	global_load_dword v6, v22, s[2:3] offset:1024
	global_load_dword v7, v22, s[2:3] offset:1536
	global_load_dword v8, v22, s[2:3] offset:2048
	global_load_dword v9, v22, s[2:3] offset:2560
	global_load_dword v10, v22, s[2:3] offset:3072
	global_load_dword v11, v22, s[2:3] offset:3584
	global_load_dword v1, v[2:3], off
	global_load_dword v12, v[2:3], off offset:512
	s_mov_b64 s[0:1], 0
	s_waitcnt vmcnt(8)
	ds_write2st64_b32 v22, v4, v5 offset1:2
	s_waitcnt vmcnt(6)
	ds_write2st64_b32 v22, v6, v7 offset0:4 offset1:6
	s_waitcnt vmcnt(4)
	ds_write2st64_b32 v22, v8, v9 offset0:8 offset1:10
	;; [unrolled: 2-line block ×4, first 2 shown]
	s_waitcnt lgkmcnt(0)
	s_barrier
.LBB22_2:
	s_load_dwordx2 s[26:27], s[4:5], 0x28
	s_andn2_b64 vcc, exec, s[0:1]
	v_cmp_gt_u32_e64 s[0:1], s30, v0
	s_cbranch_vccnz .LBB22_24
; %bb.3:
	s_load_dword s8, s[2:3], 0x0
	s_waitcnt lgkmcnt(0)
	s_mov_b32 s9, s8
	s_mov_b32 s10, s8
	;; [unrolled: 1-line block ×9, first 2 shown]
	v_pk_mov_b32 v[2:3], s[8:9], s[8:9] op_sel:[0,1]
	v_pk_mov_b32 v[4:5], s[10:11], s[10:11] op_sel:[0,1]
	;; [unrolled: 1-line block ×5, first 2 shown]
	v_mov_b32_e32 v1, s8
	s_and_saveexec_b64 s[28:29], s[0:1]
	s_cbranch_execz .LBB22_5
; %bb.4:
	global_load_dword v1, v22, s[2:3]
	v_pk_mov_b32 v[2:3], s[8:9], s[8:9] op_sel:[0,1]
	v_pk_mov_b32 v[4:5], s[10:11], s[10:11] op_sel:[0,1]
	;; [unrolled: 1-line block ×5, first 2 shown]
                                        ; kill: def $vgpr2 killed $vgpr1 killed $exec
.LBB22_5:
	s_or_b64 exec, exec, s[28:29]
	v_or_b32_e32 v2, 0x80, v0
	v_cmp_gt_u32_e32 vcc, s30, v2
	s_and_saveexec_b64 s[0:1], vcc
	s_cbranch_execz .LBB22_7
; %bb.6:
	global_load_dword v3, v22, s[2:3] offset:512
.LBB22_7:
	s_or_b64 exec, exec, s[0:1]
	v_or_b32_e32 v2, 0x100, v0
	v_cmp_gt_u32_e32 vcc, s30, v2
	s_and_saveexec_b64 s[0:1], vcc
	s_cbranch_execz .LBB22_9
; %bb.8:
	global_load_dword v4, v22, s[2:3] offset:1024
.LBB22_9:
	;; [unrolled: 8-line block ×7, first 2 shown]
	s_or_b64 exec, exec, s[0:1]
	v_or_b32_e32 v2, 0x400, v0
	v_cmp_gt_u32_e32 vcc, s30, v2
	s_and_saveexec_b64 s[0:1], vcc
	s_cbranch_execz .LBB22_21
; %bb.20:
	v_lshlrev_b32_e32 v2, 2, v2
	global_load_dword v10, v2, s[2:3]
.LBB22_21:
	s_or_b64 exec, exec, s[0:1]
	v_or_b32_e32 v2, 0x480, v0
	v_cmp_gt_u32_e32 vcc, s30, v2
	s_and_saveexec_b64 s[0:1], vcc
	s_cbranch_execz .LBB22_23
; %bb.22:
	v_lshlrev_b32_e32 v2, 2, v2
	global_load_dword v11, v2, s[2:3]
.LBB22_23:
	s_or_b64 exec, exec, s[0:1]
	s_waitcnt vmcnt(0)
	ds_write2st64_b32 v22, v1, v3 offset1:2
	ds_write2st64_b32 v22, v4, v5 offset0:4 offset1:6
	ds_write2st64_b32 v22, v6, v7 offset0:8 offset1:10
	;; [unrolled: 1-line block ×4, first 2 shown]
	s_waitcnt lgkmcnt(0)
	s_barrier
.LBB22_24:
	v_mul_u32_u24_e32 v23, 10, v0
	v_lshlrev_b32_e32 v1, 2, v23
	s_waitcnt lgkmcnt(0)
	ds_read2_b64 v[2:5], v1 offset1:1
	ds_read2_b64 v[16:19], v1 offset0:2 offset1:3
	ds_read_b64 v[20:21], v1 offset:32
	s_cmp_lg_u32 s6, 0
	v_lshrrev_b32_e32 v24, 5, v0
	v_cmp_gt_u32_e32 vcc, 64, v0
	s_waitcnt lgkmcnt(0)
	s_barrier
	s_cbranch_scc0 .LBB22_49
; %bb.25:
	v_add_u32_e32 v6, v3, v2
	v_add3_u32 v6, v6, v4, v5
	v_add3_u32 v6, v6, v16, v17
	v_add3_u32 v6, v6, v18, v19
	v_add3_u32 v6, v6, v20, v21
	v_add_lshl_u32 v7, v24, v0, 2
	ds_write_b32 v7, v6
	s_waitcnt lgkmcnt(0)
	s_barrier
	s_and_saveexec_b64 s[2:3], vcc
	s_cbranch_execz .LBB22_27
; %bb.26:
	v_lshlrev_b32_e32 v7, 1, v0
	v_lshrrev_b32_e32 v8, 4, v0
	v_add_lshl_u32 v7, v8, v7, 2
	ds_read2_b32 v[8:9], v7 offset1:1
	v_mbcnt_lo_u32_b32 v10, -1, 0
	v_mbcnt_hi_u32_b32 v10, -1, v10
	v_and_b32_e32 v11, 15, v10
	v_cmp_ne_u32_e64 s[0:1], 0, v11
	s_waitcnt lgkmcnt(0)
	v_add_u32_e32 v9, v9, v8
	; wave barrier
	s_nop 1
	v_mov_b32_dpp v12, v9 row_shr:1 row_mask:0xf bank_mask:0xf
	v_cndmask_b32_e64 v12, 0, v12, s[0:1]
	v_add_u32_e32 v9, v12, v9
	v_cmp_lt_u32_e64 s[0:1], 1, v11
	s_nop 0
	v_mov_b32_dpp v12, v9 row_shr:2 row_mask:0xf bank_mask:0xf
	v_cndmask_b32_e64 v12, 0, v12, s[0:1]
	v_add_u32_e32 v9, v9, v12
	v_cmp_lt_u32_e64 s[0:1], 3, v11
	;; [unrolled: 5-line block ×3, first 2 shown]
	s_nop 0
	v_mov_b32_dpp v12, v9 row_shr:8 row_mask:0xf bank_mask:0xf
	v_cndmask_b32_e64 v11, 0, v12, s[0:1]
	v_add_u32_e32 v9, v9, v11
	v_bfe_i32 v12, v10, 4, 1
	v_cmp_lt_u32_e64 s[0:1], 31, v10
	v_mov_b32_dpp v11, v9 row_bcast:15 row_mask:0xf bank_mask:0xf
	v_and_b32_e32 v11, v12, v11
	v_add_u32_e32 v9, v9, v11
	v_and_b32_e32 v12, 64, v10
	s_nop 0
	v_mov_b32_dpp v11, v9 row_bcast:31 row_mask:0xf bank_mask:0xf
	v_cndmask_b32_e64 v11, 0, v11, s[0:1]
	v_add_u32_e32 v9, v9, v11
	v_add_u32_e32 v11, -1, v10
	v_cmp_lt_i32_e64 s[0:1], v11, v12
	v_cndmask_b32_e64 v10, v11, v10, s[0:1]
	v_lshlrev_b32_e32 v10, 2, v10
	ds_bpermute_b32 v9, v10, v9
	v_cmp_eq_u32_e64 s[0:1], 0, v0
	s_waitcnt lgkmcnt(0)
	v_add_u32_e32 v8, v9, v8
	v_cndmask_b32_e64 v6, v8, v6, s[0:1]
	ds_write_b32 v7, v6
	; wave barrier
	ds_read_b32 v8, v7 offset:4
	s_waitcnt lgkmcnt(0)
	v_add_u32_e32 v6, v8, v6
	ds_write_b32 v7, v6 offset:4
.LBB22_27:
	s_or_b64 exec, exec, s[2:3]
	v_cmp_eq_u32_e64 s[0:1], 0, v0
	v_cmp_ne_u32_e64 s[2:3], 0, v0
	v_mov_b32_e32 v25, 0
	s_waitcnt lgkmcnt(0)
	s_barrier
	s_and_saveexec_b64 s[8:9], s[2:3]
	s_cbranch_execz .LBB22_29
; %bb.28:
	v_add_u32_e32 v6, -1, v0
	v_lshrrev_b32_e32 v7, 5, v6
	v_add_lshl_u32 v6, v7, v6, 2
	ds_read_b32 v25, v6
.LBB22_29:
	s_or_b64 exec, exec, s[8:9]
	s_and_saveexec_b64 s[8:9], vcc
	s_cbranch_execz .LBB22_48
; %bb.30:
	v_mov_b32_e32 v13, 0
	ds_read_b32 v6, v13 offset:520
	v_mbcnt_lo_u32_b32 v7, -1, 0
	v_mbcnt_hi_u32_b32 v9, -1, v7
	s_mov_b32 s13, 0
	v_cmp_eq_u32_e64 s[2:3], 0, v9
	s_and_saveexec_b64 s[10:11], s[2:3]
	s_cbranch_execz .LBB22_32
; %bb.31:
	s_add_i32 s12, s6, 64
	s_lshl_b64 s[12:13], s[12:13], 3
	s_add_u32 s12, s26, s12
	v_mov_b32_e32 v7, 1
	s_addc_u32 s13, s27, s13
	s_waitcnt lgkmcnt(0)
	global_store_dwordx2 v13, v[6:7], s[12:13]
.LBB22_32:
	s_or_b64 exec, exec, s[10:11]
	v_xad_u32 v8, v9, -1, s6
	v_add_u32_e32 v12, 64, v8
	v_lshlrev_b64 v[10:11], 3, v[12:13]
	v_mov_b32_e32 v7, s27
	v_add_co_u32_e32 v14, vcc, s26, v10
	v_addc_co_u32_e32 v15, vcc, v7, v11, vcc
	global_load_dwordx2 v[10:11], v[14:15], off glc
	s_waitcnt vmcnt(0)
	v_cmp_eq_u16_sdwa s[12:13], v11, v13 src0_sel:BYTE_0 src1_sel:DWORD
	s_and_saveexec_b64 s[10:11], s[12:13]
	s_cbranch_execz .LBB22_36
; %bb.33:
	s_mov_b64 s[12:13], 0
	v_mov_b32_e32 v7, 0
.LBB22_34:                              ; =>This Inner Loop Header: Depth=1
	global_load_dwordx2 v[10:11], v[14:15], off glc
	s_waitcnt vmcnt(0)
	v_cmp_ne_u16_sdwa s[14:15], v11, v7 src0_sel:BYTE_0 src1_sel:DWORD
	s_or_b64 s[12:13], s[14:15], s[12:13]
	s_andn2_b64 exec, exec, s[12:13]
	s_cbranch_execnz .LBB22_34
; %bb.35:
	s_or_b64 exec, exec, s[12:13]
.LBB22_36:
	s_or_b64 exec, exec, s[10:11]
	v_and_b32_e32 v26, 63, v9
	v_mov_b32_e32 v7, 2
	v_cmp_ne_u32_e32 vcc, 63, v26
	v_cmp_eq_u16_sdwa s[10:11], v11, v7 src0_sel:BYTE_0 src1_sel:DWORD
	v_lshlrev_b64 v[12:13], v9, -1
	v_addc_co_u32_e32 v27, vcc, 0, v9, vcc
	v_and_b32_e32 v14, s11, v13
	v_lshlrev_b32_e32 v27, 2, v27
	v_or_b32_e32 v14, 0x80000000, v14
	ds_bpermute_b32 v28, v27, v10
	v_and_b32_e32 v15, s10, v12
	v_ffbl_b32_e32 v14, v14
	v_add_u32_e32 v14, 32, v14
	v_ffbl_b32_e32 v15, v15
	v_min_u32_e32 v14, v15, v14
	v_cmp_lt_u32_e32 vcc, v26, v14
	s_waitcnt lgkmcnt(0)
	v_cndmask_b32_e32 v15, 0, v28, vcc
	v_cmp_gt_u32_e32 vcc, 62, v26
	v_add_u32_e32 v10, v15, v10
	v_cndmask_b32_e64 v15, 0, 1, vcc
	v_lshlrev_b32_e32 v15, 1, v15
	v_add_lshl_u32 v28, v15, v9, 2
	ds_bpermute_b32 v15, v28, v10
	v_add_u32_e32 v29, 2, v26
	v_cmp_le_u32_e32 vcc, v29, v14
	v_add_u32_e32 v31, 4, v26
	v_add_u32_e32 v33, 8, v26
	s_waitcnt lgkmcnt(0)
	v_cndmask_b32_e32 v15, 0, v15, vcc
	v_cmp_gt_u32_e32 vcc, 60, v26
	v_add_u32_e32 v10, v10, v15
	v_cndmask_b32_e64 v15, 0, 1, vcc
	v_lshlrev_b32_e32 v15, 2, v15
	v_add_lshl_u32 v30, v15, v9, 2
	ds_bpermute_b32 v15, v30, v10
	v_cmp_le_u32_e32 vcc, v31, v14
	v_add_u32_e32 v36, 16, v26
	v_add_u32_e32 v38, 32, v26
	s_waitcnt lgkmcnt(0)
	v_cndmask_b32_e32 v15, 0, v15, vcc
	v_cmp_gt_u32_e32 vcc, 56, v26
	v_add_u32_e32 v10, v10, v15
	v_cndmask_b32_e64 v15, 0, 1, vcc
	v_lshlrev_b32_e32 v15, 3, v15
	v_add_lshl_u32 v32, v15, v9, 2
	ds_bpermute_b32 v15, v32, v10
	v_cmp_le_u32_e32 vcc, v33, v14
	s_waitcnt lgkmcnt(0)
	v_cndmask_b32_e32 v15, 0, v15, vcc
	v_cmp_gt_u32_e32 vcc, 48, v26
	v_add_u32_e32 v10, v10, v15
	v_cndmask_b32_e64 v15, 0, 1, vcc
	v_lshlrev_b32_e32 v15, 4, v15
	v_add_lshl_u32 v35, v15, v9, 2
	ds_bpermute_b32 v15, v35, v10
	v_cmp_le_u32_e32 vcc, v36, v14
	;; [unrolled: 9-line block ×3, first 2 shown]
	s_waitcnt lgkmcnt(0)
	v_cndmask_b32_e32 v9, 0, v9, vcc
	v_add_u32_e32 v10, v10, v9
	v_mov_b32_e32 v9, 0
	s_branch .LBB22_38
.LBB22_37:                              ;   in Loop: Header=BB22_38 Depth=1
	s_or_b64 exec, exec, s[10:11]
	v_cmp_eq_u16_sdwa s[10:11], v11, v7 src0_sel:BYTE_0 src1_sel:DWORD
	v_and_b32_e32 v14, s11, v13
	v_or_b32_e32 v14, 0x80000000, v14
	ds_bpermute_b32 v39, v27, v10
	v_and_b32_e32 v15, s10, v12
	v_ffbl_b32_e32 v14, v14
	v_add_u32_e32 v14, 32, v14
	v_ffbl_b32_e32 v15, v15
	v_min_u32_e32 v14, v15, v14
	v_cmp_lt_u32_e32 vcc, v26, v14
	s_waitcnt lgkmcnt(0)
	v_cndmask_b32_e32 v15, 0, v39, vcc
	v_add_u32_e32 v10, v15, v10
	ds_bpermute_b32 v15, v28, v10
	v_cmp_le_u32_e32 vcc, v29, v14
	v_subrev_u32_e32 v8, 64, v8
	s_waitcnt lgkmcnt(0)
	v_cndmask_b32_e32 v15, 0, v15, vcc
	v_add_u32_e32 v10, v10, v15
	ds_bpermute_b32 v15, v30, v10
	v_cmp_le_u32_e32 vcc, v31, v14
	s_waitcnt lgkmcnt(0)
	v_cndmask_b32_e32 v15, 0, v15, vcc
	v_add_u32_e32 v10, v10, v15
	ds_bpermute_b32 v15, v32, v10
	v_cmp_le_u32_e32 vcc, v33, v14
	;; [unrolled: 5-line block ×4, first 2 shown]
	s_waitcnt lgkmcnt(0)
	v_cndmask_b32_e32 v14, 0, v15, vcc
	v_add3_u32 v10, v14, v34, v10
.LBB22_38:                              ; =>This Loop Header: Depth=1
                                        ;     Child Loop BB22_41 Depth 2
	v_cmp_ne_u16_sdwa s[10:11], v11, v7 src0_sel:BYTE_0 src1_sel:DWORD
	v_cndmask_b32_e64 v11, 0, 1, s[10:11]
	;;#ASMSTART
	;;#ASMEND
	v_cmp_ne_u32_e32 vcc, 0, v11
	s_cmp_lg_u64 vcc, exec
	v_mov_b32_e32 v34, v10
	s_cbranch_scc1 .LBB22_43
; %bb.39:                               ;   in Loop: Header=BB22_38 Depth=1
	v_lshlrev_b64 v[10:11], 3, v[8:9]
	v_mov_b32_e32 v15, s27
	v_add_co_u32_e32 v14, vcc, s26, v10
	v_addc_co_u32_e32 v15, vcc, v15, v11, vcc
	global_load_dwordx2 v[10:11], v[14:15], off glc
	s_waitcnt vmcnt(0)
	v_cmp_eq_u16_sdwa s[12:13], v11, v9 src0_sel:BYTE_0 src1_sel:DWORD
	s_and_saveexec_b64 s[10:11], s[12:13]
	s_cbranch_execz .LBB22_37
; %bb.40:                               ;   in Loop: Header=BB22_38 Depth=1
	s_mov_b64 s[12:13], 0
.LBB22_41:                              ;   Parent Loop BB22_38 Depth=1
                                        ; =>  This Inner Loop Header: Depth=2
	global_load_dwordx2 v[10:11], v[14:15], off glc
	s_waitcnt vmcnt(0)
	v_cmp_ne_u16_sdwa s[14:15], v11, v9 src0_sel:BYTE_0 src1_sel:DWORD
	s_or_b64 s[12:13], s[14:15], s[12:13]
	s_andn2_b64 exec, exec, s[12:13]
	s_cbranch_execnz .LBB22_41
; %bb.42:                               ;   in Loop: Header=BB22_38 Depth=1
	s_or_b64 exec, exec, s[12:13]
	s_branch .LBB22_37
.LBB22_43:                              ;   in Loop: Header=BB22_38 Depth=1
                                        ; implicit-def: $vgpr10
                                        ; implicit-def: $vgpr11
	s_cbranch_execz .LBB22_38
; %bb.44:
	s_and_saveexec_b64 s[10:11], s[2:3]
	s_cbranch_execz .LBB22_46
; %bb.45:
	s_add_i32 s2, s6, 64
	s_mov_b32 s3, 0
	s_lshl_b64 s[2:3], s[2:3], 3
	s_add_u32 s2, s26, s2
	v_add_u32_e32 v6, v34, v6
	v_mov_b32_e32 v7, 2
	s_addc_u32 s3, s27, s3
	v_mov_b32_e32 v8, 0
	global_store_dwordx2 v8, v[6:7], s[2:3]
.LBB22_46:
	s_or_b64 exec, exec, s[10:11]
	s_and_b64 exec, exec, s[0:1]
	s_cbranch_execz .LBB22_48
; %bb.47:
	v_mov_b32_e32 v6, 0
	ds_write_b32 v6, v34
.LBB22_48:
	s_or_b64 exec, exec, s[8:9]
	v_mov_b32_e32 v6, 0
	s_waitcnt lgkmcnt(0)
	s_barrier
	ds_read_b32 v6, v6
	s_waitcnt lgkmcnt(0)
	v_add3_u32 v6, v25, v2, v6
	v_add_u32_e32 v7, v6, v3
	v_add_u32_e32 v8, v7, v4
	;; [unrolled: 1-line block ×9, first 2 shown]
	s_load_dwordx8 s[4:11], s[4:5], 0x38
	s_branch .LBB22_61
.LBB22_49:
                                        ; implicit-def: $vgpr6_vgpr7_vgpr8_vgpr9_vgpr10_vgpr11_vgpr12_vgpr13_vgpr14_vgpr15
	s_load_dwordx8 s[4:11], s[4:5], 0x38
	s_cbranch_execz .LBB22_61
; %bb.50:
	s_waitcnt lgkmcnt(0)
	s_cmp_lg_u64 s[8:9], 0
	s_cselect_b64 s[2:3], -1, 0
	v_cmp_eq_u32_e64 s[0:1], 0, v0
	v_cmp_ne_u32_e32 vcc, 0, v0
	s_and_b64 s[8:9], s[0:1], s[2:3]
	v_mov_b32_e32 v12, v3
	v_mov_b32_e32 v13, v4
	;; [unrolled: 1-line block ×3, first 2 shown]
	s_and_saveexec_b64 s[2:3], s[8:9]
	s_cbranch_execz .LBB22_52
; %bb.51:
	v_mov_b32_e32 v6, 0
	global_load_dword v6, v6, s[4:5]
	v_mov_b32_e32 v12, v3
	v_mov_b32_e32 v13, v4
	;; [unrolled: 1-line block ×3, first 2 shown]
	s_waitcnt vmcnt(0)
	v_add_u32_e32 v2, v6, v2
.LBB22_52:
	s_or_b64 exec, exec, s[2:3]
	v_add_u32_e32 v3, v12, v2
	v_add_u32_e32 v4, v3, v13
	;; [unrolled: 1-line block ×9, first 2 shown]
	v_add_lshl_u32 v15, v24, v0, 2
	v_cmp_gt_u32_e64 s[2:3], 64, v0
	ds_write_b32 v15, v11
	s_waitcnt lgkmcnt(0)
	s_barrier
	s_and_saveexec_b64 s[4:5], s[2:3]
	s_cbranch_execz .LBB22_54
; %bb.53:
	v_lshlrev_b32_e32 v15, 1, v0
	v_lshrrev_b32_e32 v24, 4, v0
	v_add_lshl_u32 v15, v24, v15, 2
	ds_read2_b32 v[24:25], v15 offset1:1
	v_mbcnt_lo_u32_b32 v26, -1, 0
	v_mbcnt_hi_u32_b32 v26, -1, v26
	v_and_b32_e32 v27, 15, v26
	v_cmp_ne_u32_e64 s[2:3], 0, v27
	s_waitcnt lgkmcnt(0)
	v_add_u32_e32 v25, v25, v24
	; wave barrier
	s_nop 1
	v_mov_b32_dpp v28, v25 row_shr:1 row_mask:0xf bank_mask:0xf
	v_cndmask_b32_e64 v28, 0, v28, s[2:3]
	v_add_u32_e32 v25, v28, v25
	v_cmp_lt_u32_e64 s[2:3], 1, v27
	s_nop 0
	v_mov_b32_dpp v28, v25 row_shr:2 row_mask:0xf bank_mask:0xf
	v_cndmask_b32_e64 v28, 0, v28, s[2:3]
	v_add_u32_e32 v25, v25, v28
	v_cmp_lt_u32_e64 s[2:3], 3, v27
	;; [unrolled: 5-line block ×3, first 2 shown]
	s_nop 0
	v_mov_b32_dpp v28, v25 row_shr:8 row_mask:0xf bank_mask:0xf
	v_cndmask_b32_e64 v27, 0, v28, s[2:3]
	v_add_u32_e32 v25, v25, v27
	v_bfe_i32 v28, v26, 4, 1
	v_cmp_lt_u32_e64 s[2:3], 31, v26
	v_mov_b32_dpp v27, v25 row_bcast:15 row_mask:0xf bank_mask:0xf
	v_and_b32_e32 v27, v28, v27
	v_add_u32_e32 v25, v25, v27
	v_and_b32_e32 v28, 64, v26
	s_nop 0
	v_mov_b32_dpp v27, v25 row_bcast:31 row_mask:0xf bank_mask:0xf
	v_cndmask_b32_e64 v27, 0, v27, s[2:3]
	v_add_u32_e32 v25, v25, v27
	v_add_u32_e32 v27, -1, v26
	v_cmp_lt_i32_e64 s[2:3], v27, v28
	v_cndmask_b32_e64 v26, v27, v26, s[2:3]
	v_lshlrev_b32_e32 v26, 2, v26
	ds_bpermute_b32 v25, v26, v25
	s_waitcnt lgkmcnt(0)
	v_add_u32_e32 v24, v25, v24
	v_cndmask_b32_e64 v24, v24, v11, s[0:1]
	ds_write_b32 v15, v24
	; wave barrier
	ds_read_b32 v25, v15 offset:4
	s_waitcnt lgkmcnt(0)
	v_add_u32_e32 v24, v25, v24
	ds_write_b32 v15, v24 offset:4
.LBB22_54:
	s_or_b64 exec, exec, s[4:5]
	v_mov_b32_e32 v15, v11
	s_waitcnt lgkmcnt(0)
	s_barrier
	s_and_saveexec_b64 s[0:1], vcc
	s_cbranch_execz .LBB22_56
; %bb.55:
	v_add_u32_e32 v15, -1, v0
	v_lshrrev_b32_e32 v24, 5, v15
	v_add_lshl_u32 v15, v24, v15, 2
	ds_read_b32 v15, v15
.LBB22_56:
	s_or_b64 exec, exec, s[0:1]
	s_and_saveexec_b64 s[0:1], vcc
	s_cbranch_execz .LBB22_58
; %bb.57:
	s_waitcnt lgkmcnt(0)
	v_add_u32_e32 v2, v15, v2
	v_add_u32_e32 v3, v2, v12
	;; [unrolled: 1-line block ×10, first 2 shown]
	;;#ASMSTART
	;;#ASMEND
.LBB22_58:
	s_or_b64 exec, exec, s[0:1]
	s_movk_i32 s0, 0x7f
	v_cmp_eq_u32_e32 vcc, s0, v0
	s_and_saveexec_b64 s[0:1], vcc
	s_cbranch_execz .LBB22_60
; %bb.59:
	v_mov_b32_e32 v14, 0
	v_mov_b32_e32 v13, 2
	;; [unrolled: 1-line block ×3, first 2 shown]
	global_store_dwordx2 v14, v[12:13], s[26:27] offset:512
.LBB22_60:
	s_or_b64 exec, exec, s[0:1]
	s_waitcnt lgkmcnt(0)
	v_pk_mov_b32 v[14:15], v[10:11], v[10:11] op_sel:[0,1]
	v_pk_mov_b32 v[12:13], v[8:9], v[8:9] op_sel:[0,1]
	;; [unrolled: 1-line block ×5, first 2 shown]
.LBB22_61:
	s_add_u32 s0, s20, s18
	s_addc_u32 s1, s21, s19
	s_add_u32 s0, s0, s24
	s_addc_u32 s1, s1, s25
	s_mov_b64 s[2:3], -1
	s_and_b64 vcc, exec, s[22:23]
	s_waitcnt lgkmcnt(0)
	s_barrier
	s_cbranch_vccz .LBB22_63
; %bb.62:
	ds_write2_b64 v1, v[6:7], v[8:9] offset1:1
	ds_write2_b64 v1, v[10:11], v[12:13] offset0:2 offset1:3
	ds_write_b64 v1, v[14:15] offset:32
	s_waitcnt lgkmcnt(0)
	s_barrier
	ds_read2st64_b32 v[2:3], v22 offset1:2
	ds_read2st64_b32 v[4:5], v22 offset0:4 offset1:6
	ds_read2st64_b32 v[16:17], v22 offset0:8 offset1:10
	;; [unrolled: 1-line block ×4, first 2 shown]
	v_mov_b32_e32 v24, s1
	v_add_co_u32_e32 v25, vcc, s0, v22
	v_addc_co_u32_e32 v24, vcc, 0, v24, vcc
	s_waitcnt lgkmcnt(4)
	global_store_dword v22, v2, s[0:1]
	global_store_dword v22, v3, s[0:1] offset:512
	s_waitcnt lgkmcnt(3)
	global_store_dword v22, v4, s[0:1] offset:1024
	global_store_dword v22, v5, s[0:1] offset:1536
	s_waitcnt lgkmcnt(2)
	global_store_dword v22, v16, s[0:1] offset:2048
	;; [unrolled: 3-line block ×3, first 2 shown]
	global_store_dword v22, v19, s[0:1] offset:3584
	v_add_co_u32_e32 v2, vcc, 0x1000, v25
	v_addc_co_u32_e32 v3, vcc, 0, v24, vcc
	s_waitcnt lgkmcnt(0)
	global_store_dword v[2:3], v20, off
	global_store_dword v[2:3], v21, off offset:512
	s_mov_b64 s[2:3], 0
.LBB22_63:
	s_andn2_b64 vcc, exec, s[2:3]
	s_cbranch_vccnz .LBB22_119
; %bb.64:
	ds_write2_b64 v1, v[6:7], v[8:9] offset1:1
	ds_write2_b64 v1, v[10:11], v[12:13] offset0:2 offset1:3
	ds_write_b64 v1, v[14:15] offset:32
	s_waitcnt lgkmcnt(0)
	s_barrier
	ds_read2st64_b32 v[2:3], v22 offset1:2
	ds_read2st64_b32 v[6:7], v22 offset0:4 offset1:6
	ds_read2st64_b32 v[4:5], v22 offset0:8 offset1:10
	;; [unrolled: 1-line block ×4, first 2 shown]
	v_mov_b32_e32 v13, s1
	v_add_co_u32_e32 v12, vcc, s0, v22
	v_addc_co_u32_e32 v13, vcc, 0, v13, vcc
	v_mov_b32_e32 v1, 0
	v_cmp_gt_u32_e32 vcc, s30, v0
	s_and_saveexec_b64 s[0:1], vcc
	s_cbranch_execz .LBB22_66
; %bb.65:
	s_waitcnt lgkmcnt(4)
	global_store_dword v[12:13], v2, off
.LBB22_66:
	s_or_b64 exec, exec, s[0:1]
	v_or_b32_e32 v14, 0x80, v0
	v_cmp_gt_u32_e32 vcc, s30, v14
	s_and_saveexec_b64 s[0:1], vcc
	s_cbranch_execz .LBB22_68
; %bb.67:
	s_waitcnt lgkmcnt(4)
	global_store_dword v[12:13], v3, off offset:512
.LBB22_68:
	s_or_b64 exec, exec, s[0:1]
	v_or_b32_e32 v14, 0x100, v0
	v_cmp_gt_u32_e32 vcc, s30, v14
	s_and_saveexec_b64 s[0:1], vcc
	s_cbranch_execz .LBB22_70
; %bb.69:
	s_waitcnt lgkmcnt(3)
	global_store_dword v[12:13], v6, off offset:1024
.LBB22_70:
	;; [unrolled: 9-line block ×7, first 2 shown]
	s_or_b64 exec, exec, s[0:1]
	v_or_b32_e32 v14, 0x400, v0
	v_cmp_gt_u32_e32 vcc, s30, v14
	s_and_saveexec_b64 s[0:1], vcc
	s_cbranch_execz .LBB22_82
; %bb.81:
	v_add_co_u32_e32 v14, vcc, 0x1000, v12
	v_addc_co_u32_e32 v15, vcc, 0, v13, vcc
	s_waitcnt lgkmcnt(0)
	global_store_dword v[14:15], v10, off
.LBB22_82:
	s_or_b64 exec, exec, s[0:1]
	v_or_b32_e32 v14, 0x480, v0
	v_cmp_gt_u32_e32 vcc, s30, v14
	s_and_saveexec_b64 s[0:1], vcc
	s_cbranch_execz .LBB22_84
; %bb.83:
	v_add_co_u32_e32 v12, vcc, 0x1000, v12
	v_addc_co_u32_e32 v13, vcc, 0, v13, vcc
	s_waitcnt lgkmcnt(0)
	global_store_dword v[12:13], v11, off offset:512
.LBB22_84:
	s_or_b64 exec, exec, s[0:1]
	v_cmp_lt_u64_e64 s[0:1], s[10:11], 2
	s_and_b64 vcc, exec, s[0:1]
	s_cbranch_vccnz .LBB22_119
; %bb.85:
	s_add_u32 s0, s30, -1
	s_addc_u32 s1, s31, -1
	s_add_u32 s2, 0, 0x99986000
	s_addc_u32 s3, 0, 0x59
	s_add_i32 s3, s3, 0x19999940
	s_mul_hi_u32 s9, s2, -10
	s_sub_i32 s9, s9, s2
	s_mul_i32 s10, s3, -10
	s_mul_i32 s4, s2, -10
	s_add_i32 s9, s9, s10
	s_mul_hi_u32 s5, s3, s4
	s_mul_i32 s8, s3, s4
	s_mul_i32 s11, s2, s9
	s_mul_hi_u32 s4, s2, s4
	s_mul_hi_u32 s10, s2, s9
	s_add_u32 s4, s4, s11
	s_addc_u32 s10, 0, s10
	s_add_u32 s4, s4, s8
	s_mul_hi_u32 s11, s3, s9
	s_addc_u32 s4, s10, s5
	s_addc_u32 s5, s11, 0
	s_mul_i32 s8, s3, s9
	s_add_u32 s4, s4, s8
	v_mov_b32_e32 v12, s4
	s_addc_u32 s5, 0, s5
	v_add_co_u32_e32 v12, vcc, s2, v12
	s_cmp_lg_u64 vcc, 0
	s_addc_u32 s2, s3, s5
	v_readfirstlane_b32 s5, v12
	s_mul_i32 s4, s0, s2
	s_mul_hi_u32 s8, s0, s5
	s_mul_hi_u32 s3, s0, s2
	s_add_u32 s4, s8, s4
	s_addc_u32 s3, 0, s3
	s_mul_hi_u32 s9, s1, s5
	s_mul_i32 s5, s1, s5
	s_add_u32 s4, s4, s5
	s_mul_hi_u32 s8, s1, s2
	s_addc_u32 s3, s3, s9
	s_addc_u32 s4, s8, 0
	s_mul_i32 s2, s1, s2
	s_add_u32 s2, s3, s2
	s_addc_u32 s3, 0, s4
	s_add_u32 s4, s2, 1
	s_addc_u32 s5, s3, 0
	s_add_u32 s8, s2, 2
	s_mul_i32 s10, s3, 10
	s_mul_hi_u32 s11, s2, 10
	s_addc_u32 s9, s3, 0
	s_add_i32 s11, s11, s10
	s_mul_i32 s10, s2, 10
	v_mov_b32_e32 v12, s10
	v_sub_co_u32_e32 v12, vcc, s0, v12
	s_cmp_lg_u64 vcc, 0
	s_subb_u32 s10, s1, s11
	v_subrev_co_u32_e32 v13, vcc, 10, v12
	s_cmp_lg_u64 vcc, 0
	s_subb_u32 s11, s10, 0
	v_readfirstlane_b32 s12, v13
	s_cmp_gt_u32 s12, 9
	s_cselect_b32 s12, -1, 0
	s_cmp_eq_u32 s11, 0
	s_cselect_b32 s11, s12, -1
	s_cmp_lg_u32 s11, 0
	s_cselect_b32 s4, s8, s4
	v_readfirstlane_b32 s8, v12
	s_cselect_b32 s5, s9, s5
	s_cmp_gt_u32 s8, 9
	s_cselect_b32 s8, -1, 0
	s_cmp_eq_u32 s10, 0
	s_cselect_b32 s8, s8, -1
	s_cmp_lg_u32 s8, 0
	s_cselect_b32 s3, s5, s3
	s_cselect_b32 s2, s4, s2
	v_cmp_eq_u64_e32 vcc, s[2:3], v[0:1]
	s_and_saveexec_b64 s[2:3], vcc
	s_cbranch_execz .LBB22_119
; %bb.86:
	v_mul_hi_u32_u24_e32 v1, 10, v0
	v_mov_b32_e32 v12, s1
	v_sub_co_u32_e32 v0, vcc, s0, v23
	v_subb_co_u32_e32 v1, vcc, v12, v1, vcc
	v_cmp_lt_i64_e32 vcc, 4, v[0:1]
	s_and_saveexec_b64 s[0:1], vcc
	s_xor_b64 s[0:1], exec, s[0:1]
	s_cbranch_execz .LBB22_104
; %bb.87:
	v_cmp_lt_i64_e32 vcc, 6, v[0:1]
	s_and_saveexec_b64 s[2:3], vcc
	s_xor_b64 s[2:3], exec, s[2:3]
	s_cbranch_execz .LBB22_97
; %bb.88:
	;; [unrolled: 5-line block ×4, first 2 shown]
	v_mov_b32_e32 v0, 0
	s_waitcnt lgkmcnt(0)
	global_store_dword v0, v11, s[6:7]
                                        ; implicit-def: $vgpr10_vgpr11
.LBB22_91:
	s_andn2_saveexec_b64 s[8:9], s[8:9]
	s_cbranch_execz .LBB22_93
; %bb.92:
	v_mov_b32_e32 v0, 0
	s_waitcnt lgkmcnt(0)
	global_store_dword v0, v10, s[6:7]
.LBB22_93:
	s_or_b64 exec, exec, s[8:9]
                                        ; implicit-def: $vgpr8_vgpr9
.LBB22_94:
	s_andn2_saveexec_b64 s[4:5], s[4:5]
	s_cbranch_execz .LBB22_96
; %bb.95:
	v_mov_b32_e32 v0, 0
	s_waitcnt lgkmcnt(1)
	global_store_dword v0, v9, s[6:7]
.LBB22_96:
	s_or_b64 exec, exec, s[4:5]
                                        ; implicit-def: $vgpr4_vgpr5
                                        ; implicit-def: $vgpr0_vgpr1
                                        ; implicit-def: $vgpr8_vgpr9
.LBB22_97:
	s_andn2_saveexec_b64 s[2:3], s[2:3]
	s_cbranch_execz .LBB22_103
; %bb.98:
	v_cmp_lt_i64_e32 vcc, 5, v[0:1]
	s_and_saveexec_b64 s[4:5], vcc
	s_xor_b64 s[4:5], exec, s[4:5]
	s_cbranch_execz .LBB22_100
; %bb.99:
	v_mov_b32_e32 v0, 0
	s_waitcnt lgkmcnt(1)
	global_store_dword v0, v8, s[6:7]
                                        ; implicit-def: $vgpr4_vgpr5
.LBB22_100:
	s_andn2_saveexec_b64 s[4:5], s[4:5]
	s_cbranch_execz .LBB22_102
; %bb.101:
	v_mov_b32_e32 v0, 0
	s_waitcnt lgkmcnt(2)
	global_store_dword v0, v5, s[6:7]
.LBB22_102:
	s_or_b64 exec, exec, s[4:5]
.LBB22_103:
	s_or_b64 exec, exec, s[2:3]
                                        ; implicit-def: $vgpr0_vgpr1
                                        ; implicit-def: $vgpr6_vgpr7
                                        ; implicit-def: $vgpr2_vgpr3
                                        ; implicit-def: $vgpr4_vgpr5
.LBB22_104:
	s_andn2_saveexec_b64 s[0:1], s[0:1]
	s_cbranch_execz .LBB22_119
; %bb.105:
	v_cmp_lt_i64_e32 vcc, 2, v[0:1]
	s_and_saveexec_b64 s[0:1], vcc
	s_xor_b64 s[0:1], exec, s[0:1]
	s_cbranch_execz .LBB22_111
; %bb.106:
	v_cmp_lt_i64_e32 vcc, 3, v[0:1]
	s_and_saveexec_b64 s[2:3], vcc
	s_xor_b64 s[2:3], exec, s[2:3]
	s_cbranch_execz .LBB22_108
; %bb.107:
	v_mov_b32_e32 v0, 0
	s_waitcnt lgkmcnt(2)
	global_store_dword v0, v4, s[6:7]
                                        ; implicit-def: $vgpr6_vgpr7
.LBB22_108:
	s_andn2_saveexec_b64 s[2:3], s[2:3]
	s_cbranch_execz .LBB22_110
; %bb.109:
	v_mov_b32_e32 v0, 0
	s_waitcnt lgkmcnt(3)
	global_store_dword v0, v7, s[6:7]
.LBB22_110:
	s_or_b64 exec, exec, s[2:3]
                                        ; implicit-def: $vgpr0_vgpr1
                                        ; implicit-def: $vgpr6_vgpr7
                                        ; implicit-def: $vgpr2_vgpr3
.LBB22_111:
	s_andn2_saveexec_b64 s[0:1], s[0:1]
	s_cbranch_execz .LBB22_119
; %bb.112:
	v_cmp_lt_i64_e32 vcc, 1, v[0:1]
	s_and_saveexec_b64 s[0:1], vcc
	s_xor_b64 s[0:1], exec, s[0:1]
	s_cbranch_execz .LBB22_114
; %bb.113:
	v_mov_b32_e32 v0, 0
	s_waitcnt lgkmcnt(3)
	global_store_dword v0, v6, s[6:7]
                                        ; implicit-def: $vgpr2_vgpr3
                                        ; implicit-def: $vgpr0_vgpr1
.LBB22_114:
	s_andn2_saveexec_b64 s[0:1], s[0:1]
	s_cbranch_execz .LBB22_119
; %bb.115:
	v_cmp_ne_u64_e32 vcc, 1, v[0:1]
	s_and_saveexec_b64 s[0:1], vcc
	s_xor_b64 s[0:1], exec, s[0:1]
	s_cbranch_execz .LBB22_117
; %bb.116:
	v_mov_b32_e32 v0, 0
	s_waitcnt lgkmcnt(4)
	global_store_dword v0, v2, s[6:7]
                                        ; implicit-def: $vgpr2_vgpr3
.LBB22_117:
	s_andn2_saveexec_b64 s[0:1], s[0:1]
	s_cbranch_execz .LBB22_119
; %bb.118:
	v_mov_b32_e32 v0, 0
	s_waitcnt lgkmcnt(4)
	global_store_dword v0, v3, s[6:7]
.LBB22_119:
	s_endpgm
	.section	.rodata,"a",@progbits
	.p2align	6, 0x0
	.amdhsa_kernel _ZN7rocprim17ROCPRIM_400000_NS6detail17trampoline_kernelINS0_14default_configENS1_20scan_config_selectorIiEEZZNS1_9scan_implILNS1_25lookback_scan_determinismE0ELb0ELb0ES3_PiS8_iN6thrust23THRUST_200600_302600_NS4plusIvEEiEEDaPvRmT3_T4_T5_mT6_P12ihipStream_tbENKUlT_T0_E_clISt17integral_constantIbLb0EESQ_EEDaSL_SM_EUlSL_E_NS1_11comp_targetILNS1_3genE4ELNS1_11target_archE910ELNS1_3gpuE8ELNS1_3repE0EEENS1_30default_config_static_selectorELNS0_4arch9wavefront6targetE1EEEvT1_
		.amdhsa_group_segment_fixed_size 5120
		.amdhsa_private_segment_fixed_size 0
		.amdhsa_kernarg_size 96
		.amdhsa_user_sgpr_count 6
		.amdhsa_user_sgpr_private_segment_buffer 1
		.amdhsa_user_sgpr_dispatch_ptr 0
		.amdhsa_user_sgpr_queue_ptr 0
		.amdhsa_user_sgpr_kernarg_segment_ptr 1
		.amdhsa_user_sgpr_dispatch_id 0
		.amdhsa_user_sgpr_flat_scratch_init 0
		.amdhsa_user_sgpr_kernarg_preload_length 0
		.amdhsa_user_sgpr_kernarg_preload_offset 0
		.amdhsa_user_sgpr_private_segment_size 0
		.amdhsa_uses_dynamic_stack 0
		.amdhsa_system_sgpr_private_segment_wavefront_offset 0
		.amdhsa_system_sgpr_workgroup_id_x 1
		.amdhsa_system_sgpr_workgroup_id_y 0
		.amdhsa_system_sgpr_workgroup_id_z 0
		.amdhsa_system_sgpr_workgroup_info 0
		.amdhsa_system_vgpr_workitem_id 0
		.amdhsa_next_free_vgpr 40
		.amdhsa_next_free_sgpr 32
		.amdhsa_accum_offset 40
		.amdhsa_reserve_vcc 1
		.amdhsa_reserve_flat_scratch 0
		.amdhsa_float_round_mode_32 0
		.amdhsa_float_round_mode_16_64 0
		.amdhsa_float_denorm_mode_32 3
		.amdhsa_float_denorm_mode_16_64 3
		.amdhsa_dx10_clamp 1
		.amdhsa_ieee_mode 1
		.amdhsa_fp16_overflow 0
		.amdhsa_tg_split 0
		.amdhsa_exception_fp_ieee_invalid_op 0
		.amdhsa_exception_fp_denorm_src 0
		.amdhsa_exception_fp_ieee_div_zero 0
		.amdhsa_exception_fp_ieee_overflow 0
		.amdhsa_exception_fp_ieee_underflow 0
		.amdhsa_exception_fp_ieee_inexact 0
		.amdhsa_exception_int_div_zero 0
	.end_amdhsa_kernel
	.section	.text._ZN7rocprim17ROCPRIM_400000_NS6detail17trampoline_kernelINS0_14default_configENS1_20scan_config_selectorIiEEZZNS1_9scan_implILNS1_25lookback_scan_determinismE0ELb0ELb0ES3_PiS8_iN6thrust23THRUST_200600_302600_NS4plusIvEEiEEDaPvRmT3_T4_T5_mT6_P12ihipStream_tbENKUlT_T0_E_clISt17integral_constantIbLb0EESQ_EEDaSL_SM_EUlSL_E_NS1_11comp_targetILNS1_3genE4ELNS1_11target_archE910ELNS1_3gpuE8ELNS1_3repE0EEENS1_30default_config_static_selectorELNS0_4arch9wavefront6targetE1EEEvT1_,"axG",@progbits,_ZN7rocprim17ROCPRIM_400000_NS6detail17trampoline_kernelINS0_14default_configENS1_20scan_config_selectorIiEEZZNS1_9scan_implILNS1_25lookback_scan_determinismE0ELb0ELb0ES3_PiS8_iN6thrust23THRUST_200600_302600_NS4plusIvEEiEEDaPvRmT3_T4_T5_mT6_P12ihipStream_tbENKUlT_T0_E_clISt17integral_constantIbLb0EESQ_EEDaSL_SM_EUlSL_E_NS1_11comp_targetILNS1_3genE4ELNS1_11target_archE910ELNS1_3gpuE8ELNS1_3repE0EEENS1_30default_config_static_selectorELNS0_4arch9wavefront6targetE1EEEvT1_,comdat
.Lfunc_end22:
	.size	_ZN7rocprim17ROCPRIM_400000_NS6detail17trampoline_kernelINS0_14default_configENS1_20scan_config_selectorIiEEZZNS1_9scan_implILNS1_25lookback_scan_determinismE0ELb0ELb0ES3_PiS8_iN6thrust23THRUST_200600_302600_NS4plusIvEEiEEDaPvRmT3_T4_T5_mT6_P12ihipStream_tbENKUlT_T0_E_clISt17integral_constantIbLb0EESQ_EEDaSL_SM_EUlSL_E_NS1_11comp_targetILNS1_3genE4ELNS1_11target_archE910ELNS1_3gpuE8ELNS1_3repE0EEENS1_30default_config_static_selectorELNS0_4arch9wavefront6targetE1EEEvT1_, .Lfunc_end22-_ZN7rocprim17ROCPRIM_400000_NS6detail17trampoline_kernelINS0_14default_configENS1_20scan_config_selectorIiEEZZNS1_9scan_implILNS1_25lookback_scan_determinismE0ELb0ELb0ES3_PiS8_iN6thrust23THRUST_200600_302600_NS4plusIvEEiEEDaPvRmT3_T4_T5_mT6_P12ihipStream_tbENKUlT_T0_E_clISt17integral_constantIbLb0EESQ_EEDaSL_SM_EUlSL_E_NS1_11comp_targetILNS1_3genE4ELNS1_11target_archE910ELNS1_3gpuE8ELNS1_3repE0EEENS1_30default_config_static_selectorELNS0_4arch9wavefront6targetE1EEEvT1_
                                        ; -- End function
	.section	.AMDGPU.csdata,"",@progbits
; Kernel info:
; codeLenInByte = 4508
; NumSgprs: 36
; NumVgprs: 40
; NumAgprs: 0
; TotalNumVgprs: 40
; ScratchSize: 0
; MemoryBound: 0
; FloatMode: 240
; IeeeMode: 1
; LDSByteSize: 5120 bytes/workgroup (compile time only)
; SGPRBlocks: 4
; VGPRBlocks: 4
; NumSGPRsForWavesPerEU: 36
; NumVGPRsForWavesPerEU: 40
; AccumOffset: 40
; Occupancy: 6
; WaveLimiterHint : 1
; COMPUTE_PGM_RSRC2:SCRATCH_EN: 0
; COMPUTE_PGM_RSRC2:USER_SGPR: 6
; COMPUTE_PGM_RSRC2:TRAP_HANDLER: 0
; COMPUTE_PGM_RSRC2:TGID_X_EN: 1
; COMPUTE_PGM_RSRC2:TGID_Y_EN: 0
; COMPUTE_PGM_RSRC2:TGID_Z_EN: 0
; COMPUTE_PGM_RSRC2:TIDIG_COMP_CNT: 0
; COMPUTE_PGM_RSRC3_GFX90A:ACCUM_OFFSET: 9
; COMPUTE_PGM_RSRC3_GFX90A:TG_SPLIT: 0
	.section	.text._ZN7rocprim17ROCPRIM_400000_NS6detail17trampoline_kernelINS0_14default_configENS1_20scan_config_selectorIiEEZZNS1_9scan_implILNS1_25lookback_scan_determinismE0ELb0ELb0ES3_PiS8_iN6thrust23THRUST_200600_302600_NS4plusIvEEiEEDaPvRmT3_T4_T5_mT6_P12ihipStream_tbENKUlT_T0_E_clISt17integral_constantIbLb0EESQ_EEDaSL_SM_EUlSL_E_NS1_11comp_targetILNS1_3genE3ELNS1_11target_archE908ELNS1_3gpuE7ELNS1_3repE0EEENS1_30default_config_static_selectorELNS0_4arch9wavefront6targetE1EEEvT1_,"axG",@progbits,_ZN7rocprim17ROCPRIM_400000_NS6detail17trampoline_kernelINS0_14default_configENS1_20scan_config_selectorIiEEZZNS1_9scan_implILNS1_25lookback_scan_determinismE0ELb0ELb0ES3_PiS8_iN6thrust23THRUST_200600_302600_NS4plusIvEEiEEDaPvRmT3_T4_T5_mT6_P12ihipStream_tbENKUlT_T0_E_clISt17integral_constantIbLb0EESQ_EEDaSL_SM_EUlSL_E_NS1_11comp_targetILNS1_3genE3ELNS1_11target_archE908ELNS1_3gpuE7ELNS1_3repE0EEENS1_30default_config_static_selectorELNS0_4arch9wavefront6targetE1EEEvT1_,comdat
	.protected	_ZN7rocprim17ROCPRIM_400000_NS6detail17trampoline_kernelINS0_14default_configENS1_20scan_config_selectorIiEEZZNS1_9scan_implILNS1_25lookback_scan_determinismE0ELb0ELb0ES3_PiS8_iN6thrust23THRUST_200600_302600_NS4plusIvEEiEEDaPvRmT3_T4_T5_mT6_P12ihipStream_tbENKUlT_T0_E_clISt17integral_constantIbLb0EESQ_EEDaSL_SM_EUlSL_E_NS1_11comp_targetILNS1_3genE3ELNS1_11target_archE908ELNS1_3gpuE7ELNS1_3repE0EEENS1_30default_config_static_selectorELNS0_4arch9wavefront6targetE1EEEvT1_ ; -- Begin function _ZN7rocprim17ROCPRIM_400000_NS6detail17trampoline_kernelINS0_14default_configENS1_20scan_config_selectorIiEEZZNS1_9scan_implILNS1_25lookback_scan_determinismE0ELb0ELb0ES3_PiS8_iN6thrust23THRUST_200600_302600_NS4plusIvEEiEEDaPvRmT3_T4_T5_mT6_P12ihipStream_tbENKUlT_T0_E_clISt17integral_constantIbLb0EESQ_EEDaSL_SM_EUlSL_E_NS1_11comp_targetILNS1_3genE3ELNS1_11target_archE908ELNS1_3gpuE7ELNS1_3repE0EEENS1_30default_config_static_selectorELNS0_4arch9wavefront6targetE1EEEvT1_
	.globl	_ZN7rocprim17ROCPRIM_400000_NS6detail17trampoline_kernelINS0_14default_configENS1_20scan_config_selectorIiEEZZNS1_9scan_implILNS1_25lookback_scan_determinismE0ELb0ELb0ES3_PiS8_iN6thrust23THRUST_200600_302600_NS4plusIvEEiEEDaPvRmT3_T4_T5_mT6_P12ihipStream_tbENKUlT_T0_E_clISt17integral_constantIbLb0EESQ_EEDaSL_SM_EUlSL_E_NS1_11comp_targetILNS1_3genE3ELNS1_11target_archE908ELNS1_3gpuE7ELNS1_3repE0EEENS1_30default_config_static_selectorELNS0_4arch9wavefront6targetE1EEEvT1_
	.p2align	8
	.type	_ZN7rocprim17ROCPRIM_400000_NS6detail17trampoline_kernelINS0_14default_configENS1_20scan_config_selectorIiEEZZNS1_9scan_implILNS1_25lookback_scan_determinismE0ELb0ELb0ES3_PiS8_iN6thrust23THRUST_200600_302600_NS4plusIvEEiEEDaPvRmT3_T4_T5_mT6_P12ihipStream_tbENKUlT_T0_E_clISt17integral_constantIbLb0EESQ_EEDaSL_SM_EUlSL_E_NS1_11comp_targetILNS1_3genE3ELNS1_11target_archE908ELNS1_3gpuE7ELNS1_3repE0EEENS1_30default_config_static_selectorELNS0_4arch9wavefront6targetE1EEEvT1_,@function
_ZN7rocprim17ROCPRIM_400000_NS6detail17trampoline_kernelINS0_14default_configENS1_20scan_config_selectorIiEEZZNS1_9scan_implILNS1_25lookback_scan_determinismE0ELb0ELb0ES3_PiS8_iN6thrust23THRUST_200600_302600_NS4plusIvEEiEEDaPvRmT3_T4_T5_mT6_P12ihipStream_tbENKUlT_T0_E_clISt17integral_constantIbLb0EESQ_EEDaSL_SM_EUlSL_E_NS1_11comp_targetILNS1_3genE3ELNS1_11target_archE908ELNS1_3gpuE7ELNS1_3repE0EEENS1_30default_config_static_selectorELNS0_4arch9wavefront6targetE1EEEvT1_: ; @_ZN7rocprim17ROCPRIM_400000_NS6detail17trampoline_kernelINS0_14default_configENS1_20scan_config_selectorIiEEZZNS1_9scan_implILNS1_25lookback_scan_determinismE0ELb0ELb0ES3_PiS8_iN6thrust23THRUST_200600_302600_NS4plusIvEEiEEDaPvRmT3_T4_T5_mT6_P12ihipStream_tbENKUlT_T0_E_clISt17integral_constantIbLb0EESQ_EEDaSL_SM_EUlSL_E_NS1_11comp_targetILNS1_3genE3ELNS1_11target_archE908ELNS1_3gpuE7ELNS1_3repE0EEENS1_30default_config_static_selectorELNS0_4arch9wavefront6targetE1EEEvT1_
; %bb.0:
	.section	.rodata,"a",@progbits
	.p2align	6, 0x0
	.amdhsa_kernel _ZN7rocprim17ROCPRIM_400000_NS6detail17trampoline_kernelINS0_14default_configENS1_20scan_config_selectorIiEEZZNS1_9scan_implILNS1_25lookback_scan_determinismE0ELb0ELb0ES3_PiS8_iN6thrust23THRUST_200600_302600_NS4plusIvEEiEEDaPvRmT3_T4_T5_mT6_P12ihipStream_tbENKUlT_T0_E_clISt17integral_constantIbLb0EESQ_EEDaSL_SM_EUlSL_E_NS1_11comp_targetILNS1_3genE3ELNS1_11target_archE908ELNS1_3gpuE7ELNS1_3repE0EEENS1_30default_config_static_selectorELNS0_4arch9wavefront6targetE1EEEvT1_
		.amdhsa_group_segment_fixed_size 0
		.amdhsa_private_segment_fixed_size 0
		.amdhsa_kernarg_size 96
		.amdhsa_user_sgpr_count 6
		.amdhsa_user_sgpr_private_segment_buffer 1
		.amdhsa_user_sgpr_dispatch_ptr 0
		.amdhsa_user_sgpr_queue_ptr 0
		.amdhsa_user_sgpr_kernarg_segment_ptr 1
		.amdhsa_user_sgpr_dispatch_id 0
		.amdhsa_user_sgpr_flat_scratch_init 0
		.amdhsa_user_sgpr_kernarg_preload_length 0
		.amdhsa_user_sgpr_kernarg_preload_offset 0
		.amdhsa_user_sgpr_private_segment_size 0
		.amdhsa_uses_dynamic_stack 0
		.amdhsa_system_sgpr_private_segment_wavefront_offset 0
		.amdhsa_system_sgpr_workgroup_id_x 1
		.amdhsa_system_sgpr_workgroup_id_y 0
		.amdhsa_system_sgpr_workgroup_id_z 0
		.amdhsa_system_sgpr_workgroup_info 0
		.amdhsa_system_vgpr_workitem_id 0
		.amdhsa_next_free_vgpr 1
		.amdhsa_next_free_sgpr 0
		.amdhsa_accum_offset 4
		.amdhsa_reserve_vcc 0
		.amdhsa_reserve_flat_scratch 0
		.amdhsa_float_round_mode_32 0
		.amdhsa_float_round_mode_16_64 0
		.amdhsa_float_denorm_mode_32 3
		.amdhsa_float_denorm_mode_16_64 3
		.amdhsa_dx10_clamp 1
		.amdhsa_ieee_mode 1
		.amdhsa_fp16_overflow 0
		.amdhsa_tg_split 0
		.amdhsa_exception_fp_ieee_invalid_op 0
		.amdhsa_exception_fp_denorm_src 0
		.amdhsa_exception_fp_ieee_div_zero 0
		.amdhsa_exception_fp_ieee_overflow 0
		.amdhsa_exception_fp_ieee_underflow 0
		.amdhsa_exception_fp_ieee_inexact 0
		.amdhsa_exception_int_div_zero 0
	.end_amdhsa_kernel
	.section	.text._ZN7rocprim17ROCPRIM_400000_NS6detail17trampoline_kernelINS0_14default_configENS1_20scan_config_selectorIiEEZZNS1_9scan_implILNS1_25lookback_scan_determinismE0ELb0ELb0ES3_PiS8_iN6thrust23THRUST_200600_302600_NS4plusIvEEiEEDaPvRmT3_T4_T5_mT6_P12ihipStream_tbENKUlT_T0_E_clISt17integral_constantIbLb0EESQ_EEDaSL_SM_EUlSL_E_NS1_11comp_targetILNS1_3genE3ELNS1_11target_archE908ELNS1_3gpuE7ELNS1_3repE0EEENS1_30default_config_static_selectorELNS0_4arch9wavefront6targetE1EEEvT1_,"axG",@progbits,_ZN7rocprim17ROCPRIM_400000_NS6detail17trampoline_kernelINS0_14default_configENS1_20scan_config_selectorIiEEZZNS1_9scan_implILNS1_25lookback_scan_determinismE0ELb0ELb0ES3_PiS8_iN6thrust23THRUST_200600_302600_NS4plusIvEEiEEDaPvRmT3_T4_T5_mT6_P12ihipStream_tbENKUlT_T0_E_clISt17integral_constantIbLb0EESQ_EEDaSL_SM_EUlSL_E_NS1_11comp_targetILNS1_3genE3ELNS1_11target_archE908ELNS1_3gpuE7ELNS1_3repE0EEENS1_30default_config_static_selectorELNS0_4arch9wavefront6targetE1EEEvT1_,comdat
.Lfunc_end23:
	.size	_ZN7rocprim17ROCPRIM_400000_NS6detail17trampoline_kernelINS0_14default_configENS1_20scan_config_selectorIiEEZZNS1_9scan_implILNS1_25lookback_scan_determinismE0ELb0ELb0ES3_PiS8_iN6thrust23THRUST_200600_302600_NS4plusIvEEiEEDaPvRmT3_T4_T5_mT6_P12ihipStream_tbENKUlT_T0_E_clISt17integral_constantIbLb0EESQ_EEDaSL_SM_EUlSL_E_NS1_11comp_targetILNS1_3genE3ELNS1_11target_archE908ELNS1_3gpuE7ELNS1_3repE0EEENS1_30default_config_static_selectorELNS0_4arch9wavefront6targetE1EEEvT1_, .Lfunc_end23-_ZN7rocprim17ROCPRIM_400000_NS6detail17trampoline_kernelINS0_14default_configENS1_20scan_config_selectorIiEEZZNS1_9scan_implILNS1_25lookback_scan_determinismE0ELb0ELb0ES3_PiS8_iN6thrust23THRUST_200600_302600_NS4plusIvEEiEEDaPvRmT3_T4_T5_mT6_P12ihipStream_tbENKUlT_T0_E_clISt17integral_constantIbLb0EESQ_EEDaSL_SM_EUlSL_E_NS1_11comp_targetILNS1_3genE3ELNS1_11target_archE908ELNS1_3gpuE7ELNS1_3repE0EEENS1_30default_config_static_selectorELNS0_4arch9wavefront6targetE1EEEvT1_
                                        ; -- End function
	.section	.AMDGPU.csdata,"",@progbits
; Kernel info:
; codeLenInByte = 0
; NumSgprs: 4
; NumVgprs: 0
; NumAgprs: 0
; TotalNumVgprs: 0
; ScratchSize: 0
; MemoryBound: 0
; FloatMode: 240
; IeeeMode: 1
; LDSByteSize: 0 bytes/workgroup (compile time only)
; SGPRBlocks: 0
; VGPRBlocks: 0
; NumSGPRsForWavesPerEU: 4
; NumVGPRsForWavesPerEU: 1
; AccumOffset: 4
; Occupancy: 8
; WaveLimiterHint : 0
; COMPUTE_PGM_RSRC2:SCRATCH_EN: 0
; COMPUTE_PGM_RSRC2:USER_SGPR: 6
; COMPUTE_PGM_RSRC2:TRAP_HANDLER: 0
; COMPUTE_PGM_RSRC2:TGID_X_EN: 1
; COMPUTE_PGM_RSRC2:TGID_Y_EN: 0
; COMPUTE_PGM_RSRC2:TGID_Z_EN: 0
; COMPUTE_PGM_RSRC2:TIDIG_COMP_CNT: 0
; COMPUTE_PGM_RSRC3_GFX90A:ACCUM_OFFSET: 0
; COMPUTE_PGM_RSRC3_GFX90A:TG_SPLIT: 0
	.section	.text._ZN7rocprim17ROCPRIM_400000_NS6detail17trampoline_kernelINS0_14default_configENS1_20scan_config_selectorIiEEZZNS1_9scan_implILNS1_25lookback_scan_determinismE0ELb0ELb0ES3_PiS8_iN6thrust23THRUST_200600_302600_NS4plusIvEEiEEDaPvRmT3_T4_T5_mT6_P12ihipStream_tbENKUlT_T0_E_clISt17integral_constantIbLb0EESQ_EEDaSL_SM_EUlSL_E_NS1_11comp_targetILNS1_3genE2ELNS1_11target_archE906ELNS1_3gpuE6ELNS1_3repE0EEENS1_30default_config_static_selectorELNS0_4arch9wavefront6targetE1EEEvT1_,"axG",@progbits,_ZN7rocprim17ROCPRIM_400000_NS6detail17trampoline_kernelINS0_14default_configENS1_20scan_config_selectorIiEEZZNS1_9scan_implILNS1_25lookback_scan_determinismE0ELb0ELb0ES3_PiS8_iN6thrust23THRUST_200600_302600_NS4plusIvEEiEEDaPvRmT3_T4_T5_mT6_P12ihipStream_tbENKUlT_T0_E_clISt17integral_constantIbLb0EESQ_EEDaSL_SM_EUlSL_E_NS1_11comp_targetILNS1_3genE2ELNS1_11target_archE906ELNS1_3gpuE6ELNS1_3repE0EEENS1_30default_config_static_selectorELNS0_4arch9wavefront6targetE1EEEvT1_,comdat
	.protected	_ZN7rocprim17ROCPRIM_400000_NS6detail17trampoline_kernelINS0_14default_configENS1_20scan_config_selectorIiEEZZNS1_9scan_implILNS1_25lookback_scan_determinismE0ELb0ELb0ES3_PiS8_iN6thrust23THRUST_200600_302600_NS4plusIvEEiEEDaPvRmT3_T4_T5_mT6_P12ihipStream_tbENKUlT_T0_E_clISt17integral_constantIbLb0EESQ_EEDaSL_SM_EUlSL_E_NS1_11comp_targetILNS1_3genE2ELNS1_11target_archE906ELNS1_3gpuE6ELNS1_3repE0EEENS1_30default_config_static_selectorELNS0_4arch9wavefront6targetE1EEEvT1_ ; -- Begin function _ZN7rocprim17ROCPRIM_400000_NS6detail17trampoline_kernelINS0_14default_configENS1_20scan_config_selectorIiEEZZNS1_9scan_implILNS1_25lookback_scan_determinismE0ELb0ELb0ES3_PiS8_iN6thrust23THRUST_200600_302600_NS4plusIvEEiEEDaPvRmT3_T4_T5_mT6_P12ihipStream_tbENKUlT_T0_E_clISt17integral_constantIbLb0EESQ_EEDaSL_SM_EUlSL_E_NS1_11comp_targetILNS1_3genE2ELNS1_11target_archE906ELNS1_3gpuE6ELNS1_3repE0EEENS1_30default_config_static_selectorELNS0_4arch9wavefront6targetE1EEEvT1_
	.globl	_ZN7rocprim17ROCPRIM_400000_NS6detail17trampoline_kernelINS0_14default_configENS1_20scan_config_selectorIiEEZZNS1_9scan_implILNS1_25lookback_scan_determinismE0ELb0ELb0ES3_PiS8_iN6thrust23THRUST_200600_302600_NS4plusIvEEiEEDaPvRmT3_T4_T5_mT6_P12ihipStream_tbENKUlT_T0_E_clISt17integral_constantIbLb0EESQ_EEDaSL_SM_EUlSL_E_NS1_11comp_targetILNS1_3genE2ELNS1_11target_archE906ELNS1_3gpuE6ELNS1_3repE0EEENS1_30default_config_static_selectorELNS0_4arch9wavefront6targetE1EEEvT1_
	.p2align	8
	.type	_ZN7rocprim17ROCPRIM_400000_NS6detail17trampoline_kernelINS0_14default_configENS1_20scan_config_selectorIiEEZZNS1_9scan_implILNS1_25lookback_scan_determinismE0ELb0ELb0ES3_PiS8_iN6thrust23THRUST_200600_302600_NS4plusIvEEiEEDaPvRmT3_T4_T5_mT6_P12ihipStream_tbENKUlT_T0_E_clISt17integral_constantIbLb0EESQ_EEDaSL_SM_EUlSL_E_NS1_11comp_targetILNS1_3genE2ELNS1_11target_archE906ELNS1_3gpuE6ELNS1_3repE0EEENS1_30default_config_static_selectorELNS0_4arch9wavefront6targetE1EEEvT1_,@function
_ZN7rocprim17ROCPRIM_400000_NS6detail17trampoline_kernelINS0_14default_configENS1_20scan_config_selectorIiEEZZNS1_9scan_implILNS1_25lookback_scan_determinismE0ELb0ELb0ES3_PiS8_iN6thrust23THRUST_200600_302600_NS4plusIvEEiEEDaPvRmT3_T4_T5_mT6_P12ihipStream_tbENKUlT_T0_E_clISt17integral_constantIbLb0EESQ_EEDaSL_SM_EUlSL_E_NS1_11comp_targetILNS1_3genE2ELNS1_11target_archE906ELNS1_3gpuE6ELNS1_3repE0EEENS1_30default_config_static_selectorELNS0_4arch9wavefront6targetE1EEEvT1_: ; @_ZN7rocprim17ROCPRIM_400000_NS6detail17trampoline_kernelINS0_14default_configENS1_20scan_config_selectorIiEEZZNS1_9scan_implILNS1_25lookback_scan_determinismE0ELb0ELb0ES3_PiS8_iN6thrust23THRUST_200600_302600_NS4plusIvEEiEEDaPvRmT3_T4_T5_mT6_P12ihipStream_tbENKUlT_T0_E_clISt17integral_constantIbLb0EESQ_EEDaSL_SM_EUlSL_E_NS1_11comp_targetILNS1_3genE2ELNS1_11target_archE906ELNS1_3gpuE6ELNS1_3repE0EEENS1_30default_config_static_selectorELNS0_4arch9wavefront6targetE1EEEvT1_
; %bb.0:
	.section	.rodata,"a",@progbits
	.p2align	6, 0x0
	.amdhsa_kernel _ZN7rocprim17ROCPRIM_400000_NS6detail17trampoline_kernelINS0_14default_configENS1_20scan_config_selectorIiEEZZNS1_9scan_implILNS1_25lookback_scan_determinismE0ELb0ELb0ES3_PiS8_iN6thrust23THRUST_200600_302600_NS4plusIvEEiEEDaPvRmT3_T4_T5_mT6_P12ihipStream_tbENKUlT_T0_E_clISt17integral_constantIbLb0EESQ_EEDaSL_SM_EUlSL_E_NS1_11comp_targetILNS1_3genE2ELNS1_11target_archE906ELNS1_3gpuE6ELNS1_3repE0EEENS1_30default_config_static_selectorELNS0_4arch9wavefront6targetE1EEEvT1_
		.amdhsa_group_segment_fixed_size 0
		.amdhsa_private_segment_fixed_size 0
		.amdhsa_kernarg_size 96
		.amdhsa_user_sgpr_count 6
		.amdhsa_user_sgpr_private_segment_buffer 1
		.amdhsa_user_sgpr_dispatch_ptr 0
		.amdhsa_user_sgpr_queue_ptr 0
		.amdhsa_user_sgpr_kernarg_segment_ptr 1
		.amdhsa_user_sgpr_dispatch_id 0
		.amdhsa_user_sgpr_flat_scratch_init 0
		.amdhsa_user_sgpr_kernarg_preload_length 0
		.amdhsa_user_sgpr_kernarg_preload_offset 0
		.amdhsa_user_sgpr_private_segment_size 0
		.amdhsa_uses_dynamic_stack 0
		.amdhsa_system_sgpr_private_segment_wavefront_offset 0
		.amdhsa_system_sgpr_workgroup_id_x 1
		.amdhsa_system_sgpr_workgroup_id_y 0
		.amdhsa_system_sgpr_workgroup_id_z 0
		.amdhsa_system_sgpr_workgroup_info 0
		.amdhsa_system_vgpr_workitem_id 0
		.amdhsa_next_free_vgpr 1
		.amdhsa_next_free_sgpr 0
		.amdhsa_accum_offset 4
		.amdhsa_reserve_vcc 0
		.amdhsa_reserve_flat_scratch 0
		.amdhsa_float_round_mode_32 0
		.amdhsa_float_round_mode_16_64 0
		.amdhsa_float_denorm_mode_32 3
		.amdhsa_float_denorm_mode_16_64 3
		.amdhsa_dx10_clamp 1
		.amdhsa_ieee_mode 1
		.amdhsa_fp16_overflow 0
		.amdhsa_tg_split 0
		.amdhsa_exception_fp_ieee_invalid_op 0
		.amdhsa_exception_fp_denorm_src 0
		.amdhsa_exception_fp_ieee_div_zero 0
		.amdhsa_exception_fp_ieee_overflow 0
		.amdhsa_exception_fp_ieee_underflow 0
		.amdhsa_exception_fp_ieee_inexact 0
		.amdhsa_exception_int_div_zero 0
	.end_amdhsa_kernel
	.section	.text._ZN7rocprim17ROCPRIM_400000_NS6detail17trampoline_kernelINS0_14default_configENS1_20scan_config_selectorIiEEZZNS1_9scan_implILNS1_25lookback_scan_determinismE0ELb0ELb0ES3_PiS8_iN6thrust23THRUST_200600_302600_NS4plusIvEEiEEDaPvRmT3_T4_T5_mT6_P12ihipStream_tbENKUlT_T0_E_clISt17integral_constantIbLb0EESQ_EEDaSL_SM_EUlSL_E_NS1_11comp_targetILNS1_3genE2ELNS1_11target_archE906ELNS1_3gpuE6ELNS1_3repE0EEENS1_30default_config_static_selectorELNS0_4arch9wavefront6targetE1EEEvT1_,"axG",@progbits,_ZN7rocprim17ROCPRIM_400000_NS6detail17trampoline_kernelINS0_14default_configENS1_20scan_config_selectorIiEEZZNS1_9scan_implILNS1_25lookback_scan_determinismE0ELb0ELb0ES3_PiS8_iN6thrust23THRUST_200600_302600_NS4plusIvEEiEEDaPvRmT3_T4_T5_mT6_P12ihipStream_tbENKUlT_T0_E_clISt17integral_constantIbLb0EESQ_EEDaSL_SM_EUlSL_E_NS1_11comp_targetILNS1_3genE2ELNS1_11target_archE906ELNS1_3gpuE6ELNS1_3repE0EEENS1_30default_config_static_selectorELNS0_4arch9wavefront6targetE1EEEvT1_,comdat
.Lfunc_end24:
	.size	_ZN7rocprim17ROCPRIM_400000_NS6detail17trampoline_kernelINS0_14default_configENS1_20scan_config_selectorIiEEZZNS1_9scan_implILNS1_25lookback_scan_determinismE0ELb0ELb0ES3_PiS8_iN6thrust23THRUST_200600_302600_NS4plusIvEEiEEDaPvRmT3_T4_T5_mT6_P12ihipStream_tbENKUlT_T0_E_clISt17integral_constantIbLb0EESQ_EEDaSL_SM_EUlSL_E_NS1_11comp_targetILNS1_3genE2ELNS1_11target_archE906ELNS1_3gpuE6ELNS1_3repE0EEENS1_30default_config_static_selectorELNS0_4arch9wavefront6targetE1EEEvT1_, .Lfunc_end24-_ZN7rocprim17ROCPRIM_400000_NS6detail17trampoline_kernelINS0_14default_configENS1_20scan_config_selectorIiEEZZNS1_9scan_implILNS1_25lookback_scan_determinismE0ELb0ELb0ES3_PiS8_iN6thrust23THRUST_200600_302600_NS4plusIvEEiEEDaPvRmT3_T4_T5_mT6_P12ihipStream_tbENKUlT_T0_E_clISt17integral_constantIbLb0EESQ_EEDaSL_SM_EUlSL_E_NS1_11comp_targetILNS1_3genE2ELNS1_11target_archE906ELNS1_3gpuE6ELNS1_3repE0EEENS1_30default_config_static_selectorELNS0_4arch9wavefront6targetE1EEEvT1_
                                        ; -- End function
	.section	.AMDGPU.csdata,"",@progbits
; Kernel info:
; codeLenInByte = 0
; NumSgprs: 4
; NumVgprs: 0
; NumAgprs: 0
; TotalNumVgprs: 0
; ScratchSize: 0
; MemoryBound: 0
; FloatMode: 240
; IeeeMode: 1
; LDSByteSize: 0 bytes/workgroup (compile time only)
; SGPRBlocks: 0
; VGPRBlocks: 0
; NumSGPRsForWavesPerEU: 4
; NumVGPRsForWavesPerEU: 1
; AccumOffset: 4
; Occupancy: 8
; WaveLimiterHint : 0
; COMPUTE_PGM_RSRC2:SCRATCH_EN: 0
; COMPUTE_PGM_RSRC2:USER_SGPR: 6
; COMPUTE_PGM_RSRC2:TRAP_HANDLER: 0
; COMPUTE_PGM_RSRC2:TGID_X_EN: 1
; COMPUTE_PGM_RSRC2:TGID_Y_EN: 0
; COMPUTE_PGM_RSRC2:TGID_Z_EN: 0
; COMPUTE_PGM_RSRC2:TIDIG_COMP_CNT: 0
; COMPUTE_PGM_RSRC3_GFX90A:ACCUM_OFFSET: 0
; COMPUTE_PGM_RSRC3_GFX90A:TG_SPLIT: 0
	.section	.text._ZN7rocprim17ROCPRIM_400000_NS6detail17trampoline_kernelINS0_14default_configENS1_20scan_config_selectorIiEEZZNS1_9scan_implILNS1_25lookback_scan_determinismE0ELb0ELb0ES3_PiS8_iN6thrust23THRUST_200600_302600_NS4plusIvEEiEEDaPvRmT3_T4_T5_mT6_P12ihipStream_tbENKUlT_T0_E_clISt17integral_constantIbLb0EESQ_EEDaSL_SM_EUlSL_E_NS1_11comp_targetILNS1_3genE10ELNS1_11target_archE1201ELNS1_3gpuE5ELNS1_3repE0EEENS1_30default_config_static_selectorELNS0_4arch9wavefront6targetE1EEEvT1_,"axG",@progbits,_ZN7rocprim17ROCPRIM_400000_NS6detail17trampoline_kernelINS0_14default_configENS1_20scan_config_selectorIiEEZZNS1_9scan_implILNS1_25lookback_scan_determinismE0ELb0ELb0ES3_PiS8_iN6thrust23THRUST_200600_302600_NS4plusIvEEiEEDaPvRmT3_T4_T5_mT6_P12ihipStream_tbENKUlT_T0_E_clISt17integral_constantIbLb0EESQ_EEDaSL_SM_EUlSL_E_NS1_11comp_targetILNS1_3genE10ELNS1_11target_archE1201ELNS1_3gpuE5ELNS1_3repE0EEENS1_30default_config_static_selectorELNS0_4arch9wavefront6targetE1EEEvT1_,comdat
	.protected	_ZN7rocprim17ROCPRIM_400000_NS6detail17trampoline_kernelINS0_14default_configENS1_20scan_config_selectorIiEEZZNS1_9scan_implILNS1_25lookback_scan_determinismE0ELb0ELb0ES3_PiS8_iN6thrust23THRUST_200600_302600_NS4plusIvEEiEEDaPvRmT3_T4_T5_mT6_P12ihipStream_tbENKUlT_T0_E_clISt17integral_constantIbLb0EESQ_EEDaSL_SM_EUlSL_E_NS1_11comp_targetILNS1_3genE10ELNS1_11target_archE1201ELNS1_3gpuE5ELNS1_3repE0EEENS1_30default_config_static_selectorELNS0_4arch9wavefront6targetE1EEEvT1_ ; -- Begin function _ZN7rocprim17ROCPRIM_400000_NS6detail17trampoline_kernelINS0_14default_configENS1_20scan_config_selectorIiEEZZNS1_9scan_implILNS1_25lookback_scan_determinismE0ELb0ELb0ES3_PiS8_iN6thrust23THRUST_200600_302600_NS4plusIvEEiEEDaPvRmT3_T4_T5_mT6_P12ihipStream_tbENKUlT_T0_E_clISt17integral_constantIbLb0EESQ_EEDaSL_SM_EUlSL_E_NS1_11comp_targetILNS1_3genE10ELNS1_11target_archE1201ELNS1_3gpuE5ELNS1_3repE0EEENS1_30default_config_static_selectorELNS0_4arch9wavefront6targetE1EEEvT1_
	.globl	_ZN7rocprim17ROCPRIM_400000_NS6detail17trampoline_kernelINS0_14default_configENS1_20scan_config_selectorIiEEZZNS1_9scan_implILNS1_25lookback_scan_determinismE0ELb0ELb0ES3_PiS8_iN6thrust23THRUST_200600_302600_NS4plusIvEEiEEDaPvRmT3_T4_T5_mT6_P12ihipStream_tbENKUlT_T0_E_clISt17integral_constantIbLb0EESQ_EEDaSL_SM_EUlSL_E_NS1_11comp_targetILNS1_3genE10ELNS1_11target_archE1201ELNS1_3gpuE5ELNS1_3repE0EEENS1_30default_config_static_selectorELNS0_4arch9wavefront6targetE1EEEvT1_
	.p2align	8
	.type	_ZN7rocprim17ROCPRIM_400000_NS6detail17trampoline_kernelINS0_14default_configENS1_20scan_config_selectorIiEEZZNS1_9scan_implILNS1_25lookback_scan_determinismE0ELb0ELb0ES3_PiS8_iN6thrust23THRUST_200600_302600_NS4plusIvEEiEEDaPvRmT3_T4_T5_mT6_P12ihipStream_tbENKUlT_T0_E_clISt17integral_constantIbLb0EESQ_EEDaSL_SM_EUlSL_E_NS1_11comp_targetILNS1_3genE10ELNS1_11target_archE1201ELNS1_3gpuE5ELNS1_3repE0EEENS1_30default_config_static_selectorELNS0_4arch9wavefront6targetE1EEEvT1_,@function
_ZN7rocprim17ROCPRIM_400000_NS6detail17trampoline_kernelINS0_14default_configENS1_20scan_config_selectorIiEEZZNS1_9scan_implILNS1_25lookback_scan_determinismE0ELb0ELb0ES3_PiS8_iN6thrust23THRUST_200600_302600_NS4plusIvEEiEEDaPvRmT3_T4_T5_mT6_P12ihipStream_tbENKUlT_T0_E_clISt17integral_constantIbLb0EESQ_EEDaSL_SM_EUlSL_E_NS1_11comp_targetILNS1_3genE10ELNS1_11target_archE1201ELNS1_3gpuE5ELNS1_3repE0EEENS1_30default_config_static_selectorELNS0_4arch9wavefront6targetE1EEEvT1_: ; @_ZN7rocprim17ROCPRIM_400000_NS6detail17trampoline_kernelINS0_14default_configENS1_20scan_config_selectorIiEEZZNS1_9scan_implILNS1_25lookback_scan_determinismE0ELb0ELb0ES3_PiS8_iN6thrust23THRUST_200600_302600_NS4plusIvEEiEEDaPvRmT3_T4_T5_mT6_P12ihipStream_tbENKUlT_T0_E_clISt17integral_constantIbLb0EESQ_EEDaSL_SM_EUlSL_E_NS1_11comp_targetILNS1_3genE10ELNS1_11target_archE1201ELNS1_3gpuE5ELNS1_3repE0EEENS1_30default_config_static_selectorELNS0_4arch9wavefront6targetE1EEEvT1_
; %bb.0:
	.section	.rodata,"a",@progbits
	.p2align	6, 0x0
	.amdhsa_kernel _ZN7rocprim17ROCPRIM_400000_NS6detail17trampoline_kernelINS0_14default_configENS1_20scan_config_selectorIiEEZZNS1_9scan_implILNS1_25lookback_scan_determinismE0ELb0ELb0ES3_PiS8_iN6thrust23THRUST_200600_302600_NS4plusIvEEiEEDaPvRmT3_T4_T5_mT6_P12ihipStream_tbENKUlT_T0_E_clISt17integral_constantIbLb0EESQ_EEDaSL_SM_EUlSL_E_NS1_11comp_targetILNS1_3genE10ELNS1_11target_archE1201ELNS1_3gpuE5ELNS1_3repE0EEENS1_30default_config_static_selectorELNS0_4arch9wavefront6targetE1EEEvT1_
		.amdhsa_group_segment_fixed_size 0
		.amdhsa_private_segment_fixed_size 0
		.amdhsa_kernarg_size 96
		.amdhsa_user_sgpr_count 6
		.amdhsa_user_sgpr_private_segment_buffer 1
		.amdhsa_user_sgpr_dispatch_ptr 0
		.amdhsa_user_sgpr_queue_ptr 0
		.amdhsa_user_sgpr_kernarg_segment_ptr 1
		.amdhsa_user_sgpr_dispatch_id 0
		.amdhsa_user_sgpr_flat_scratch_init 0
		.amdhsa_user_sgpr_kernarg_preload_length 0
		.amdhsa_user_sgpr_kernarg_preload_offset 0
		.amdhsa_user_sgpr_private_segment_size 0
		.amdhsa_uses_dynamic_stack 0
		.amdhsa_system_sgpr_private_segment_wavefront_offset 0
		.amdhsa_system_sgpr_workgroup_id_x 1
		.amdhsa_system_sgpr_workgroup_id_y 0
		.amdhsa_system_sgpr_workgroup_id_z 0
		.amdhsa_system_sgpr_workgroup_info 0
		.amdhsa_system_vgpr_workitem_id 0
		.amdhsa_next_free_vgpr 1
		.amdhsa_next_free_sgpr 0
		.amdhsa_accum_offset 4
		.amdhsa_reserve_vcc 0
		.amdhsa_reserve_flat_scratch 0
		.amdhsa_float_round_mode_32 0
		.amdhsa_float_round_mode_16_64 0
		.amdhsa_float_denorm_mode_32 3
		.amdhsa_float_denorm_mode_16_64 3
		.amdhsa_dx10_clamp 1
		.amdhsa_ieee_mode 1
		.amdhsa_fp16_overflow 0
		.amdhsa_tg_split 0
		.amdhsa_exception_fp_ieee_invalid_op 0
		.amdhsa_exception_fp_denorm_src 0
		.amdhsa_exception_fp_ieee_div_zero 0
		.amdhsa_exception_fp_ieee_overflow 0
		.amdhsa_exception_fp_ieee_underflow 0
		.amdhsa_exception_fp_ieee_inexact 0
		.amdhsa_exception_int_div_zero 0
	.end_amdhsa_kernel
	.section	.text._ZN7rocprim17ROCPRIM_400000_NS6detail17trampoline_kernelINS0_14default_configENS1_20scan_config_selectorIiEEZZNS1_9scan_implILNS1_25lookback_scan_determinismE0ELb0ELb0ES3_PiS8_iN6thrust23THRUST_200600_302600_NS4plusIvEEiEEDaPvRmT3_T4_T5_mT6_P12ihipStream_tbENKUlT_T0_E_clISt17integral_constantIbLb0EESQ_EEDaSL_SM_EUlSL_E_NS1_11comp_targetILNS1_3genE10ELNS1_11target_archE1201ELNS1_3gpuE5ELNS1_3repE0EEENS1_30default_config_static_selectorELNS0_4arch9wavefront6targetE1EEEvT1_,"axG",@progbits,_ZN7rocprim17ROCPRIM_400000_NS6detail17trampoline_kernelINS0_14default_configENS1_20scan_config_selectorIiEEZZNS1_9scan_implILNS1_25lookback_scan_determinismE0ELb0ELb0ES3_PiS8_iN6thrust23THRUST_200600_302600_NS4plusIvEEiEEDaPvRmT3_T4_T5_mT6_P12ihipStream_tbENKUlT_T0_E_clISt17integral_constantIbLb0EESQ_EEDaSL_SM_EUlSL_E_NS1_11comp_targetILNS1_3genE10ELNS1_11target_archE1201ELNS1_3gpuE5ELNS1_3repE0EEENS1_30default_config_static_selectorELNS0_4arch9wavefront6targetE1EEEvT1_,comdat
.Lfunc_end25:
	.size	_ZN7rocprim17ROCPRIM_400000_NS6detail17trampoline_kernelINS0_14default_configENS1_20scan_config_selectorIiEEZZNS1_9scan_implILNS1_25lookback_scan_determinismE0ELb0ELb0ES3_PiS8_iN6thrust23THRUST_200600_302600_NS4plusIvEEiEEDaPvRmT3_T4_T5_mT6_P12ihipStream_tbENKUlT_T0_E_clISt17integral_constantIbLb0EESQ_EEDaSL_SM_EUlSL_E_NS1_11comp_targetILNS1_3genE10ELNS1_11target_archE1201ELNS1_3gpuE5ELNS1_3repE0EEENS1_30default_config_static_selectorELNS0_4arch9wavefront6targetE1EEEvT1_, .Lfunc_end25-_ZN7rocprim17ROCPRIM_400000_NS6detail17trampoline_kernelINS0_14default_configENS1_20scan_config_selectorIiEEZZNS1_9scan_implILNS1_25lookback_scan_determinismE0ELb0ELb0ES3_PiS8_iN6thrust23THRUST_200600_302600_NS4plusIvEEiEEDaPvRmT3_T4_T5_mT6_P12ihipStream_tbENKUlT_T0_E_clISt17integral_constantIbLb0EESQ_EEDaSL_SM_EUlSL_E_NS1_11comp_targetILNS1_3genE10ELNS1_11target_archE1201ELNS1_3gpuE5ELNS1_3repE0EEENS1_30default_config_static_selectorELNS0_4arch9wavefront6targetE1EEEvT1_
                                        ; -- End function
	.section	.AMDGPU.csdata,"",@progbits
; Kernel info:
; codeLenInByte = 0
; NumSgprs: 4
; NumVgprs: 0
; NumAgprs: 0
; TotalNumVgprs: 0
; ScratchSize: 0
; MemoryBound: 0
; FloatMode: 240
; IeeeMode: 1
; LDSByteSize: 0 bytes/workgroup (compile time only)
; SGPRBlocks: 0
; VGPRBlocks: 0
; NumSGPRsForWavesPerEU: 4
; NumVGPRsForWavesPerEU: 1
; AccumOffset: 4
; Occupancy: 8
; WaveLimiterHint : 0
; COMPUTE_PGM_RSRC2:SCRATCH_EN: 0
; COMPUTE_PGM_RSRC2:USER_SGPR: 6
; COMPUTE_PGM_RSRC2:TRAP_HANDLER: 0
; COMPUTE_PGM_RSRC2:TGID_X_EN: 1
; COMPUTE_PGM_RSRC2:TGID_Y_EN: 0
; COMPUTE_PGM_RSRC2:TGID_Z_EN: 0
; COMPUTE_PGM_RSRC2:TIDIG_COMP_CNT: 0
; COMPUTE_PGM_RSRC3_GFX90A:ACCUM_OFFSET: 0
; COMPUTE_PGM_RSRC3_GFX90A:TG_SPLIT: 0
	.section	.text._ZN7rocprim17ROCPRIM_400000_NS6detail17trampoline_kernelINS0_14default_configENS1_20scan_config_selectorIiEEZZNS1_9scan_implILNS1_25lookback_scan_determinismE0ELb0ELb0ES3_PiS8_iN6thrust23THRUST_200600_302600_NS4plusIvEEiEEDaPvRmT3_T4_T5_mT6_P12ihipStream_tbENKUlT_T0_E_clISt17integral_constantIbLb0EESQ_EEDaSL_SM_EUlSL_E_NS1_11comp_targetILNS1_3genE10ELNS1_11target_archE1200ELNS1_3gpuE4ELNS1_3repE0EEENS1_30default_config_static_selectorELNS0_4arch9wavefront6targetE1EEEvT1_,"axG",@progbits,_ZN7rocprim17ROCPRIM_400000_NS6detail17trampoline_kernelINS0_14default_configENS1_20scan_config_selectorIiEEZZNS1_9scan_implILNS1_25lookback_scan_determinismE0ELb0ELb0ES3_PiS8_iN6thrust23THRUST_200600_302600_NS4plusIvEEiEEDaPvRmT3_T4_T5_mT6_P12ihipStream_tbENKUlT_T0_E_clISt17integral_constantIbLb0EESQ_EEDaSL_SM_EUlSL_E_NS1_11comp_targetILNS1_3genE10ELNS1_11target_archE1200ELNS1_3gpuE4ELNS1_3repE0EEENS1_30default_config_static_selectorELNS0_4arch9wavefront6targetE1EEEvT1_,comdat
	.protected	_ZN7rocprim17ROCPRIM_400000_NS6detail17trampoline_kernelINS0_14default_configENS1_20scan_config_selectorIiEEZZNS1_9scan_implILNS1_25lookback_scan_determinismE0ELb0ELb0ES3_PiS8_iN6thrust23THRUST_200600_302600_NS4plusIvEEiEEDaPvRmT3_T4_T5_mT6_P12ihipStream_tbENKUlT_T0_E_clISt17integral_constantIbLb0EESQ_EEDaSL_SM_EUlSL_E_NS1_11comp_targetILNS1_3genE10ELNS1_11target_archE1200ELNS1_3gpuE4ELNS1_3repE0EEENS1_30default_config_static_selectorELNS0_4arch9wavefront6targetE1EEEvT1_ ; -- Begin function _ZN7rocprim17ROCPRIM_400000_NS6detail17trampoline_kernelINS0_14default_configENS1_20scan_config_selectorIiEEZZNS1_9scan_implILNS1_25lookback_scan_determinismE0ELb0ELb0ES3_PiS8_iN6thrust23THRUST_200600_302600_NS4plusIvEEiEEDaPvRmT3_T4_T5_mT6_P12ihipStream_tbENKUlT_T0_E_clISt17integral_constantIbLb0EESQ_EEDaSL_SM_EUlSL_E_NS1_11comp_targetILNS1_3genE10ELNS1_11target_archE1200ELNS1_3gpuE4ELNS1_3repE0EEENS1_30default_config_static_selectorELNS0_4arch9wavefront6targetE1EEEvT1_
	.globl	_ZN7rocprim17ROCPRIM_400000_NS6detail17trampoline_kernelINS0_14default_configENS1_20scan_config_selectorIiEEZZNS1_9scan_implILNS1_25lookback_scan_determinismE0ELb0ELb0ES3_PiS8_iN6thrust23THRUST_200600_302600_NS4plusIvEEiEEDaPvRmT3_T4_T5_mT6_P12ihipStream_tbENKUlT_T0_E_clISt17integral_constantIbLb0EESQ_EEDaSL_SM_EUlSL_E_NS1_11comp_targetILNS1_3genE10ELNS1_11target_archE1200ELNS1_3gpuE4ELNS1_3repE0EEENS1_30default_config_static_selectorELNS0_4arch9wavefront6targetE1EEEvT1_
	.p2align	8
	.type	_ZN7rocprim17ROCPRIM_400000_NS6detail17trampoline_kernelINS0_14default_configENS1_20scan_config_selectorIiEEZZNS1_9scan_implILNS1_25lookback_scan_determinismE0ELb0ELb0ES3_PiS8_iN6thrust23THRUST_200600_302600_NS4plusIvEEiEEDaPvRmT3_T4_T5_mT6_P12ihipStream_tbENKUlT_T0_E_clISt17integral_constantIbLb0EESQ_EEDaSL_SM_EUlSL_E_NS1_11comp_targetILNS1_3genE10ELNS1_11target_archE1200ELNS1_3gpuE4ELNS1_3repE0EEENS1_30default_config_static_selectorELNS0_4arch9wavefront6targetE1EEEvT1_,@function
_ZN7rocprim17ROCPRIM_400000_NS6detail17trampoline_kernelINS0_14default_configENS1_20scan_config_selectorIiEEZZNS1_9scan_implILNS1_25lookback_scan_determinismE0ELb0ELb0ES3_PiS8_iN6thrust23THRUST_200600_302600_NS4plusIvEEiEEDaPvRmT3_T4_T5_mT6_P12ihipStream_tbENKUlT_T0_E_clISt17integral_constantIbLb0EESQ_EEDaSL_SM_EUlSL_E_NS1_11comp_targetILNS1_3genE10ELNS1_11target_archE1200ELNS1_3gpuE4ELNS1_3repE0EEENS1_30default_config_static_selectorELNS0_4arch9wavefront6targetE1EEEvT1_: ; @_ZN7rocprim17ROCPRIM_400000_NS6detail17trampoline_kernelINS0_14default_configENS1_20scan_config_selectorIiEEZZNS1_9scan_implILNS1_25lookback_scan_determinismE0ELb0ELb0ES3_PiS8_iN6thrust23THRUST_200600_302600_NS4plusIvEEiEEDaPvRmT3_T4_T5_mT6_P12ihipStream_tbENKUlT_T0_E_clISt17integral_constantIbLb0EESQ_EEDaSL_SM_EUlSL_E_NS1_11comp_targetILNS1_3genE10ELNS1_11target_archE1200ELNS1_3gpuE4ELNS1_3repE0EEENS1_30default_config_static_selectorELNS0_4arch9wavefront6targetE1EEEvT1_
; %bb.0:
	.section	.rodata,"a",@progbits
	.p2align	6, 0x0
	.amdhsa_kernel _ZN7rocprim17ROCPRIM_400000_NS6detail17trampoline_kernelINS0_14default_configENS1_20scan_config_selectorIiEEZZNS1_9scan_implILNS1_25lookback_scan_determinismE0ELb0ELb0ES3_PiS8_iN6thrust23THRUST_200600_302600_NS4plusIvEEiEEDaPvRmT3_T4_T5_mT6_P12ihipStream_tbENKUlT_T0_E_clISt17integral_constantIbLb0EESQ_EEDaSL_SM_EUlSL_E_NS1_11comp_targetILNS1_3genE10ELNS1_11target_archE1200ELNS1_3gpuE4ELNS1_3repE0EEENS1_30default_config_static_selectorELNS0_4arch9wavefront6targetE1EEEvT1_
		.amdhsa_group_segment_fixed_size 0
		.amdhsa_private_segment_fixed_size 0
		.amdhsa_kernarg_size 96
		.amdhsa_user_sgpr_count 6
		.amdhsa_user_sgpr_private_segment_buffer 1
		.amdhsa_user_sgpr_dispatch_ptr 0
		.amdhsa_user_sgpr_queue_ptr 0
		.amdhsa_user_sgpr_kernarg_segment_ptr 1
		.amdhsa_user_sgpr_dispatch_id 0
		.amdhsa_user_sgpr_flat_scratch_init 0
		.amdhsa_user_sgpr_kernarg_preload_length 0
		.amdhsa_user_sgpr_kernarg_preload_offset 0
		.amdhsa_user_sgpr_private_segment_size 0
		.amdhsa_uses_dynamic_stack 0
		.amdhsa_system_sgpr_private_segment_wavefront_offset 0
		.amdhsa_system_sgpr_workgroup_id_x 1
		.amdhsa_system_sgpr_workgroup_id_y 0
		.amdhsa_system_sgpr_workgroup_id_z 0
		.amdhsa_system_sgpr_workgroup_info 0
		.amdhsa_system_vgpr_workitem_id 0
		.amdhsa_next_free_vgpr 1
		.amdhsa_next_free_sgpr 0
		.amdhsa_accum_offset 4
		.amdhsa_reserve_vcc 0
		.amdhsa_reserve_flat_scratch 0
		.amdhsa_float_round_mode_32 0
		.amdhsa_float_round_mode_16_64 0
		.amdhsa_float_denorm_mode_32 3
		.amdhsa_float_denorm_mode_16_64 3
		.amdhsa_dx10_clamp 1
		.amdhsa_ieee_mode 1
		.amdhsa_fp16_overflow 0
		.amdhsa_tg_split 0
		.amdhsa_exception_fp_ieee_invalid_op 0
		.amdhsa_exception_fp_denorm_src 0
		.amdhsa_exception_fp_ieee_div_zero 0
		.amdhsa_exception_fp_ieee_overflow 0
		.amdhsa_exception_fp_ieee_underflow 0
		.amdhsa_exception_fp_ieee_inexact 0
		.amdhsa_exception_int_div_zero 0
	.end_amdhsa_kernel
	.section	.text._ZN7rocprim17ROCPRIM_400000_NS6detail17trampoline_kernelINS0_14default_configENS1_20scan_config_selectorIiEEZZNS1_9scan_implILNS1_25lookback_scan_determinismE0ELb0ELb0ES3_PiS8_iN6thrust23THRUST_200600_302600_NS4plusIvEEiEEDaPvRmT3_T4_T5_mT6_P12ihipStream_tbENKUlT_T0_E_clISt17integral_constantIbLb0EESQ_EEDaSL_SM_EUlSL_E_NS1_11comp_targetILNS1_3genE10ELNS1_11target_archE1200ELNS1_3gpuE4ELNS1_3repE0EEENS1_30default_config_static_selectorELNS0_4arch9wavefront6targetE1EEEvT1_,"axG",@progbits,_ZN7rocprim17ROCPRIM_400000_NS6detail17trampoline_kernelINS0_14default_configENS1_20scan_config_selectorIiEEZZNS1_9scan_implILNS1_25lookback_scan_determinismE0ELb0ELb0ES3_PiS8_iN6thrust23THRUST_200600_302600_NS4plusIvEEiEEDaPvRmT3_T4_T5_mT6_P12ihipStream_tbENKUlT_T0_E_clISt17integral_constantIbLb0EESQ_EEDaSL_SM_EUlSL_E_NS1_11comp_targetILNS1_3genE10ELNS1_11target_archE1200ELNS1_3gpuE4ELNS1_3repE0EEENS1_30default_config_static_selectorELNS0_4arch9wavefront6targetE1EEEvT1_,comdat
.Lfunc_end26:
	.size	_ZN7rocprim17ROCPRIM_400000_NS6detail17trampoline_kernelINS0_14default_configENS1_20scan_config_selectorIiEEZZNS1_9scan_implILNS1_25lookback_scan_determinismE0ELb0ELb0ES3_PiS8_iN6thrust23THRUST_200600_302600_NS4plusIvEEiEEDaPvRmT3_T4_T5_mT6_P12ihipStream_tbENKUlT_T0_E_clISt17integral_constantIbLb0EESQ_EEDaSL_SM_EUlSL_E_NS1_11comp_targetILNS1_3genE10ELNS1_11target_archE1200ELNS1_3gpuE4ELNS1_3repE0EEENS1_30default_config_static_selectorELNS0_4arch9wavefront6targetE1EEEvT1_, .Lfunc_end26-_ZN7rocprim17ROCPRIM_400000_NS6detail17trampoline_kernelINS0_14default_configENS1_20scan_config_selectorIiEEZZNS1_9scan_implILNS1_25lookback_scan_determinismE0ELb0ELb0ES3_PiS8_iN6thrust23THRUST_200600_302600_NS4plusIvEEiEEDaPvRmT3_T4_T5_mT6_P12ihipStream_tbENKUlT_T0_E_clISt17integral_constantIbLb0EESQ_EEDaSL_SM_EUlSL_E_NS1_11comp_targetILNS1_3genE10ELNS1_11target_archE1200ELNS1_3gpuE4ELNS1_3repE0EEENS1_30default_config_static_selectorELNS0_4arch9wavefront6targetE1EEEvT1_
                                        ; -- End function
	.section	.AMDGPU.csdata,"",@progbits
; Kernel info:
; codeLenInByte = 0
; NumSgprs: 4
; NumVgprs: 0
; NumAgprs: 0
; TotalNumVgprs: 0
; ScratchSize: 0
; MemoryBound: 0
; FloatMode: 240
; IeeeMode: 1
; LDSByteSize: 0 bytes/workgroup (compile time only)
; SGPRBlocks: 0
; VGPRBlocks: 0
; NumSGPRsForWavesPerEU: 4
; NumVGPRsForWavesPerEU: 1
; AccumOffset: 4
; Occupancy: 8
; WaveLimiterHint : 0
; COMPUTE_PGM_RSRC2:SCRATCH_EN: 0
; COMPUTE_PGM_RSRC2:USER_SGPR: 6
; COMPUTE_PGM_RSRC2:TRAP_HANDLER: 0
; COMPUTE_PGM_RSRC2:TGID_X_EN: 1
; COMPUTE_PGM_RSRC2:TGID_Y_EN: 0
; COMPUTE_PGM_RSRC2:TGID_Z_EN: 0
; COMPUTE_PGM_RSRC2:TIDIG_COMP_CNT: 0
; COMPUTE_PGM_RSRC3_GFX90A:ACCUM_OFFSET: 0
; COMPUTE_PGM_RSRC3_GFX90A:TG_SPLIT: 0
	.section	.text._ZN7rocprim17ROCPRIM_400000_NS6detail17trampoline_kernelINS0_14default_configENS1_20scan_config_selectorIiEEZZNS1_9scan_implILNS1_25lookback_scan_determinismE0ELb0ELb0ES3_PiS8_iN6thrust23THRUST_200600_302600_NS4plusIvEEiEEDaPvRmT3_T4_T5_mT6_P12ihipStream_tbENKUlT_T0_E_clISt17integral_constantIbLb0EESQ_EEDaSL_SM_EUlSL_E_NS1_11comp_targetILNS1_3genE9ELNS1_11target_archE1100ELNS1_3gpuE3ELNS1_3repE0EEENS1_30default_config_static_selectorELNS0_4arch9wavefront6targetE1EEEvT1_,"axG",@progbits,_ZN7rocprim17ROCPRIM_400000_NS6detail17trampoline_kernelINS0_14default_configENS1_20scan_config_selectorIiEEZZNS1_9scan_implILNS1_25lookback_scan_determinismE0ELb0ELb0ES3_PiS8_iN6thrust23THRUST_200600_302600_NS4plusIvEEiEEDaPvRmT3_T4_T5_mT6_P12ihipStream_tbENKUlT_T0_E_clISt17integral_constantIbLb0EESQ_EEDaSL_SM_EUlSL_E_NS1_11comp_targetILNS1_3genE9ELNS1_11target_archE1100ELNS1_3gpuE3ELNS1_3repE0EEENS1_30default_config_static_selectorELNS0_4arch9wavefront6targetE1EEEvT1_,comdat
	.protected	_ZN7rocprim17ROCPRIM_400000_NS6detail17trampoline_kernelINS0_14default_configENS1_20scan_config_selectorIiEEZZNS1_9scan_implILNS1_25lookback_scan_determinismE0ELb0ELb0ES3_PiS8_iN6thrust23THRUST_200600_302600_NS4plusIvEEiEEDaPvRmT3_T4_T5_mT6_P12ihipStream_tbENKUlT_T0_E_clISt17integral_constantIbLb0EESQ_EEDaSL_SM_EUlSL_E_NS1_11comp_targetILNS1_3genE9ELNS1_11target_archE1100ELNS1_3gpuE3ELNS1_3repE0EEENS1_30default_config_static_selectorELNS0_4arch9wavefront6targetE1EEEvT1_ ; -- Begin function _ZN7rocprim17ROCPRIM_400000_NS6detail17trampoline_kernelINS0_14default_configENS1_20scan_config_selectorIiEEZZNS1_9scan_implILNS1_25lookback_scan_determinismE0ELb0ELb0ES3_PiS8_iN6thrust23THRUST_200600_302600_NS4plusIvEEiEEDaPvRmT3_T4_T5_mT6_P12ihipStream_tbENKUlT_T0_E_clISt17integral_constantIbLb0EESQ_EEDaSL_SM_EUlSL_E_NS1_11comp_targetILNS1_3genE9ELNS1_11target_archE1100ELNS1_3gpuE3ELNS1_3repE0EEENS1_30default_config_static_selectorELNS0_4arch9wavefront6targetE1EEEvT1_
	.globl	_ZN7rocprim17ROCPRIM_400000_NS6detail17trampoline_kernelINS0_14default_configENS1_20scan_config_selectorIiEEZZNS1_9scan_implILNS1_25lookback_scan_determinismE0ELb0ELb0ES3_PiS8_iN6thrust23THRUST_200600_302600_NS4plusIvEEiEEDaPvRmT3_T4_T5_mT6_P12ihipStream_tbENKUlT_T0_E_clISt17integral_constantIbLb0EESQ_EEDaSL_SM_EUlSL_E_NS1_11comp_targetILNS1_3genE9ELNS1_11target_archE1100ELNS1_3gpuE3ELNS1_3repE0EEENS1_30default_config_static_selectorELNS0_4arch9wavefront6targetE1EEEvT1_
	.p2align	8
	.type	_ZN7rocprim17ROCPRIM_400000_NS6detail17trampoline_kernelINS0_14default_configENS1_20scan_config_selectorIiEEZZNS1_9scan_implILNS1_25lookback_scan_determinismE0ELb0ELb0ES3_PiS8_iN6thrust23THRUST_200600_302600_NS4plusIvEEiEEDaPvRmT3_T4_T5_mT6_P12ihipStream_tbENKUlT_T0_E_clISt17integral_constantIbLb0EESQ_EEDaSL_SM_EUlSL_E_NS1_11comp_targetILNS1_3genE9ELNS1_11target_archE1100ELNS1_3gpuE3ELNS1_3repE0EEENS1_30default_config_static_selectorELNS0_4arch9wavefront6targetE1EEEvT1_,@function
_ZN7rocprim17ROCPRIM_400000_NS6detail17trampoline_kernelINS0_14default_configENS1_20scan_config_selectorIiEEZZNS1_9scan_implILNS1_25lookback_scan_determinismE0ELb0ELb0ES3_PiS8_iN6thrust23THRUST_200600_302600_NS4plusIvEEiEEDaPvRmT3_T4_T5_mT6_P12ihipStream_tbENKUlT_T0_E_clISt17integral_constantIbLb0EESQ_EEDaSL_SM_EUlSL_E_NS1_11comp_targetILNS1_3genE9ELNS1_11target_archE1100ELNS1_3gpuE3ELNS1_3repE0EEENS1_30default_config_static_selectorELNS0_4arch9wavefront6targetE1EEEvT1_: ; @_ZN7rocprim17ROCPRIM_400000_NS6detail17trampoline_kernelINS0_14default_configENS1_20scan_config_selectorIiEEZZNS1_9scan_implILNS1_25lookback_scan_determinismE0ELb0ELb0ES3_PiS8_iN6thrust23THRUST_200600_302600_NS4plusIvEEiEEDaPvRmT3_T4_T5_mT6_P12ihipStream_tbENKUlT_T0_E_clISt17integral_constantIbLb0EESQ_EEDaSL_SM_EUlSL_E_NS1_11comp_targetILNS1_3genE9ELNS1_11target_archE1100ELNS1_3gpuE3ELNS1_3repE0EEENS1_30default_config_static_selectorELNS0_4arch9wavefront6targetE1EEEvT1_
; %bb.0:
	.section	.rodata,"a",@progbits
	.p2align	6, 0x0
	.amdhsa_kernel _ZN7rocprim17ROCPRIM_400000_NS6detail17trampoline_kernelINS0_14default_configENS1_20scan_config_selectorIiEEZZNS1_9scan_implILNS1_25lookback_scan_determinismE0ELb0ELb0ES3_PiS8_iN6thrust23THRUST_200600_302600_NS4plusIvEEiEEDaPvRmT3_T4_T5_mT6_P12ihipStream_tbENKUlT_T0_E_clISt17integral_constantIbLb0EESQ_EEDaSL_SM_EUlSL_E_NS1_11comp_targetILNS1_3genE9ELNS1_11target_archE1100ELNS1_3gpuE3ELNS1_3repE0EEENS1_30default_config_static_selectorELNS0_4arch9wavefront6targetE1EEEvT1_
		.amdhsa_group_segment_fixed_size 0
		.amdhsa_private_segment_fixed_size 0
		.amdhsa_kernarg_size 96
		.amdhsa_user_sgpr_count 6
		.amdhsa_user_sgpr_private_segment_buffer 1
		.amdhsa_user_sgpr_dispatch_ptr 0
		.amdhsa_user_sgpr_queue_ptr 0
		.amdhsa_user_sgpr_kernarg_segment_ptr 1
		.amdhsa_user_sgpr_dispatch_id 0
		.amdhsa_user_sgpr_flat_scratch_init 0
		.amdhsa_user_sgpr_kernarg_preload_length 0
		.amdhsa_user_sgpr_kernarg_preload_offset 0
		.amdhsa_user_sgpr_private_segment_size 0
		.amdhsa_uses_dynamic_stack 0
		.amdhsa_system_sgpr_private_segment_wavefront_offset 0
		.amdhsa_system_sgpr_workgroup_id_x 1
		.amdhsa_system_sgpr_workgroup_id_y 0
		.amdhsa_system_sgpr_workgroup_id_z 0
		.amdhsa_system_sgpr_workgroup_info 0
		.amdhsa_system_vgpr_workitem_id 0
		.amdhsa_next_free_vgpr 1
		.amdhsa_next_free_sgpr 0
		.amdhsa_accum_offset 4
		.amdhsa_reserve_vcc 0
		.amdhsa_reserve_flat_scratch 0
		.amdhsa_float_round_mode_32 0
		.amdhsa_float_round_mode_16_64 0
		.amdhsa_float_denorm_mode_32 3
		.amdhsa_float_denorm_mode_16_64 3
		.amdhsa_dx10_clamp 1
		.amdhsa_ieee_mode 1
		.amdhsa_fp16_overflow 0
		.amdhsa_tg_split 0
		.amdhsa_exception_fp_ieee_invalid_op 0
		.amdhsa_exception_fp_denorm_src 0
		.amdhsa_exception_fp_ieee_div_zero 0
		.amdhsa_exception_fp_ieee_overflow 0
		.amdhsa_exception_fp_ieee_underflow 0
		.amdhsa_exception_fp_ieee_inexact 0
		.amdhsa_exception_int_div_zero 0
	.end_amdhsa_kernel
	.section	.text._ZN7rocprim17ROCPRIM_400000_NS6detail17trampoline_kernelINS0_14default_configENS1_20scan_config_selectorIiEEZZNS1_9scan_implILNS1_25lookback_scan_determinismE0ELb0ELb0ES3_PiS8_iN6thrust23THRUST_200600_302600_NS4plusIvEEiEEDaPvRmT3_T4_T5_mT6_P12ihipStream_tbENKUlT_T0_E_clISt17integral_constantIbLb0EESQ_EEDaSL_SM_EUlSL_E_NS1_11comp_targetILNS1_3genE9ELNS1_11target_archE1100ELNS1_3gpuE3ELNS1_3repE0EEENS1_30default_config_static_selectorELNS0_4arch9wavefront6targetE1EEEvT1_,"axG",@progbits,_ZN7rocprim17ROCPRIM_400000_NS6detail17trampoline_kernelINS0_14default_configENS1_20scan_config_selectorIiEEZZNS1_9scan_implILNS1_25lookback_scan_determinismE0ELb0ELb0ES3_PiS8_iN6thrust23THRUST_200600_302600_NS4plusIvEEiEEDaPvRmT3_T4_T5_mT6_P12ihipStream_tbENKUlT_T0_E_clISt17integral_constantIbLb0EESQ_EEDaSL_SM_EUlSL_E_NS1_11comp_targetILNS1_3genE9ELNS1_11target_archE1100ELNS1_3gpuE3ELNS1_3repE0EEENS1_30default_config_static_selectorELNS0_4arch9wavefront6targetE1EEEvT1_,comdat
.Lfunc_end27:
	.size	_ZN7rocprim17ROCPRIM_400000_NS6detail17trampoline_kernelINS0_14default_configENS1_20scan_config_selectorIiEEZZNS1_9scan_implILNS1_25lookback_scan_determinismE0ELb0ELb0ES3_PiS8_iN6thrust23THRUST_200600_302600_NS4plusIvEEiEEDaPvRmT3_T4_T5_mT6_P12ihipStream_tbENKUlT_T0_E_clISt17integral_constantIbLb0EESQ_EEDaSL_SM_EUlSL_E_NS1_11comp_targetILNS1_3genE9ELNS1_11target_archE1100ELNS1_3gpuE3ELNS1_3repE0EEENS1_30default_config_static_selectorELNS0_4arch9wavefront6targetE1EEEvT1_, .Lfunc_end27-_ZN7rocprim17ROCPRIM_400000_NS6detail17trampoline_kernelINS0_14default_configENS1_20scan_config_selectorIiEEZZNS1_9scan_implILNS1_25lookback_scan_determinismE0ELb0ELb0ES3_PiS8_iN6thrust23THRUST_200600_302600_NS4plusIvEEiEEDaPvRmT3_T4_T5_mT6_P12ihipStream_tbENKUlT_T0_E_clISt17integral_constantIbLb0EESQ_EEDaSL_SM_EUlSL_E_NS1_11comp_targetILNS1_3genE9ELNS1_11target_archE1100ELNS1_3gpuE3ELNS1_3repE0EEENS1_30default_config_static_selectorELNS0_4arch9wavefront6targetE1EEEvT1_
                                        ; -- End function
	.section	.AMDGPU.csdata,"",@progbits
; Kernel info:
; codeLenInByte = 0
; NumSgprs: 4
; NumVgprs: 0
; NumAgprs: 0
; TotalNumVgprs: 0
; ScratchSize: 0
; MemoryBound: 0
; FloatMode: 240
; IeeeMode: 1
; LDSByteSize: 0 bytes/workgroup (compile time only)
; SGPRBlocks: 0
; VGPRBlocks: 0
; NumSGPRsForWavesPerEU: 4
; NumVGPRsForWavesPerEU: 1
; AccumOffset: 4
; Occupancy: 8
; WaveLimiterHint : 0
; COMPUTE_PGM_RSRC2:SCRATCH_EN: 0
; COMPUTE_PGM_RSRC2:USER_SGPR: 6
; COMPUTE_PGM_RSRC2:TRAP_HANDLER: 0
; COMPUTE_PGM_RSRC2:TGID_X_EN: 1
; COMPUTE_PGM_RSRC2:TGID_Y_EN: 0
; COMPUTE_PGM_RSRC2:TGID_Z_EN: 0
; COMPUTE_PGM_RSRC2:TIDIG_COMP_CNT: 0
; COMPUTE_PGM_RSRC3_GFX90A:ACCUM_OFFSET: 0
; COMPUTE_PGM_RSRC3_GFX90A:TG_SPLIT: 0
	.section	.text._ZN7rocprim17ROCPRIM_400000_NS6detail17trampoline_kernelINS0_14default_configENS1_20scan_config_selectorIiEEZZNS1_9scan_implILNS1_25lookback_scan_determinismE0ELb0ELb0ES3_PiS8_iN6thrust23THRUST_200600_302600_NS4plusIvEEiEEDaPvRmT3_T4_T5_mT6_P12ihipStream_tbENKUlT_T0_E_clISt17integral_constantIbLb0EESQ_EEDaSL_SM_EUlSL_E_NS1_11comp_targetILNS1_3genE8ELNS1_11target_archE1030ELNS1_3gpuE2ELNS1_3repE0EEENS1_30default_config_static_selectorELNS0_4arch9wavefront6targetE1EEEvT1_,"axG",@progbits,_ZN7rocprim17ROCPRIM_400000_NS6detail17trampoline_kernelINS0_14default_configENS1_20scan_config_selectorIiEEZZNS1_9scan_implILNS1_25lookback_scan_determinismE0ELb0ELb0ES3_PiS8_iN6thrust23THRUST_200600_302600_NS4plusIvEEiEEDaPvRmT3_T4_T5_mT6_P12ihipStream_tbENKUlT_T0_E_clISt17integral_constantIbLb0EESQ_EEDaSL_SM_EUlSL_E_NS1_11comp_targetILNS1_3genE8ELNS1_11target_archE1030ELNS1_3gpuE2ELNS1_3repE0EEENS1_30default_config_static_selectorELNS0_4arch9wavefront6targetE1EEEvT1_,comdat
	.protected	_ZN7rocprim17ROCPRIM_400000_NS6detail17trampoline_kernelINS0_14default_configENS1_20scan_config_selectorIiEEZZNS1_9scan_implILNS1_25lookback_scan_determinismE0ELb0ELb0ES3_PiS8_iN6thrust23THRUST_200600_302600_NS4plusIvEEiEEDaPvRmT3_T4_T5_mT6_P12ihipStream_tbENKUlT_T0_E_clISt17integral_constantIbLb0EESQ_EEDaSL_SM_EUlSL_E_NS1_11comp_targetILNS1_3genE8ELNS1_11target_archE1030ELNS1_3gpuE2ELNS1_3repE0EEENS1_30default_config_static_selectorELNS0_4arch9wavefront6targetE1EEEvT1_ ; -- Begin function _ZN7rocprim17ROCPRIM_400000_NS6detail17trampoline_kernelINS0_14default_configENS1_20scan_config_selectorIiEEZZNS1_9scan_implILNS1_25lookback_scan_determinismE0ELb0ELb0ES3_PiS8_iN6thrust23THRUST_200600_302600_NS4plusIvEEiEEDaPvRmT3_T4_T5_mT6_P12ihipStream_tbENKUlT_T0_E_clISt17integral_constantIbLb0EESQ_EEDaSL_SM_EUlSL_E_NS1_11comp_targetILNS1_3genE8ELNS1_11target_archE1030ELNS1_3gpuE2ELNS1_3repE0EEENS1_30default_config_static_selectorELNS0_4arch9wavefront6targetE1EEEvT1_
	.globl	_ZN7rocprim17ROCPRIM_400000_NS6detail17trampoline_kernelINS0_14default_configENS1_20scan_config_selectorIiEEZZNS1_9scan_implILNS1_25lookback_scan_determinismE0ELb0ELb0ES3_PiS8_iN6thrust23THRUST_200600_302600_NS4plusIvEEiEEDaPvRmT3_T4_T5_mT6_P12ihipStream_tbENKUlT_T0_E_clISt17integral_constantIbLb0EESQ_EEDaSL_SM_EUlSL_E_NS1_11comp_targetILNS1_3genE8ELNS1_11target_archE1030ELNS1_3gpuE2ELNS1_3repE0EEENS1_30default_config_static_selectorELNS0_4arch9wavefront6targetE1EEEvT1_
	.p2align	8
	.type	_ZN7rocprim17ROCPRIM_400000_NS6detail17trampoline_kernelINS0_14default_configENS1_20scan_config_selectorIiEEZZNS1_9scan_implILNS1_25lookback_scan_determinismE0ELb0ELb0ES3_PiS8_iN6thrust23THRUST_200600_302600_NS4plusIvEEiEEDaPvRmT3_T4_T5_mT6_P12ihipStream_tbENKUlT_T0_E_clISt17integral_constantIbLb0EESQ_EEDaSL_SM_EUlSL_E_NS1_11comp_targetILNS1_3genE8ELNS1_11target_archE1030ELNS1_3gpuE2ELNS1_3repE0EEENS1_30default_config_static_selectorELNS0_4arch9wavefront6targetE1EEEvT1_,@function
_ZN7rocprim17ROCPRIM_400000_NS6detail17trampoline_kernelINS0_14default_configENS1_20scan_config_selectorIiEEZZNS1_9scan_implILNS1_25lookback_scan_determinismE0ELb0ELb0ES3_PiS8_iN6thrust23THRUST_200600_302600_NS4plusIvEEiEEDaPvRmT3_T4_T5_mT6_P12ihipStream_tbENKUlT_T0_E_clISt17integral_constantIbLb0EESQ_EEDaSL_SM_EUlSL_E_NS1_11comp_targetILNS1_3genE8ELNS1_11target_archE1030ELNS1_3gpuE2ELNS1_3repE0EEENS1_30default_config_static_selectorELNS0_4arch9wavefront6targetE1EEEvT1_: ; @_ZN7rocprim17ROCPRIM_400000_NS6detail17trampoline_kernelINS0_14default_configENS1_20scan_config_selectorIiEEZZNS1_9scan_implILNS1_25lookback_scan_determinismE0ELb0ELb0ES3_PiS8_iN6thrust23THRUST_200600_302600_NS4plusIvEEiEEDaPvRmT3_T4_T5_mT6_P12ihipStream_tbENKUlT_T0_E_clISt17integral_constantIbLb0EESQ_EEDaSL_SM_EUlSL_E_NS1_11comp_targetILNS1_3genE8ELNS1_11target_archE1030ELNS1_3gpuE2ELNS1_3repE0EEENS1_30default_config_static_selectorELNS0_4arch9wavefront6targetE1EEEvT1_
; %bb.0:
	.section	.rodata,"a",@progbits
	.p2align	6, 0x0
	.amdhsa_kernel _ZN7rocprim17ROCPRIM_400000_NS6detail17trampoline_kernelINS0_14default_configENS1_20scan_config_selectorIiEEZZNS1_9scan_implILNS1_25lookback_scan_determinismE0ELb0ELb0ES3_PiS8_iN6thrust23THRUST_200600_302600_NS4plusIvEEiEEDaPvRmT3_T4_T5_mT6_P12ihipStream_tbENKUlT_T0_E_clISt17integral_constantIbLb0EESQ_EEDaSL_SM_EUlSL_E_NS1_11comp_targetILNS1_3genE8ELNS1_11target_archE1030ELNS1_3gpuE2ELNS1_3repE0EEENS1_30default_config_static_selectorELNS0_4arch9wavefront6targetE1EEEvT1_
		.amdhsa_group_segment_fixed_size 0
		.amdhsa_private_segment_fixed_size 0
		.amdhsa_kernarg_size 96
		.amdhsa_user_sgpr_count 6
		.amdhsa_user_sgpr_private_segment_buffer 1
		.amdhsa_user_sgpr_dispatch_ptr 0
		.amdhsa_user_sgpr_queue_ptr 0
		.amdhsa_user_sgpr_kernarg_segment_ptr 1
		.amdhsa_user_sgpr_dispatch_id 0
		.amdhsa_user_sgpr_flat_scratch_init 0
		.amdhsa_user_sgpr_kernarg_preload_length 0
		.amdhsa_user_sgpr_kernarg_preload_offset 0
		.amdhsa_user_sgpr_private_segment_size 0
		.amdhsa_uses_dynamic_stack 0
		.amdhsa_system_sgpr_private_segment_wavefront_offset 0
		.amdhsa_system_sgpr_workgroup_id_x 1
		.amdhsa_system_sgpr_workgroup_id_y 0
		.amdhsa_system_sgpr_workgroup_id_z 0
		.amdhsa_system_sgpr_workgroup_info 0
		.amdhsa_system_vgpr_workitem_id 0
		.amdhsa_next_free_vgpr 1
		.amdhsa_next_free_sgpr 0
		.amdhsa_accum_offset 4
		.amdhsa_reserve_vcc 0
		.amdhsa_reserve_flat_scratch 0
		.amdhsa_float_round_mode_32 0
		.amdhsa_float_round_mode_16_64 0
		.amdhsa_float_denorm_mode_32 3
		.amdhsa_float_denorm_mode_16_64 3
		.amdhsa_dx10_clamp 1
		.amdhsa_ieee_mode 1
		.amdhsa_fp16_overflow 0
		.amdhsa_tg_split 0
		.amdhsa_exception_fp_ieee_invalid_op 0
		.amdhsa_exception_fp_denorm_src 0
		.amdhsa_exception_fp_ieee_div_zero 0
		.amdhsa_exception_fp_ieee_overflow 0
		.amdhsa_exception_fp_ieee_underflow 0
		.amdhsa_exception_fp_ieee_inexact 0
		.amdhsa_exception_int_div_zero 0
	.end_amdhsa_kernel
	.section	.text._ZN7rocprim17ROCPRIM_400000_NS6detail17trampoline_kernelINS0_14default_configENS1_20scan_config_selectorIiEEZZNS1_9scan_implILNS1_25lookback_scan_determinismE0ELb0ELb0ES3_PiS8_iN6thrust23THRUST_200600_302600_NS4plusIvEEiEEDaPvRmT3_T4_T5_mT6_P12ihipStream_tbENKUlT_T0_E_clISt17integral_constantIbLb0EESQ_EEDaSL_SM_EUlSL_E_NS1_11comp_targetILNS1_3genE8ELNS1_11target_archE1030ELNS1_3gpuE2ELNS1_3repE0EEENS1_30default_config_static_selectorELNS0_4arch9wavefront6targetE1EEEvT1_,"axG",@progbits,_ZN7rocprim17ROCPRIM_400000_NS6detail17trampoline_kernelINS0_14default_configENS1_20scan_config_selectorIiEEZZNS1_9scan_implILNS1_25lookback_scan_determinismE0ELb0ELb0ES3_PiS8_iN6thrust23THRUST_200600_302600_NS4plusIvEEiEEDaPvRmT3_T4_T5_mT6_P12ihipStream_tbENKUlT_T0_E_clISt17integral_constantIbLb0EESQ_EEDaSL_SM_EUlSL_E_NS1_11comp_targetILNS1_3genE8ELNS1_11target_archE1030ELNS1_3gpuE2ELNS1_3repE0EEENS1_30default_config_static_selectorELNS0_4arch9wavefront6targetE1EEEvT1_,comdat
.Lfunc_end28:
	.size	_ZN7rocprim17ROCPRIM_400000_NS6detail17trampoline_kernelINS0_14default_configENS1_20scan_config_selectorIiEEZZNS1_9scan_implILNS1_25lookback_scan_determinismE0ELb0ELb0ES3_PiS8_iN6thrust23THRUST_200600_302600_NS4plusIvEEiEEDaPvRmT3_T4_T5_mT6_P12ihipStream_tbENKUlT_T0_E_clISt17integral_constantIbLb0EESQ_EEDaSL_SM_EUlSL_E_NS1_11comp_targetILNS1_3genE8ELNS1_11target_archE1030ELNS1_3gpuE2ELNS1_3repE0EEENS1_30default_config_static_selectorELNS0_4arch9wavefront6targetE1EEEvT1_, .Lfunc_end28-_ZN7rocprim17ROCPRIM_400000_NS6detail17trampoline_kernelINS0_14default_configENS1_20scan_config_selectorIiEEZZNS1_9scan_implILNS1_25lookback_scan_determinismE0ELb0ELb0ES3_PiS8_iN6thrust23THRUST_200600_302600_NS4plusIvEEiEEDaPvRmT3_T4_T5_mT6_P12ihipStream_tbENKUlT_T0_E_clISt17integral_constantIbLb0EESQ_EEDaSL_SM_EUlSL_E_NS1_11comp_targetILNS1_3genE8ELNS1_11target_archE1030ELNS1_3gpuE2ELNS1_3repE0EEENS1_30default_config_static_selectorELNS0_4arch9wavefront6targetE1EEEvT1_
                                        ; -- End function
	.section	.AMDGPU.csdata,"",@progbits
; Kernel info:
; codeLenInByte = 0
; NumSgprs: 4
; NumVgprs: 0
; NumAgprs: 0
; TotalNumVgprs: 0
; ScratchSize: 0
; MemoryBound: 0
; FloatMode: 240
; IeeeMode: 1
; LDSByteSize: 0 bytes/workgroup (compile time only)
; SGPRBlocks: 0
; VGPRBlocks: 0
; NumSGPRsForWavesPerEU: 4
; NumVGPRsForWavesPerEU: 1
; AccumOffset: 4
; Occupancy: 8
; WaveLimiterHint : 0
; COMPUTE_PGM_RSRC2:SCRATCH_EN: 0
; COMPUTE_PGM_RSRC2:USER_SGPR: 6
; COMPUTE_PGM_RSRC2:TRAP_HANDLER: 0
; COMPUTE_PGM_RSRC2:TGID_X_EN: 1
; COMPUTE_PGM_RSRC2:TGID_Y_EN: 0
; COMPUTE_PGM_RSRC2:TGID_Z_EN: 0
; COMPUTE_PGM_RSRC2:TIDIG_COMP_CNT: 0
; COMPUTE_PGM_RSRC3_GFX90A:ACCUM_OFFSET: 0
; COMPUTE_PGM_RSRC3_GFX90A:TG_SPLIT: 0
	.section	.text._ZN7rocprim17ROCPRIM_400000_NS6detail17trampoline_kernelINS0_14default_configENS1_25transform_config_selectorIiLb1EEEZNS1_14transform_implILb1ES3_S5_PiS7_NS0_8identityIiEEEE10hipError_tT2_T3_mT4_P12ihipStream_tbEUlT_E_NS1_11comp_targetILNS1_3genE0ELNS1_11target_archE4294967295ELNS1_3gpuE0ELNS1_3repE0EEENS1_30default_config_static_selectorELNS0_4arch9wavefront6targetE1EEEvT1_,"axG",@progbits,_ZN7rocprim17ROCPRIM_400000_NS6detail17trampoline_kernelINS0_14default_configENS1_25transform_config_selectorIiLb1EEEZNS1_14transform_implILb1ES3_S5_PiS7_NS0_8identityIiEEEE10hipError_tT2_T3_mT4_P12ihipStream_tbEUlT_E_NS1_11comp_targetILNS1_3genE0ELNS1_11target_archE4294967295ELNS1_3gpuE0ELNS1_3repE0EEENS1_30default_config_static_selectorELNS0_4arch9wavefront6targetE1EEEvT1_,comdat
	.protected	_ZN7rocprim17ROCPRIM_400000_NS6detail17trampoline_kernelINS0_14default_configENS1_25transform_config_selectorIiLb1EEEZNS1_14transform_implILb1ES3_S5_PiS7_NS0_8identityIiEEEE10hipError_tT2_T3_mT4_P12ihipStream_tbEUlT_E_NS1_11comp_targetILNS1_3genE0ELNS1_11target_archE4294967295ELNS1_3gpuE0ELNS1_3repE0EEENS1_30default_config_static_selectorELNS0_4arch9wavefront6targetE1EEEvT1_ ; -- Begin function _ZN7rocprim17ROCPRIM_400000_NS6detail17trampoline_kernelINS0_14default_configENS1_25transform_config_selectorIiLb1EEEZNS1_14transform_implILb1ES3_S5_PiS7_NS0_8identityIiEEEE10hipError_tT2_T3_mT4_P12ihipStream_tbEUlT_E_NS1_11comp_targetILNS1_3genE0ELNS1_11target_archE4294967295ELNS1_3gpuE0ELNS1_3repE0EEENS1_30default_config_static_selectorELNS0_4arch9wavefront6targetE1EEEvT1_
	.globl	_ZN7rocprim17ROCPRIM_400000_NS6detail17trampoline_kernelINS0_14default_configENS1_25transform_config_selectorIiLb1EEEZNS1_14transform_implILb1ES3_S5_PiS7_NS0_8identityIiEEEE10hipError_tT2_T3_mT4_P12ihipStream_tbEUlT_E_NS1_11comp_targetILNS1_3genE0ELNS1_11target_archE4294967295ELNS1_3gpuE0ELNS1_3repE0EEENS1_30default_config_static_selectorELNS0_4arch9wavefront6targetE1EEEvT1_
	.p2align	8
	.type	_ZN7rocprim17ROCPRIM_400000_NS6detail17trampoline_kernelINS0_14default_configENS1_25transform_config_selectorIiLb1EEEZNS1_14transform_implILb1ES3_S5_PiS7_NS0_8identityIiEEEE10hipError_tT2_T3_mT4_P12ihipStream_tbEUlT_E_NS1_11comp_targetILNS1_3genE0ELNS1_11target_archE4294967295ELNS1_3gpuE0ELNS1_3repE0EEENS1_30default_config_static_selectorELNS0_4arch9wavefront6targetE1EEEvT1_,@function
_ZN7rocprim17ROCPRIM_400000_NS6detail17trampoline_kernelINS0_14default_configENS1_25transform_config_selectorIiLb1EEEZNS1_14transform_implILb1ES3_S5_PiS7_NS0_8identityIiEEEE10hipError_tT2_T3_mT4_P12ihipStream_tbEUlT_E_NS1_11comp_targetILNS1_3genE0ELNS1_11target_archE4294967295ELNS1_3gpuE0ELNS1_3repE0EEENS1_30default_config_static_selectorELNS0_4arch9wavefront6targetE1EEEvT1_: ; @_ZN7rocprim17ROCPRIM_400000_NS6detail17trampoline_kernelINS0_14default_configENS1_25transform_config_selectorIiLb1EEEZNS1_14transform_implILb1ES3_S5_PiS7_NS0_8identityIiEEEE10hipError_tT2_T3_mT4_P12ihipStream_tbEUlT_E_NS1_11comp_targetILNS1_3genE0ELNS1_11target_archE4294967295ELNS1_3gpuE0ELNS1_3repE0EEENS1_30default_config_static_selectorELNS0_4arch9wavefront6targetE1EEEvT1_
; %bb.0:
	.section	.rodata,"a",@progbits
	.p2align	6, 0x0
	.amdhsa_kernel _ZN7rocprim17ROCPRIM_400000_NS6detail17trampoline_kernelINS0_14default_configENS1_25transform_config_selectorIiLb1EEEZNS1_14transform_implILb1ES3_S5_PiS7_NS0_8identityIiEEEE10hipError_tT2_T3_mT4_P12ihipStream_tbEUlT_E_NS1_11comp_targetILNS1_3genE0ELNS1_11target_archE4294967295ELNS1_3gpuE0ELNS1_3repE0EEENS1_30default_config_static_selectorELNS0_4arch9wavefront6targetE1EEEvT1_
		.amdhsa_group_segment_fixed_size 0
		.amdhsa_private_segment_fixed_size 0
		.amdhsa_kernarg_size 40
		.amdhsa_user_sgpr_count 6
		.amdhsa_user_sgpr_private_segment_buffer 1
		.amdhsa_user_sgpr_dispatch_ptr 0
		.amdhsa_user_sgpr_queue_ptr 0
		.amdhsa_user_sgpr_kernarg_segment_ptr 1
		.amdhsa_user_sgpr_dispatch_id 0
		.amdhsa_user_sgpr_flat_scratch_init 0
		.amdhsa_user_sgpr_kernarg_preload_length 0
		.amdhsa_user_sgpr_kernarg_preload_offset 0
		.amdhsa_user_sgpr_private_segment_size 0
		.amdhsa_uses_dynamic_stack 0
		.amdhsa_system_sgpr_private_segment_wavefront_offset 0
		.amdhsa_system_sgpr_workgroup_id_x 1
		.amdhsa_system_sgpr_workgroup_id_y 0
		.amdhsa_system_sgpr_workgroup_id_z 0
		.amdhsa_system_sgpr_workgroup_info 0
		.amdhsa_system_vgpr_workitem_id 0
		.amdhsa_next_free_vgpr 1
		.amdhsa_next_free_sgpr 0
		.amdhsa_accum_offset 4
		.amdhsa_reserve_vcc 0
		.amdhsa_reserve_flat_scratch 0
		.amdhsa_float_round_mode_32 0
		.amdhsa_float_round_mode_16_64 0
		.amdhsa_float_denorm_mode_32 3
		.amdhsa_float_denorm_mode_16_64 3
		.amdhsa_dx10_clamp 1
		.amdhsa_ieee_mode 1
		.amdhsa_fp16_overflow 0
		.amdhsa_tg_split 0
		.amdhsa_exception_fp_ieee_invalid_op 0
		.amdhsa_exception_fp_denorm_src 0
		.amdhsa_exception_fp_ieee_div_zero 0
		.amdhsa_exception_fp_ieee_overflow 0
		.amdhsa_exception_fp_ieee_underflow 0
		.amdhsa_exception_fp_ieee_inexact 0
		.amdhsa_exception_int_div_zero 0
	.end_amdhsa_kernel
	.section	.text._ZN7rocprim17ROCPRIM_400000_NS6detail17trampoline_kernelINS0_14default_configENS1_25transform_config_selectorIiLb1EEEZNS1_14transform_implILb1ES3_S5_PiS7_NS0_8identityIiEEEE10hipError_tT2_T3_mT4_P12ihipStream_tbEUlT_E_NS1_11comp_targetILNS1_3genE0ELNS1_11target_archE4294967295ELNS1_3gpuE0ELNS1_3repE0EEENS1_30default_config_static_selectorELNS0_4arch9wavefront6targetE1EEEvT1_,"axG",@progbits,_ZN7rocprim17ROCPRIM_400000_NS6detail17trampoline_kernelINS0_14default_configENS1_25transform_config_selectorIiLb1EEEZNS1_14transform_implILb1ES3_S5_PiS7_NS0_8identityIiEEEE10hipError_tT2_T3_mT4_P12ihipStream_tbEUlT_E_NS1_11comp_targetILNS1_3genE0ELNS1_11target_archE4294967295ELNS1_3gpuE0ELNS1_3repE0EEENS1_30default_config_static_selectorELNS0_4arch9wavefront6targetE1EEEvT1_,comdat
.Lfunc_end29:
	.size	_ZN7rocprim17ROCPRIM_400000_NS6detail17trampoline_kernelINS0_14default_configENS1_25transform_config_selectorIiLb1EEEZNS1_14transform_implILb1ES3_S5_PiS7_NS0_8identityIiEEEE10hipError_tT2_T3_mT4_P12ihipStream_tbEUlT_E_NS1_11comp_targetILNS1_3genE0ELNS1_11target_archE4294967295ELNS1_3gpuE0ELNS1_3repE0EEENS1_30default_config_static_selectorELNS0_4arch9wavefront6targetE1EEEvT1_, .Lfunc_end29-_ZN7rocprim17ROCPRIM_400000_NS6detail17trampoline_kernelINS0_14default_configENS1_25transform_config_selectorIiLb1EEEZNS1_14transform_implILb1ES3_S5_PiS7_NS0_8identityIiEEEE10hipError_tT2_T3_mT4_P12ihipStream_tbEUlT_E_NS1_11comp_targetILNS1_3genE0ELNS1_11target_archE4294967295ELNS1_3gpuE0ELNS1_3repE0EEENS1_30default_config_static_selectorELNS0_4arch9wavefront6targetE1EEEvT1_
                                        ; -- End function
	.section	.AMDGPU.csdata,"",@progbits
; Kernel info:
; codeLenInByte = 0
; NumSgprs: 4
; NumVgprs: 0
; NumAgprs: 0
; TotalNumVgprs: 0
; ScratchSize: 0
; MemoryBound: 0
; FloatMode: 240
; IeeeMode: 1
; LDSByteSize: 0 bytes/workgroup (compile time only)
; SGPRBlocks: 0
; VGPRBlocks: 0
; NumSGPRsForWavesPerEU: 4
; NumVGPRsForWavesPerEU: 1
; AccumOffset: 4
; Occupancy: 8
; WaveLimiterHint : 0
; COMPUTE_PGM_RSRC2:SCRATCH_EN: 0
; COMPUTE_PGM_RSRC2:USER_SGPR: 6
; COMPUTE_PGM_RSRC2:TRAP_HANDLER: 0
; COMPUTE_PGM_RSRC2:TGID_X_EN: 1
; COMPUTE_PGM_RSRC2:TGID_Y_EN: 0
; COMPUTE_PGM_RSRC2:TGID_Z_EN: 0
; COMPUTE_PGM_RSRC2:TIDIG_COMP_CNT: 0
; COMPUTE_PGM_RSRC3_GFX90A:ACCUM_OFFSET: 0
; COMPUTE_PGM_RSRC3_GFX90A:TG_SPLIT: 0
	.section	.text._ZN7rocprim17ROCPRIM_400000_NS6detail17trampoline_kernelINS0_14default_configENS1_25transform_config_selectorIiLb1EEEZNS1_14transform_implILb1ES3_S5_PiS7_NS0_8identityIiEEEE10hipError_tT2_T3_mT4_P12ihipStream_tbEUlT_E_NS1_11comp_targetILNS1_3genE10ELNS1_11target_archE1201ELNS1_3gpuE5ELNS1_3repE0EEENS1_30default_config_static_selectorELNS0_4arch9wavefront6targetE1EEEvT1_,"axG",@progbits,_ZN7rocprim17ROCPRIM_400000_NS6detail17trampoline_kernelINS0_14default_configENS1_25transform_config_selectorIiLb1EEEZNS1_14transform_implILb1ES3_S5_PiS7_NS0_8identityIiEEEE10hipError_tT2_T3_mT4_P12ihipStream_tbEUlT_E_NS1_11comp_targetILNS1_3genE10ELNS1_11target_archE1201ELNS1_3gpuE5ELNS1_3repE0EEENS1_30default_config_static_selectorELNS0_4arch9wavefront6targetE1EEEvT1_,comdat
	.protected	_ZN7rocprim17ROCPRIM_400000_NS6detail17trampoline_kernelINS0_14default_configENS1_25transform_config_selectorIiLb1EEEZNS1_14transform_implILb1ES3_S5_PiS7_NS0_8identityIiEEEE10hipError_tT2_T3_mT4_P12ihipStream_tbEUlT_E_NS1_11comp_targetILNS1_3genE10ELNS1_11target_archE1201ELNS1_3gpuE5ELNS1_3repE0EEENS1_30default_config_static_selectorELNS0_4arch9wavefront6targetE1EEEvT1_ ; -- Begin function _ZN7rocprim17ROCPRIM_400000_NS6detail17trampoline_kernelINS0_14default_configENS1_25transform_config_selectorIiLb1EEEZNS1_14transform_implILb1ES3_S5_PiS7_NS0_8identityIiEEEE10hipError_tT2_T3_mT4_P12ihipStream_tbEUlT_E_NS1_11comp_targetILNS1_3genE10ELNS1_11target_archE1201ELNS1_3gpuE5ELNS1_3repE0EEENS1_30default_config_static_selectorELNS0_4arch9wavefront6targetE1EEEvT1_
	.globl	_ZN7rocprim17ROCPRIM_400000_NS6detail17trampoline_kernelINS0_14default_configENS1_25transform_config_selectorIiLb1EEEZNS1_14transform_implILb1ES3_S5_PiS7_NS0_8identityIiEEEE10hipError_tT2_T3_mT4_P12ihipStream_tbEUlT_E_NS1_11comp_targetILNS1_3genE10ELNS1_11target_archE1201ELNS1_3gpuE5ELNS1_3repE0EEENS1_30default_config_static_selectorELNS0_4arch9wavefront6targetE1EEEvT1_
	.p2align	8
	.type	_ZN7rocprim17ROCPRIM_400000_NS6detail17trampoline_kernelINS0_14default_configENS1_25transform_config_selectorIiLb1EEEZNS1_14transform_implILb1ES3_S5_PiS7_NS0_8identityIiEEEE10hipError_tT2_T3_mT4_P12ihipStream_tbEUlT_E_NS1_11comp_targetILNS1_3genE10ELNS1_11target_archE1201ELNS1_3gpuE5ELNS1_3repE0EEENS1_30default_config_static_selectorELNS0_4arch9wavefront6targetE1EEEvT1_,@function
_ZN7rocprim17ROCPRIM_400000_NS6detail17trampoline_kernelINS0_14default_configENS1_25transform_config_selectorIiLb1EEEZNS1_14transform_implILb1ES3_S5_PiS7_NS0_8identityIiEEEE10hipError_tT2_T3_mT4_P12ihipStream_tbEUlT_E_NS1_11comp_targetILNS1_3genE10ELNS1_11target_archE1201ELNS1_3gpuE5ELNS1_3repE0EEENS1_30default_config_static_selectorELNS0_4arch9wavefront6targetE1EEEvT1_: ; @_ZN7rocprim17ROCPRIM_400000_NS6detail17trampoline_kernelINS0_14default_configENS1_25transform_config_selectorIiLb1EEEZNS1_14transform_implILb1ES3_S5_PiS7_NS0_8identityIiEEEE10hipError_tT2_T3_mT4_P12ihipStream_tbEUlT_E_NS1_11comp_targetILNS1_3genE10ELNS1_11target_archE1201ELNS1_3gpuE5ELNS1_3repE0EEENS1_30default_config_static_selectorELNS0_4arch9wavefront6targetE1EEEvT1_
; %bb.0:
	.section	.rodata,"a",@progbits
	.p2align	6, 0x0
	.amdhsa_kernel _ZN7rocprim17ROCPRIM_400000_NS6detail17trampoline_kernelINS0_14default_configENS1_25transform_config_selectorIiLb1EEEZNS1_14transform_implILb1ES3_S5_PiS7_NS0_8identityIiEEEE10hipError_tT2_T3_mT4_P12ihipStream_tbEUlT_E_NS1_11comp_targetILNS1_3genE10ELNS1_11target_archE1201ELNS1_3gpuE5ELNS1_3repE0EEENS1_30default_config_static_selectorELNS0_4arch9wavefront6targetE1EEEvT1_
		.amdhsa_group_segment_fixed_size 0
		.amdhsa_private_segment_fixed_size 0
		.amdhsa_kernarg_size 40
		.amdhsa_user_sgpr_count 6
		.amdhsa_user_sgpr_private_segment_buffer 1
		.amdhsa_user_sgpr_dispatch_ptr 0
		.amdhsa_user_sgpr_queue_ptr 0
		.amdhsa_user_sgpr_kernarg_segment_ptr 1
		.amdhsa_user_sgpr_dispatch_id 0
		.amdhsa_user_sgpr_flat_scratch_init 0
		.amdhsa_user_sgpr_kernarg_preload_length 0
		.amdhsa_user_sgpr_kernarg_preload_offset 0
		.amdhsa_user_sgpr_private_segment_size 0
		.amdhsa_uses_dynamic_stack 0
		.amdhsa_system_sgpr_private_segment_wavefront_offset 0
		.amdhsa_system_sgpr_workgroup_id_x 1
		.amdhsa_system_sgpr_workgroup_id_y 0
		.amdhsa_system_sgpr_workgroup_id_z 0
		.amdhsa_system_sgpr_workgroup_info 0
		.amdhsa_system_vgpr_workitem_id 0
		.amdhsa_next_free_vgpr 1
		.amdhsa_next_free_sgpr 0
		.amdhsa_accum_offset 4
		.amdhsa_reserve_vcc 0
		.amdhsa_reserve_flat_scratch 0
		.amdhsa_float_round_mode_32 0
		.amdhsa_float_round_mode_16_64 0
		.amdhsa_float_denorm_mode_32 3
		.amdhsa_float_denorm_mode_16_64 3
		.amdhsa_dx10_clamp 1
		.amdhsa_ieee_mode 1
		.amdhsa_fp16_overflow 0
		.amdhsa_tg_split 0
		.amdhsa_exception_fp_ieee_invalid_op 0
		.amdhsa_exception_fp_denorm_src 0
		.amdhsa_exception_fp_ieee_div_zero 0
		.amdhsa_exception_fp_ieee_overflow 0
		.amdhsa_exception_fp_ieee_underflow 0
		.amdhsa_exception_fp_ieee_inexact 0
		.amdhsa_exception_int_div_zero 0
	.end_amdhsa_kernel
	.section	.text._ZN7rocprim17ROCPRIM_400000_NS6detail17trampoline_kernelINS0_14default_configENS1_25transform_config_selectorIiLb1EEEZNS1_14transform_implILb1ES3_S5_PiS7_NS0_8identityIiEEEE10hipError_tT2_T3_mT4_P12ihipStream_tbEUlT_E_NS1_11comp_targetILNS1_3genE10ELNS1_11target_archE1201ELNS1_3gpuE5ELNS1_3repE0EEENS1_30default_config_static_selectorELNS0_4arch9wavefront6targetE1EEEvT1_,"axG",@progbits,_ZN7rocprim17ROCPRIM_400000_NS6detail17trampoline_kernelINS0_14default_configENS1_25transform_config_selectorIiLb1EEEZNS1_14transform_implILb1ES3_S5_PiS7_NS0_8identityIiEEEE10hipError_tT2_T3_mT4_P12ihipStream_tbEUlT_E_NS1_11comp_targetILNS1_3genE10ELNS1_11target_archE1201ELNS1_3gpuE5ELNS1_3repE0EEENS1_30default_config_static_selectorELNS0_4arch9wavefront6targetE1EEEvT1_,comdat
.Lfunc_end30:
	.size	_ZN7rocprim17ROCPRIM_400000_NS6detail17trampoline_kernelINS0_14default_configENS1_25transform_config_selectorIiLb1EEEZNS1_14transform_implILb1ES3_S5_PiS7_NS0_8identityIiEEEE10hipError_tT2_T3_mT4_P12ihipStream_tbEUlT_E_NS1_11comp_targetILNS1_3genE10ELNS1_11target_archE1201ELNS1_3gpuE5ELNS1_3repE0EEENS1_30default_config_static_selectorELNS0_4arch9wavefront6targetE1EEEvT1_, .Lfunc_end30-_ZN7rocprim17ROCPRIM_400000_NS6detail17trampoline_kernelINS0_14default_configENS1_25transform_config_selectorIiLb1EEEZNS1_14transform_implILb1ES3_S5_PiS7_NS0_8identityIiEEEE10hipError_tT2_T3_mT4_P12ihipStream_tbEUlT_E_NS1_11comp_targetILNS1_3genE10ELNS1_11target_archE1201ELNS1_3gpuE5ELNS1_3repE0EEENS1_30default_config_static_selectorELNS0_4arch9wavefront6targetE1EEEvT1_
                                        ; -- End function
	.section	.AMDGPU.csdata,"",@progbits
; Kernel info:
; codeLenInByte = 0
; NumSgprs: 4
; NumVgprs: 0
; NumAgprs: 0
; TotalNumVgprs: 0
; ScratchSize: 0
; MemoryBound: 0
; FloatMode: 240
; IeeeMode: 1
; LDSByteSize: 0 bytes/workgroup (compile time only)
; SGPRBlocks: 0
; VGPRBlocks: 0
; NumSGPRsForWavesPerEU: 4
; NumVGPRsForWavesPerEU: 1
; AccumOffset: 4
; Occupancy: 8
; WaveLimiterHint : 0
; COMPUTE_PGM_RSRC2:SCRATCH_EN: 0
; COMPUTE_PGM_RSRC2:USER_SGPR: 6
; COMPUTE_PGM_RSRC2:TRAP_HANDLER: 0
; COMPUTE_PGM_RSRC2:TGID_X_EN: 1
; COMPUTE_PGM_RSRC2:TGID_Y_EN: 0
; COMPUTE_PGM_RSRC2:TGID_Z_EN: 0
; COMPUTE_PGM_RSRC2:TIDIG_COMP_CNT: 0
; COMPUTE_PGM_RSRC3_GFX90A:ACCUM_OFFSET: 0
; COMPUTE_PGM_RSRC3_GFX90A:TG_SPLIT: 0
	.section	.text._ZN7rocprim17ROCPRIM_400000_NS6detail17trampoline_kernelINS0_14default_configENS1_25transform_config_selectorIiLb1EEEZNS1_14transform_implILb1ES3_S5_PiS7_NS0_8identityIiEEEE10hipError_tT2_T3_mT4_P12ihipStream_tbEUlT_E_NS1_11comp_targetILNS1_3genE5ELNS1_11target_archE942ELNS1_3gpuE9ELNS1_3repE0EEENS1_30default_config_static_selectorELNS0_4arch9wavefront6targetE1EEEvT1_,"axG",@progbits,_ZN7rocprim17ROCPRIM_400000_NS6detail17trampoline_kernelINS0_14default_configENS1_25transform_config_selectorIiLb1EEEZNS1_14transform_implILb1ES3_S5_PiS7_NS0_8identityIiEEEE10hipError_tT2_T3_mT4_P12ihipStream_tbEUlT_E_NS1_11comp_targetILNS1_3genE5ELNS1_11target_archE942ELNS1_3gpuE9ELNS1_3repE0EEENS1_30default_config_static_selectorELNS0_4arch9wavefront6targetE1EEEvT1_,comdat
	.protected	_ZN7rocprim17ROCPRIM_400000_NS6detail17trampoline_kernelINS0_14default_configENS1_25transform_config_selectorIiLb1EEEZNS1_14transform_implILb1ES3_S5_PiS7_NS0_8identityIiEEEE10hipError_tT2_T3_mT4_P12ihipStream_tbEUlT_E_NS1_11comp_targetILNS1_3genE5ELNS1_11target_archE942ELNS1_3gpuE9ELNS1_3repE0EEENS1_30default_config_static_selectorELNS0_4arch9wavefront6targetE1EEEvT1_ ; -- Begin function _ZN7rocprim17ROCPRIM_400000_NS6detail17trampoline_kernelINS0_14default_configENS1_25transform_config_selectorIiLb1EEEZNS1_14transform_implILb1ES3_S5_PiS7_NS0_8identityIiEEEE10hipError_tT2_T3_mT4_P12ihipStream_tbEUlT_E_NS1_11comp_targetILNS1_3genE5ELNS1_11target_archE942ELNS1_3gpuE9ELNS1_3repE0EEENS1_30default_config_static_selectorELNS0_4arch9wavefront6targetE1EEEvT1_
	.globl	_ZN7rocprim17ROCPRIM_400000_NS6detail17trampoline_kernelINS0_14default_configENS1_25transform_config_selectorIiLb1EEEZNS1_14transform_implILb1ES3_S5_PiS7_NS0_8identityIiEEEE10hipError_tT2_T3_mT4_P12ihipStream_tbEUlT_E_NS1_11comp_targetILNS1_3genE5ELNS1_11target_archE942ELNS1_3gpuE9ELNS1_3repE0EEENS1_30default_config_static_selectorELNS0_4arch9wavefront6targetE1EEEvT1_
	.p2align	8
	.type	_ZN7rocprim17ROCPRIM_400000_NS6detail17trampoline_kernelINS0_14default_configENS1_25transform_config_selectorIiLb1EEEZNS1_14transform_implILb1ES3_S5_PiS7_NS0_8identityIiEEEE10hipError_tT2_T3_mT4_P12ihipStream_tbEUlT_E_NS1_11comp_targetILNS1_3genE5ELNS1_11target_archE942ELNS1_3gpuE9ELNS1_3repE0EEENS1_30default_config_static_selectorELNS0_4arch9wavefront6targetE1EEEvT1_,@function
_ZN7rocprim17ROCPRIM_400000_NS6detail17trampoline_kernelINS0_14default_configENS1_25transform_config_selectorIiLb1EEEZNS1_14transform_implILb1ES3_S5_PiS7_NS0_8identityIiEEEE10hipError_tT2_T3_mT4_P12ihipStream_tbEUlT_E_NS1_11comp_targetILNS1_3genE5ELNS1_11target_archE942ELNS1_3gpuE9ELNS1_3repE0EEENS1_30default_config_static_selectorELNS0_4arch9wavefront6targetE1EEEvT1_: ; @_ZN7rocprim17ROCPRIM_400000_NS6detail17trampoline_kernelINS0_14default_configENS1_25transform_config_selectorIiLb1EEEZNS1_14transform_implILb1ES3_S5_PiS7_NS0_8identityIiEEEE10hipError_tT2_T3_mT4_P12ihipStream_tbEUlT_E_NS1_11comp_targetILNS1_3genE5ELNS1_11target_archE942ELNS1_3gpuE9ELNS1_3repE0EEENS1_30default_config_static_selectorELNS0_4arch9wavefront6targetE1EEEvT1_
; %bb.0:
	.section	.rodata,"a",@progbits
	.p2align	6, 0x0
	.amdhsa_kernel _ZN7rocprim17ROCPRIM_400000_NS6detail17trampoline_kernelINS0_14default_configENS1_25transform_config_selectorIiLb1EEEZNS1_14transform_implILb1ES3_S5_PiS7_NS0_8identityIiEEEE10hipError_tT2_T3_mT4_P12ihipStream_tbEUlT_E_NS1_11comp_targetILNS1_3genE5ELNS1_11target_archE942ELNS1_3gpuE9ELNS1_3repE0EEENS1_30default_config_static_selectorELNS0_4arch9wavefront6targetE1EEEvT1_
		.amdhsa_group_segment_fixed_size 0
		.amdhsa_private_segment_fixed_size 0
		.amdhsa_kernarg_size 40
		.amdhsa_user_sgpr_count 6
		.amdhsa_user_sgpr_private_segment_buffer 1
		.amdhsa_user_sgpr_dispatch_ptr 0
		.amdhsa_user_sgpr_queue_ptr 0
		.amdhsa_user_sgpr_kernarg_segment_ptr 1
		.amdhsa_user_sgpr_dispatch_id 0
		.amdhsa_user_sgpr_flat_scratch_init 0
		.amdhsa_user_sgpr_kernarg_preload_length 0
		.amdhsa_user_sgpr_kernarg_preload_offset 0
		.amdhsa_user_sgpr_private_segment_size 0
		.amdhsa_uses_dynamic_stack 0
		.amdhsa_system_sgpr_private_segment_wavefront_offset 0
		.amdhsa_system_sgpr_workgroup_id_x 1
		.amdhsa_system_sgpr_workgroup_id_y 0
		.amdhsa_system_sgpr_workgroup_id_z 0
		.amdhsa_system_sgpr_workgroup_info 0
		.amdhsa_system_vgpr_workitem_id 0
		.amdhsa_next_free_vgpr 1
		.amdhsa_next_free_sgpr 0
		.amdhsa_accum_offset 4
		.amdhsa_reserve_vcc 0
		.amdhsa_reserve_flat_scratch 0
		.amdhsa_float_round_mode_32 0
		.amdhsa_float_round_mode_16_64 0
		.amdhsa_float_denorm_mode_32 3
		.amdhsa_float_denorm_mode_16_64 3
		.amdhsa_dx10_clamp 1
		.amdhsa_ieee_mode 1
		.amdhsa_fp16_overflow 0
		.amdhsa_tg_split 0
		.amdhsa_exception_fp_ieee_invalid_op 0
		.amdhsa_exception_fp_denorm_src 0
		.amdhsa_exception_fp_ieee_div_zero 0
		.amdhsa_exception_fp_ieee_overflow 0
		.amdhsa_exception_fp_ieee_underflow 0
		.amdhsa_exception_fp_ieee_inexact 0
		.amdhsa_exception_int_div_zero 0
	.end_amdhsa_kernel
	.section	.text._ZN7rocprim17ROCPRIM_400000_NS6detail17trampoline_kernelINS0_14default_configENS1_25transform_config_selectorIiLb1EEEZNS1_14transform_implILb1ES3_S5_PiS7_NS0_8identityIiEEEE10hipError_tT2_T3_mT4_P12ihipStream_tbEUlT_E_NS1_11comp_targetILNS1_3genE5ELNS1_11target_archE942ELNS1_3gpuE9ELNS1_3repE0EEENS1_30default_config_static_selectorELNS0_4arch9wavefront6targetE1EEEvT1_,"axG",@progbits,_ZN7rocprim17ROCPRIM_400000_NS6detail17trampoline_kernelINS0_14default_configENS1_25transform_config_selectorIiLb1EEEZNS1_14transform_implILb1ES3_S5_PiS7_NS0_8identityIiEEEE10hipError_tT2_T3_mT4_P12ihipStream_tbEUlT_E_NS1_11comp_targetILNS1_3genE5ELNS1_11target_archE942ELNS1_3gpuE9ELNS1_3repE0EEENS1_30default_config_static_selectorELNS0_4arch9wavefront6targetE1EEEvT1_,comdat
.Lfunc_end31:
	.size	_ZN7rocprim17ROCPRIM_400000_NS6detail17trampoline_kernelINS0_14default_configENS1_25transform_config_selectorIiLb1EEEZNS1_14transform_implILb1ES3_S5_PiS7_NS0_8identityIiEEEE10hipError_tT2_T3_mT4_P12ihipStream_tbEUlT_E_NS1_11comp_targetILNS1_3genE5ELNS1_11target_archE942ELNS1_3gpuE9ELNS1_3repE0EEENS1_30default_config_static_selectorELNS0_4arch9wavefront6targetE1EEEvT1_, .Lfunc_end31-_ZN7rocprim17ROCPRIM_400000_NS6detail17trampoline_kernelINS0_14default_configENS1_25transform_config_selectorIiLb1EEEZNS1_14transform_implILb1ES3_S5_PiS7_NS0_8identityIiEEEE10hipError_tT2_T3_mT4_P12ihipStream_tbEUlT_E_NS1_11comp_targetILNS1_3genE5ELNS1_11target_archE942ELNS1_3gpuE9ELNS1_3repE0EEENS1_30default_config_static_selectorELNS0_4arch9wavefront6targetE1EEEvT1_
                                        ; -- End function
	.section	.AMDGPU.csdata,"",@progbits
; Kernel info:
; codeLenInByte = 0
; NumSgprs: 4
; NumVgprs: 0
; NumAgprs: 0
; TotalNumVgprs: 0
; ScratchSize: 0
; MemoryBound: 0
; FloatMode: 240
; IeeeMode: 1
; LDSByteSize: 0 bytes/workgroup (compile time only)
; SGPRBlocks: 0
; VGPRBlocks: 0
; NumSGPRsForWavesPerEU: 4
; NumVGPRsForWavesPerEU: 1
; AccumOffset: 4
; Occupancy: 8
; WaveLimiterHint : 0
; COMPUTE_PGM_RSRC2:SCRATCH_EN: 0
; COMPUTE_PGM_RSRC2:USER_SGPR: 6
; COMPUTE_PGM_RSRC2:TRAP_HANDLER: 0
; COMPUTE_PGM_RSRC2:TGID_X_EN: 1
; COMPUTE_PGM_RSRC2:TGID_Y_EN: 0
; COMPUTE_PGM_RSRC2:TGID_Z_EN: 0
; COMPUTE_PGM_RSRC2:TIDIG_COMP_CNT: 0
; COMPUTE_PGM_RSRC3_GFX90A:ACCUM_OFFSET: 0
; COMPUTE_PGM_RSRC3_GFX90A:TG_SPLIT: 0
	.section	.text._ZN7rocprim17ROCPRIM_400000_NS6detail17trampoline_kernelINS0_14default_configENS1_25transform_config_selectorIiLb1EEEZNS1_14transform_implILb1ES3_S5_PiS7_NS0_8identityIiEEEE10hipError_tT2_T3_mT4_P12ihipStream_tbEUlT_E_NS1_11comp_targetILNS1_3genE4ELNS1_11target_archE910ELNS1_3gpuE8ELNS1_3repE0EEENS1_30default_config_static_selectorELNS0_4arch9wavefront6targetE1EEEvT1_,"axG",@progbits,_ZN7rocprim17ROCPRIM_400000_NS6detail17trampoline_kernelINS0_14default_configENS1_25transform_config_selectorIiLb1EEEZNS1_14transform_implILb1ES3_S5_PiS7_NS0_8identityIiEEEE10hipError_tT2_T3_mT4_P12ihipStream_tbEUlT_E_NS1_11comp_targetILNS1_3genE4ELNS1_11target_archE910ELNS1_3gpuE8ELNS1_3repE0EEENS1_30default_config_static_selectorELNS0_4arch9wavefront6targetE1EEEvT1_,comdat
	.protected	_ZN7rocprim17ROCPRIM_400000_NS6detail17trampoline_kernelINS0_14default_configENS1_25transform_config_selectorIiLb1EEEZNS1_14transform_implILb1ES3_S5_PiS7_NS0_8identityIiEEEE10hipError_tT2_T3_mT4_P12ihipStream_tbEUlT_E_NS1_11comp_targetILNS1_3genE4ELNS1_11target_archE910ELNS1_3gpuE8ELNS1_3repE0EEENS1_30default_config_static_selectorELNS0_4arch9wavefront6targetE1EEEvT1_ ; -- Begin function _ZN7rocprim17ROCPRIM_400000_NS6detail17trampoline_kernelINS0_14default_configENS1_25transform_config_selectorIiLb1EEEZNS1_14transform_implILb1ES3_S5_PiS7_NS0_8identityIiEEEE10hipError_tT2_T3_mT4_P12ihipStream_tbEUlT_E_NS1_11comp_targetILNS1_3genE4ELNS1_11target_archE910ELNS1_3gpuE8ELNS1_3repE0EEENS1_30default_config_static_selectorELNS0_4arch9wavefront6targetE1EEEvT1_
	.globl	_ZN7rocprim17ROCPRIM_400000_NS6detail17trampoline_kernelINS0_14default_configENS1_25transform_config_selectorIiLb1EEEZNS1_14transform_implILb1ES3_S5_PiS7_NS0_8identityIiEEEE10hipError_tT2_T3_mT4_P12ihipStream_tbEUlT_E_NS1_11comp_targetILNS1_3genE4ELNS1_11target_archE910ELNS1_3gpuE8ELNS1_3repE0EEENS1_30default_config_static_selectorELNS0_4arch9wavefront6targetE1EEEvT1_
	.p2align	8
	.type	_ZN7rocprim17ROCPRIM_400000_NS6detail17trampoline_kernelINS0_14default_configENS1_25transform_config_selectorIiLb1EEEZNS1_14transform_implILb1ES3_S5_PiS7_NS0_8identityIiEEEE10hipError_tT2_T3_mT4_P12ihipStream_tbEUlT_E_NS1_11comp_targetILNS1_3genE4ELNS1_11target_archE910ELNS1_3gpuE8ELNS1_3repE0EEENS1_30default_config_static_selectorELNS0_4arch9wavefront6targetE1EEEvT1_,@function
_ZN7rocprim17ROCPRIM_400000_NS6detail17trampoline_kernelINS0_14default_configENS1_25transform_config_selectorIiLb1EEEZNS1_14transform_implILb1ES3_S5_PiS7_NS0_8identityIiEEEE10hipError_tT2_T3_mT4_P12ihipStream_tbEUlT_E_NS1_11comp_targetILNS1_3genE4ELNS1_11target_archE910ELNS1_3gpuE8ELNS1_3repE0EEENS1_30default_config_static_selectorELNS0_4arch9wavefront6targetE1EEEvT1_: ; @_ZN7rocprim17ROCPRIM_400000_NS6detail17trampoline_kernelINS0_14default_configENS1_25transform_config_selectorIiLb1EEEZNS1_14transform_implILb1ES3_S5_PiS7_NS0_8identityIiEEEE10hipError_tT2_T3_mT4_P12ihipStream_tbEUlT_E_NS1_11comp_targetILNS1_3genE4ELNS1_11target_archE910ELNS1_3gpuE8ELNS1_3repE0EEENS1_30default_config_static_selectorELNS0_4arch9wavefront6targetE1EEEvT1_
; %bb.0:
	s_load_dwordx8 s[8:15], s[4:5], 0x0
	s_load_dword s2, s[4:5], 0x28
	s_waitcnt lgkmcnt(0)
	s_lshl_b64 s[0:1], s[10:11], 2
	s_add_u32 s3, s8, s0
	s_addc_u32 s4, s9, s1
	s_add_u32 s13, s14, s0
	s_addc_u32 s14, s15, s1
	s_lshl_b32 s0, s6, 12
	s_mov_b32 s1, 0
	s_add_i32 s2, s2, -1
	s_lshl_b64 s[8:9], s[0:1], 2
	s_add_u32 s10, s3, s8
	s_addc_u32 s11, s4, s9
	s_cmp_lg_u32 s6, s2
	s_mov_b64 s[2:3], -1
	s_cbranch_scc0 .LBB32_2
; %bb.1:
	v_lshlrev_b32_e32 v1, 4, v0
	global_load_dwordx4 v[2:5], v1, s[10:11]
	s_add_u32 s2, s13, s8
	s_addc_u32 s3, s14, s9
	s_waitcnt vmcnt(0)
	global_store_dwordx4 v1, v[2:5], s[2:3]
	s_mov_b64 s[2:3], 0
.LBB32_2:
	s_andn2_b64 vcc, exec, s[2:3]
	s_cbranch_vccnz .LBB32_16
; %bb.3:
	s_sub_i32 s6, s12, s0
	v_cmp_gt_u32_e32 vcc, s6, v0
	v_lshlrev_b32_e32 v1, 2, v0
                                        ; implicit-def: $vgpr2_vgpr3_vgpr4_vgpr5
	s_and_saveexec_b64 s[0:1], vcc
	s_cbranch_execz .LBB32_5
; %bb.4:
	global_load_dword v2, v1, s[10:11]
.LBB32_5:
	s_or_b64 exec, exec, s[0:1]
	v_or_b32_e32 v6, 0x400, v0
	v_cmp_gt_u32_e64 s[4:5], s6, v6
	s_and_saveexec_b64 s[0:1], s[4:5]
	s_cbranch_execz .LBB32_7
; %bb.6:
	v_lshlrev_b32_e32 v3, 2, v6
	global_load_dword v3, v3, s[10:11]
.LBB32_7:
	s_or_b64 exec, exec, s[0:1]
	v_or_b32_e32 v6, 0x800, v0
	v_cmp_gt_u32_e64 s[0:1], s6, v6
	s_and_saveexec_b64 s[2:3], s[0:1]
	s_cbranch_execz .LBB32_9
; %bb.8:
	v_lshlrev_b32_e32 v4, 2, v6
	global_load_dword v4, v4, s[10:11]
.LBB32_9:
	;; [unrolled: 9-line block ×3, first 2 shown]
	s_or_b64 exec, exec, s[6:7]
	s_add_u32 s6, s13, s8
	s_addc_u32 s7, s14, s9
	v_mov_b32_e32 v6, s7
	v_add_co_u32_e64 v0, s[6:7], s6, v1
	v_addc_co_u32_e64 v1, s[6:7], 0, v6, s[6:7]
	s_and_saveexec_b64 s[6:7], vcc
	s_cbranch_execnz .LBB32_17
; %bb.12:
	s_or_b64 exec, exec, s[6:7]
	s_and_saveexec_b64 s[6:7], s[4:5]
	s_cbranch_execnz .LBB32_18
.LBB32_13:
	s_or_b64 exec, exec, s[6:7]
	s_and_saveexec_b64 s[4:5], s[0:1]
	s_cbranch_execnz .LBB32_19
.LBB32_14:
	s_or_b64 exec, exec, s[4:5]
	s_and_saveexec_b64 s[0:1], s[2:3]
	s_cbranch_execz .LBB32_16
.LBB32_15:
	v_add_co_u32_e32 v0, vcc, 0x3000, v0
	s_waitcnt vmcnt(0)
	v_cndmask_b32_e64 v2, v5, v5, s[2:3]
	v_addc_co_u32_e32 v1, vcc, 0, v1, vcc
	global_store_dword v[0:1], v2, off
.LBB32_16:
	s_endpgm
.LBB32_17:
	s_waitcnt vmcnt(0)
	global_store_dword v[0:1], v2, off
	s_or_b64 exec, exec, s[6:7]
	s_and_saveexec_b64 s[6:7], s[4:5]
	s_cbranch_execz .LBB32_13
.LBB32_18:
	v_add_co_u32_e32 v6, vcc, 0x1000, v0
	v_addc_co_u32_e32 v7, vcc, 0, v1, vcc
	s_waitcnt vmcnt(0)
	global_store_dword v[6:7], v3, off
	s_or_b64 exec, exec, s[6:7]
	s_and_saveexec_b64 s[4:5], s[0:1]
	s_cbranch_execz .LBB32_14
.LBB32_19:
	s_waitcnt vmcnt(0)
	v_add_co_u32_e32 v2, vcc, 0x2000, v0
	v_cndmask_b32_e64 v4, v4, v4, s[0:1]
	v_addc_co_u32_e32 v3, vcc, 0, v1, vcc
	global_store_dword v[2:3], v4, off
	s_or_b64 exec, exec, s[4:5]
	s_and_saveexec_b64 s[0:1], s[2:3]
	s_cbranch_execnz .LBB32_15
	s_branch .LBB32_16
	.section	.rodata,"a",@progbits
	.p2align	6, 0x0
	.amdhsa_kernel _ZN7rocprim17ROCPRIM_400000_NS6detail17trampoline_kernelINS0_14default_configENS1_25transform_config_selectorIiLb1EEEZNS1_14transform_implILb1ES3_S5_PiS7_NS0_8identityIiEEEE10hipError_tT2_T3_mT4_P12ihipStream_tbEUlT_E_NS1_11comp_targetILNS1_3genE4ELNS1_11target_archE910ELNS1_3gpuE8ELNS1_3repE0EEENS1_30default_config_static_selectorELNS0_4arch9wavefront6targetE1EEEvT1_
		.amdhsa_group_segment_fixed_size 0
		.amdhsa_private_segment_fixed_size 0
		.amdhsa_kernarg_size 296
		.amdhsa_user_sgpr_count 6
		.amdhsa_user_sgpr_private_segment_buffer 1
		.amdhsa_user_sgpr_dispatch_ptr 0
		.amdhsa_user_sgpr_queue_ptr 0
		.amdhsa_user_sgpr_kernarg_segment_ptr 1
		.amdhsa_user_sgpr_dispatch_id 0
		.amdhsa_user_sgpr_flat_scratch_init 0
		.amdhsa_user_sgpr_kernarg_preload_length 0
		.amdhsa_user_sgpr_kernarg_preload_offset 0
		.amdhsa_user_sgpr_private_segment_size 0
		.amdhsa_uses_dynamic_stack 0
		.amdhsa_system_sgpr_private_segment_wavefront_offset 0
		.amdhsa_system_sgpr_workgroup_id_x 1
		.amdhsa_system_sgpr_workgroup_id_y 0
		.amdhsa_system_sgpr_workgroup_id_z 0
		.amdhsa_system_sgpr_workgroup_info 0
		.amdhsa_system_vgpr_workitem_id 0
		.amdhsa_next_free_vgpr 8
		.amdhsa_next_free_sgpr 16
		.amdhsa_accum_offset 8
		.amdhsa_reserve_vcc 1
		.amdhsa_reserve_flat_scratch 0
		.amdhsa_float_round_mode_32 0
		.amdhsa_float_round_mode_16_64 0
		.amdhsa_float_denorm_mode_32 3
		.amdhsa_float_denorm_mode_16_64 3
		.amdhsa_dx10_clamp 1
		.amdhsa_ieee_mode 1
		.amdhsa_fp16_overflow 0
		.amdhsa_tg_split 0
		.amdhsa_exception_fp_ieee_invalid_op 0
		.amdhsa_exception_fp_denorm_src 0
		.amdhsa_exception_fp_ieee_div_zero 0
		.amdhsa_exception_fp_ieee_overflow 0
		.amdhsa_exception_fp_ieee_underflow 0
		.amdhsa_exception_fp_ieee_inexact 0
		.amdhsa_exception_int_div_zero 0
	.end_amdhsa_kernel
	.section	.text._ZN7rocprim17ROCPRIM_400000_NS6detail17trampoline_kernelINS0_14default_configENS1_25transform_config_selectorIiLb1EEEZNS1_14transform_implILb1ES3_S5_PiS7_NS0_8identityIiEEEE10hipError_tT2_T3_mT4_P12ihipStream_tbEUlT_E_NS1_11comp_targetILNS1_3genE4ELNS1_11target_archE910ELNS1_3gpuE8ELNS1_3repE0EEENS1_30default_config_static_selectorELNS0_4arch9wavefront6targetE1EEEvT1_,"axG",@progbits,_ZN7rocprim17ROCPRIM_400000_NS6detail17trampoline_kernelINS0_14default_configENS1_25transform_config_selectorIiLb1EEEZNS1_14transform_implILb1ES3_S5_PiS7_NS0_8identityIiEEEE10hipError_tT2_T3_mT4_P12ihipStream_tbEUlT_E_NS1_11comp_targetILNS1_3genE4ELNS1_11target_archE910ELNS1_3gpuE8ELNS1_3repE0EEENS1_30default_config_static_selectorELNS0_4arch9wavefront6targetE1EEEvT1_,comdat
.Lfunc_end32:
	.size	_ZN7rocprim17ROCPRIM_400000_NS6detail17trampoline_kernelINS0_14default_configENS1_25transform_config_selectorIiLb1EEEZNS1_14transform_implILb1ES3_S5_PiS7_NS0_8identityIiEEEE10hipError_tT2_T3_mT4_P12ihipStream_tbEUlT_E_NS1_11comp_targetILNS1_3genE4ELNS1_11target_archE910ELNS1_3gpuE8ELNS1_3repE0EEENS1_30default_config_static_selectorELNS0_4arch9wavefront6targetE1EEEvT1_, .Lfunc_end32-_ZN7rocprim17ROCPRIM_400000_NS6detail17trampoline_kernelINS0_14default_configENS1_25transform_config_selectorIiLb1EEEZNS1_14transform_implILb1ES3_S5_PiS7_NS0_8identityIiEEEE10hipError_tT2_T3_mT4_P12ihipStream_tbEUlT_E_NS1_11comp_targetILNS1_3genE4ELNS1_11target_archE910ELNS1_3gpuE8ELNS1_3repE0EEENS1_30default_config_static_selectorELNS0_4arch9wavefront6targetE1EEEvT1_
                                        ; -- End function
	.section	.AMDGPU.csdata,"",@progbits
; Kernel info:
; codeLenInByte = 488
; NumSgprs: 20
; NumVgprs: 8
; NumAgprs: 0
; TotalNumVgprs: 8
; ScratchSize: 0
; MemoryBound: 1
; FloatMode: 240
; IeeeMode: 1
; LDSByteSize: 0 bytes/workgroup (compile time only)
; SGPRBlocks: 2
; VGPRBlocks: 0
; NumSGPRsForWavesPerEU: 20
; NumVGPRsForWavesPerEU: 8
; AccumOffset: 8
; Occupancy: 8
; WaveLimiterHint : 0
; COMPUTE_PGM_RSRC2:SCRATCH_EN: 0
; COMPUTE_PGM_RSRC2:USER_SGPR: 6
; COMPUTE_PGM_RSRC2:TRAP_HANDLER: 0
; COMPUTE_PGM_RSRC2:TGID_X_EN: 1
; COMPUTE_PGM_RSRC2:TGID_Y_EN: 0
; COMPUTE_PGM_RSRC2:TGID_Z_EN: 0
; COMPUTE_PGM_RSRC2:TIDIG_COMP_CNT: 0
; COMPUTE_PGM_RSRC3_GFX90A:ACCUM_OFFSET: 1
; COMPUTE_PGM_RSRC3_GFX90A:TG_SPLIT: 0
	.section	.text._ZN7rocprim17ROCPRIM_400000_NS6detail17trampoline_kernelINS0_14default_configENS1_25transform_config_selectorIiLb1EEEZNS1_14transform_implILb1ES3_S5_PiS7_NS0_8identityIiEEEE10hipError_tT2_T3_mT4_P12ihipStream_tbEUlT_E_NS1_11comp_targetILNS1_3genE3ELNS1_11target_archE908ELNS1_3gpuE7ELNS1_3repE0EEENS1_30default_config_static_selectorELNS0_4arch9wavefront6targetE1EEEvT1_,"axG",@progbits,_ZN7rocprim17ROCPRIM_400000_NS6detail17trampoline_kernelINS0_14default_configENS1_25transform_config_selectorIiLb1EEEZNS1_14transform_implILb1ES3_S5_PiS7_NS0_8identityIiEEEE10hipError_tT2_T3_mT4_P12ihipStream_tbEUlT_E_NS1_11comp_targetILNS1_3genE3ELNS1_11target_archE908ELNS1_3gpuE7ELNS1_3repE0EEENS1_30default_config_static_selectorELNS0_4arch9wavefront6targetE1EEEvT1_,comdat
	.protected	_ZN7rocprim17ROCPRIM_400000_NS6detail17trampoline_kernelINS0_14default_configENS1_25transform_config_selectorIiLb1EEEZNS1_14transform_implILb1ES3_S5_PiS7_NS0_8identityIiEEEE10hipError_tT2_T3_mT4_P12ihipStream_tbEUlT_E_NS1_11comp_targetILNS1_3genE3ELNS1_11target_archE908ELNS1_3gpuE7ELNS1_3repE0EEENS1_30default_config_static_selectorELNS0_4arch9wavefront6targetE1EEEvT1_ ; -- Begin function _ZN7rocprim17ROCPRIM_400000_NS6detail17trampoline_kernelINS0_14default_configENS1_25transform_config_selectorIiLb1EEEZNS1_14transform_implILb1ES3_S5_PiS7_NS0_8identityIiEEEE10hipError_tT2_T3_mT4_P12ihipStream_tbEUlT_E_NS1_11comp_targetILNS1_3genE3ELNS1_11target_archE908ELNS1_3gpuE7ELNS1_3repE0EEENS1_30default_config_static_selectorELNS0_4arch9wavefront6targetE1EEEvT1_
	.globl	_ZN7rocprim17ROCPRIM_400000_NS6detail17trampoline_kernelINS0_14default_configENS1_25transform_config_selectorIiLb1EEEZNS1_14transform_implILb1ES3_S5_PiS7_NS0_8identityIiEEEE10hipError_tT2_T3_mT4_P12ihipStream_tbEUlT_E_NS1_11comp_targetILNS1_3genE3ELNS1_11target_archE908ELNS1_3gpuE7ELNS1_3repE0EEENS1_30default_config_static_selectorELNS0_4arch9wavefront6targetE1EEEvT1_
	.p2align	8
	.type	_ZN7rocprim17ROCPRIM_400000_NS6detail17trampoline_kernelINS0_14default_configENS1_25transform_config_selectorIiLb1EEEZNS1_14transform_implILb1ES3_S5_PiS7_NS0_8identityIiEEEE10hipError_tT2_T3_mT4_P12ihipStream_tbEUlT_E_NS1_11comp_targetILNS1_3genE3ELNS1_11target_archE908ELNS1_3gpuE7ELNS1_3repE0EEENS1_30default_config_static_selectorELNS0_4arch9wavefront6targetE1EEEvT1_,@function
_ZN7rocprim17ROCPRIM_400000_NS6detail17trampoline_kernelINS0_14default_configENS1_25transform_config_selectorIiLb1EEEZNS1_14transform_implILb1ES3_S5_PiS7_NS0_8identityIiEEEE10hipError_tT2_T3_mT4_P12ihipStream_tbEUlT_E_NS1_11comp_targetILNS1_3genE3ELNS1_11target_archE908ELNS1_3gpuE7ELNS1_3repE0EEENS1_30default_config_static_selectorELNS0_4arch9wavefront6targetE1EEEvT1_: ; @_ZN7rocprim17ROCPRIM_400000_NS6detail17trampoline_kernelINS0_14default_configENS1_25transform_config_selectorIiLb1EEEZNS1_14transform_implILb1ES3_S5_PiS7_NS0_8identityIiEEEE10hipError_tT2_T3_mT4_P12ihipStream_tbEUlT_E_NS1_11comp_targetILNS1_3genE3ELNS1_11target_archE908ELNS1_3gpuE7ELNS1_3repE0EEENS1_30default_config_static_selectorELNS0_4arch9wavefront6targetE1EEEvT1_
; %bb.0:
	.section	.rodata,"a",@progbits
	.p2align	6, 0x0
	.amdhsa_kernel _ZN7rocprim17ROCPRIM_400000_NS6detail17trampoline_kernelINS0_14default_configENS1_25transform_config_selectorIiLb1EEEZNS1_14transform_implILb1ES3_S5_PiS7_NS0_8identityIiEEEE10hipError_tT2_T3_mT4_P12ihipStream_tbEUlT_E_NS1_11comp_targetILNS1_3genE3ELNS1_11target_archE908ELNS1_3gpuE7ELNS1_3repE0EEENS1_30default_config_static_selectorELNS0_4arch9wavefront6targetE1EEEvT1_
		.amdhsa_group_segment_fixed_size 0
		.amdhsa_private_segment_fixed_size 0
		.amdhsa_kernarg_size 40
		.amdhsa_user_sgpr_count 6
		.amdhsa_user_sgpr_private_segment_buffer 1
		.amdhsa_user_sgpr_dispatch_ptr 0
		.amdhsa_user_sgpr_queue_ptr 0
		.amdhsa_user_sgpr_kernarg_segment_ptr 1
		.amdhsa_user_sgpr_dispatch_id 0
		.amdhsa_user_sgpr_flat_scratch_init 0
		.amdhsa_user_sgpr_kernarg_preload_length 0
		.amdhsa_user_sgpr_kernarg_preload_offset 0
		.amdhsa_user_sgpr_private_segment_size 0
		.amdhsa_uses_dynamic_stack 0
		.amdhsa_system_sgpr_private_segment_wavefront_offset 0
		.amdhsa_system_sgpr_workgroup_id_x 1
		.amdhsa_system_sgpr_workgroup_id_y 0
		.amdhsa_system_sgpr_workgroup_id_z 0
		.amdhsa_system_sgpr_workgroup_info 0
		.amdhsa_system_vgpr_workitem_id 0
		.amdhsa_next_free_vgpr 1
		.amdhsa_next_free_sgpr 0
		.amdhsa_accum_offset 4
		.amdhsa_reserve_vcc 0
		.amdhsa_reserve_flat_scratch 0
		.amdhsa_float_round_mode_32 0
		.amdhsa_float_round_mode_16_64 0
		.amdhsa_float_denorm_mode_32 3
		.amdhsa_float_denorm_mode_16_64 3
		.amdhsa_dx10_clamp 1
		.amdhsa_ieee_mode 1
		.amdhsa_fp16_overflow 0
		.amdhsa_tg_split 0
		.amdhsa_exception_fp_ieee_invalid_op 0
		.amdhsa_exception_fp_denorm_src 0
		.amdhsa_exception_fp_ieee_div_zero 0
		.amdhsa_exception_fp_ieee_overflow 0
		.amdhsa_exception_fp_ieee_underflow 0
		.amdhsa_exception_fp_ieee_inexact 0
		.amdhsa_exception_int_div_zero 0
	.end_amdhsa_kernel
	.section	.text._ZN7rocprim17ROCPRIM_400000_NS6detail17trampoline_kernelINS0_14default_configENS1_25transform_config_selectorIiLb1EEEZNS1_14transform_implILb1ES3_S5_PiS7_NS0_8identityIiEEEE10hipError_tT2_T3_mT4_P12ihipStream_tbEUlT_E_NS1_11comp_targetILNS1_3genE3ELNS1_11target_archE908ELNS1_3gpuE7ELNS1_3repE0EEENS1_30default_config_static_selectorELNS0_4arch9wavefront6targetE1EEEvT1_,"axG",@progbits,_ZN7rocprim17ROCPRIM_400000_NS6detail17trampoline_kernelINS0_14default_configENS1_25transform_config_selectorIiLb1EEEZNS1_14transform_implILb1ES3_S5_PiS7_NS0_8identityIiEEEE10hipError_tT2_T3_mT4_P12ihipStream_tbEUlT_E_NS1_11comp_targetILNS1_3genE3ELNS1_11target_archE908ELNS1_3gpuE7ELNS1_3repE0EEENS1_30default_config_static_selectorELNS0_4arch9wavefront6targetE1EEEvT1_,comdat
.Lfunc_end33:
	.size	_ZN7rocprim17ROCPRIM_400000_NS6detail17trampoline_kernelINS0_14default_configENS1_25transform_config_selectorIiLb1EEEZNS1_14transform_implILb1ES3_S5_PiS7_NS0_8identityIiEEEE10hipError_tT2_T3_mT4_P12ihipStream_tbEUlT_E_NS1_11comp_targetILNS1_3genE3ELNS1_11target_archE908ELNS1_3gpuE7ELNS1_3repE0EEENS1_30default_config_static_selectorELNS0_4arch9wavefront6targetE1EEEvT1_, .Lfunc_end33-_ZN7rocprim17ROCPRIM_400000_NS6detail17trampoline_kernelINS0_14default_configENS1_25transform_config_selectorIiLb1EEEZNS1_14transform_implILb1ES3_S5_PiS7_NS0_8identityIiEEEE10hipError_tT2_T3_mT4_P12ihipStream_tbEUlT_E_NS1_11comp_targetILNS1_3genE3ELNS1_11target_archE908ELNS1_3gpuE7ELNS1_3repE0EEENS1_30default_config_static_selectorELNS0_4arch9wavefront6targetE1EEEvT1_
                                        ; -- End function
	.section	.AMDGPU.csdata,"",@progbits
; Kernel info:
; codeLenInByte = 0
; NumSgprs: 4
; NumVgprs: 0
; NumAgprs: 0
; TotalNumVgprs: 0
; ScratchSize: 0
; MemoryBound: 0
; FloatMode: 240
; IeeeMode: 1
; LDSByteSize: 0 bytes/workgroup (compile time only)
; SGPRBlocks: 0
; VGPRBlocks: 0
; NumSGPRsForWavesPerEU: 4
; NumVGPRsForWavesPerEU: 1
; AccumOffset: 4
; Occupancy: 8
; WaveLimiterHint : 0
; COMPUTE_PGM_RSRC2:SCRATCH_EN: 0
; COMPUTE_PGM_RSRC2:USER_SGPR: 6
; COMPUTE_PGM_RSRC2:TRAP_HANDLER: 0
; COMPUTE_PGM_RSRC2:TGID_X_EN: 1
; COMPUTE_PGM_RSRC2:TGID_Y_EN: 0
; COMPUTE_PGM_RSRC2:TGID_Z_EN: 0
; COMPUTE_PGM_RSRC2:TIDIG_COMP_CNT: 0
; COMPUTE_PGM_RSRC3_GFX90A:ACCUM_OFFSET: 0
; COMPUTE_PGM_RSRC3_GFX90A:TG_SPLIT: 0
	.section	.text._ZN7rocprim17ROCPRIM_400000_NS6detail17trampoline_kernelINS0_14default_configENS1_25transform_config_selectorIiLb1EEEZNS1_14transform_implILb1ES3_S5_PiS7_NS0_8identityIiEEEE10hipError_tT2_T3_mT4_P12ihipStream_tbEUlT_E_NS1_11comp_targetILNS1_3genE2ELNS1_11target_archE906ELNS1_3gpuE6ELNS1_3repE0EEENS1_30default_config_static_selectorELNS0_4arch9wavefront6targetE1EEEvT1_,"axG",@progbits,_ZN7rocprim17ROCPRIM_400000_NS6detail17trampoline_kernelINS0_14default_configENS1_25transform_config_selectorIiLb1EEEZNS1_14transform_implILb1ES3_S5_PiS7_NS0_8identityIiEEEE10hipError_tT2_T3_mT4_P12ihipStream_tbEUlT_E_NS1_11comp_targetILNS1_3genE2ELNS1_11target_archE906ELNS1_3gpuE6ELNS1_3repE0EEENS1_30default_config_static_selectorELNS0_4arch9wavefront6targetE1EEEvT1_,comdat
	.protected	_ZN7rocprim17ROCPRIM_400000_NS6detail17trampoline_kernelINS0_14default_configENS1_25transform_config_selectorIiLb1EEEZNS1_14transform_implILb1ES3_S5_PiS7_NS0_8identityIiEEEE10hipError_tT2_T3_mT4_P12ihipStream_tbEUlT_E_NS1_11comp_targetILNS1_3genE2ELNS1_11target_archE906ELNS1_3gpuE6ELNS1_3repE0EEENS1_30default_config_static_selectorELNS0_4arch9wavefront6targetE1EEEvT1_ ; -- Begin function _ZN7rocprim17ROCPRIM_400000_NS6detail17trampoline_kernelINS0_14default_configENS1_25transform_config_selectorIiLb1EEEZNS1_14transform_implILb1ES3_S5_PiS7_NS0_8identityIiEEEE10hipError_tT2_T3_mT4_P12ihipStream_tbEUlT_E_NS1_11comp_targetILNS1_3genE2ELNS1_11target_archE906ELNS1_3gpuE6ELNS1_3repE0EEENS1_30default_config_static_selectorELNS0_4arch9wavefront6targetE1EEEvT1_
	.globl	_ZN7rocprim17ROCPRIM_400000_NS6detail17trampoline_kernelINS0_14default_configENS1_25transform_config_selectorIiLb1EEEZNS1_14transform_implILb1ES3_S5_PiS7_NS0_8identityIiEEEE10hipError_tT2_T3_mT4_P12ihipStream_tbEUlT_E_NS1_11comp_targetILNS1_3genE2ELNS1_11target_archE906ELNS1_3gpuE6ELNS1_3repE0EEENS1_30default_config_static_selectorELNS0_4arch9wavefront6targetE1EEEvT1_
	.p2align	8
	.type	_ZN7rocprim17ROCPRIM_400000_NS6detail17trampoline_kernelINS0_14default_configENS1_25transform_config_selectorIiLb1EEEZNS1_14transform_implILb1ES3_S5_PiS7_NS0_8identityIiEEEE10hipError_tT2_T3_mT4_P12ihipStream_tbEUlT_E_NS1_11comp_targetILNS1_3genE2ELNS1_11target_archE906ELNS1_3gpuE6ELNS1_3repE0EEENS1_30default_config_static_selectorELNS0_4arch9wavefront6targetE1EEEvT1_,@function
_ZN7rocprim17ROCPRIM_400000_NS6detail17trampoline_kernelINS0_14default_configENS1_25transform_config_selectorIiLb1EEEZNS1_14transform_implILb1ES3_S5_PiS7_NS0_8identityIiEEEE10hipError_tT2_T3_mT4_P12ihipStream_tbEUlT_E_NS1_11comp_targetILNS1_3genE2ELNS1_11target_archE906ELNS1_3gpuE6ELNS1_3repE0EEENS1_30default_config_static_selectorELNS0_4arch9wavefront6targetE1EEEvT1_: ; @_ZN7rocprim17ROCPRIM_400000_NS6detail17trampoline_kernelINS0_14default_configENS1_25transform_config_selectorIiLb1EEEZNS1_14transform_implILb1ES3_S5_PiS7_NS0_8identityIiEEEE10hipError_tT2_T3_mT4_P12ihipStream_tbEUlT_E_NS1_11comp_targetILNS1_3genE2ELNS1_11target_archE906ELNS1_3gpuE6ELNS1_3repE0EEENS1_30default_config_static_selectorELNS0_4arch9wavefront6targetE1EEEvT1_
; %bb.0:
	.section	.rodata,"a",@progbits
	.p2align	6, 0x0
	.amdhsa_kernel _ZN7rocprim17ROCPRIM_400000_NS6detail17trampoline_kernelINS0_14default_configENS1_25transform_config_selectorIiLb1EEEZNS1_14transform_implILb1ES3_S5_PiS7_NS0_8identityIiEEEE10hipError_tT2_T3_mT4_P12ihipStream_tbEUlT_E_NS1_11comp_targetILNS1_3genE2ELNS1_11target_archE906ELNS1_3gpuE6ELNS1_3repE0EEENS1_30default_config_static_selectorELNS0_4arch9wavefront6targetE1EEEvT1_
		.amdhsa_group_segment_fixed_size 0
		.amdhsa_private_segment_fixed_size 0
		.amdhsa_kernarg_size 40
		.amdhsa_user_sgpr_count 6
		.amdhsa_user_sgpr_private_segment_buffer 1
		.amdhsa_user_sgpr_dispatch_ptr 0
		.amdhsa_user_sgpr_queue_ptr 0
		.amdhsa_user_sgpr_kernarg_segment_ptr 1
		.amdhsa_user_sgpr_dispatch_id 0
		.amdhsa_user_sgpr_flat_scratch_init 0
		.amdhsa_user_sgpr_kernarg_preload_length 0
		.amdhsa_user_sgpr_kernarg_preload_offset 0
		.amdhsa_user_sgpr_private_segment_size 0
		.amdhsa_uses_dynamic_stack 0
		.amdhsa_system_sgpr_private_segment_wavefront_offset 0
		.amdhsa_system_sgpr_workgroup_id_x 1
		.amdhsa_system_sgpr_workgroup_id_y 0
		.amdhsa_system_sgpr_workgroup_id_z 0
		.amdhsa_system_sgpr_workgroup_info 0
		.amdhsa_system_vgpr_workitem_id 0
		.amdhsa_next_free_vgpr 1
		.amdhsa_next_free_sgpr 0
		.amdhsa_accum_offset 4
		.amdhsa_reserve_vcc 0
		.amdhsa_reserve_flat_scratch 0
		.amdhsa_float_round_mode_32 0
		.amdhsa_float_round_mode_16_64 0
		.amdhsa_float_denorm_mode_32 3
		.amdhsa_float_denorm_mode_16_64 3
		.amdhsa_dx10_clamp 1
		.amdhsa_ieee_mode 1
		.amdhsa_fp16_overflow 0
		.amdhsa_tg_split 0
		.amdhsa_exception_fp_ieee_invalid_op 0
		.amdhsa_exception_fp_denorm_src 0
		.amdhsa_exception_fp_ieee_div_zero 0
		.amdhsa_exception_fp_ieee_overflow 0
		.amdhsa_exception_fp_ieee_underflow 0
		.amdhsa_exception_fp_ieee_inexact 0
		.amdhsa_exception_int_div_zero 0
	.end_amdhsa_kernel
	.section	.text._ZN7rocprim17ROCPRIM_400000_NS6detail17trampoline_kernelINS0_14default_configENS1_25transform_config_selectorIiLb1EEEZNS1_14transform_implILb1ES3_S5_PiS7_NS0_8identityIiEEEE10hipError_tT2_T3_mT4_P12ihipStream_tbEUlT_E_NS1_11comp_targetILNS1_3genE2ELNS1_11target_archE906ELNS1_3gpuE6ELNS1_3repE0EEENS1_30default_config_static_selectorELNS0_4arch9wavefront6targetE1EEEvT1_,"axG",@progbits,_ZN7rocprim17ROCPRIM_400000_NS6detail17trampoline_kernelINS0_14default_configENS1_25transform_config_selectorIiLb1EEEZNS1_14transform_implILb1ES3_S5_PiS7_NS0_8identityIiEEEE10hipError_tT2_T3_mT4_P12ihipStream_tbEUlT_E_NS1_11comp_targetILNS1_3genE2ELNS1_11target_archE906ELNS1_3gpuE6ELNS1_3repE0EEENS1_30default_config_static_selectorELNS0_4arch9wavefront6targetE1EEEvT1_,comdat
.Lfunc_end34:
	.size	_ZN7rocprim17ROCPRIM_400000_NS6detail17trampoline_kernelINS0_14default_configENS1_25transform_config_selectorIiLb1EEEZNS1_14transform_implILb1ES3_S5_PiS7_NS0_8identityIiEEEE10hipError_tT2_T3_mT4_P12ihipStream_tbEUlT_E_NS1_11comp_targetILNS1_3genE2ELNS1_11target_archE906ELNS1_3gpuE6ELNS1_3repE0EEENS1_30default_config_static_selectorELNS0_4arch9wavefront6targetE1EEEvT1_, .Lfunc_end34-_ZN7rocprim17ROCPRIM_400000_NS6detail17trampoline_kernelINS0_14default_configENS1_25transform_config_selectorIiLb1EEEZNS1_14transform_implILb1ES3_S5_PiS7_NS0_8identityIiEEEE10hipError_tT2_T3_mT4_P12ihipStream_tbEUlT_E_NS1_11comp_targetILNS1_3genE2ELNS1_11target_archE906ELNS1_3gpuE6ELNS1_3repE0EEENS1_30default_config_static_selectorELNS0_4arch9wavefront6targetE1EEEvT1_
                                        ; -- End function
	.section	.AMDGPU.csdata,"",@progbits
; Kernel info:
; codeLenInByte = 0
; NumSgprs: 4
; NumVgprs: 0
; NumAgprs: 0
; TotalNumVgprs: 0
; ScratchSize: 0
; MemoryBound: 0
; FloatMode: 240
; IeeeMode: 1
; LDSByteSize: 0 bytes/workgroup (compile time only)
; SGPRBlocks: 0
; VGPRBlocks: 0
; NumSGPRsForWavesPerEU: 4
; NumVGPRsForWavesPerEU: 1
; AccumOffset: 4
; Occupancy: 8
; WaveLimiterHint : 0
; COMPUTE_PGM_RSRC2:SCRATCH_EN: 0
; COMPUTE_PGM_RSRC2:USER_SGPR: 6
; COMPUTE_PGM_RSRC2:TRAP_HANDLER: 0
; COMPUTE_PGM_RSRC2:TGID_X_EN: 1
; COMPUTE_PGM_RSRC2:TGID_Y_EN: 0
; COMPUTE_PGM_RSRC2:TGID_Z_EN: 0
; COMPUTE_PGM_RSRC2:TIDIG_COMP_CNT: 0
; COMPUTE_PGM_RSRC3_GFX90A:ACCUM_OFFSET: 0
; COMPUTE_PGM_RSRC3_GFX90A:TG_SPLIT: 0
	.section	.text._ZN7rocprim17ROCPRIM_400000_NS6detail17trampoline_kernelINS0_14default_configENS1_25transform_config_selectorIiLb1EEEZNS1_14transform_implILb1ES3_S5_PiS7_NS0_8identityIiEEEE10hipError_tT2_T3_mT4_P12ihipStream_tbEUlT_E_NS1_11comp_targetILNS1_3genE9ELNS1_11target_archE1100ELNS1_3gpuE3ELNS1_3repE0EEENS1_30default_config_static_selectorELNS0_4arch9wavefront6targetE1EEEvT1_,"axG",@progbits,_ZN7rocprim17ROCPRIM_400000_NS6detail17trampoline_kernelINS0_14default_configENS1_25transform_config_selectorIiLb1EEEZNS1_14transform_implILb1ES3_S5_PiS7_NS0_8identityIiEEEE10hipError_tT2_T3_mT4_P12ihipStream_tbEUlT_E_NS1_11comp_targetILNS1_3genE9ELNS1_11target_archE1100ELNS1_3gpuE3ELNS1_3repE0EEENS1_30default_config_static_selectorELNS0_4arch9wavefront6targetE1EEEvT1_,comdat
	.protected	_ZN7rocprim17ROCPRIM_400000_NS6detail17trampoline_kernelINS0_14default_configENS1_25transform_config_selectorIiLb1EEEZNS1_14transform_implILb1ES3_S5_PiS7_NS0_8identityIiEEEE10hipError_tT2_T3_mT4_P12ihipStream_tbEUlT_E_NS1_11comp_targetILNS1_3genE9ELNS1_11target_archE1100ELNS1_3gpuE3ELNS1_3repE0EEENS1_30default_config_static_selectorELNS0_4arch9wavefront6targetE1EEEvT1_ ; -- Begin function _ZN7rocprim17ROCPRIM_400000_NS6detail17trampoline_kernelINS0_14default_configENS1_25transform_config_selectorIiLb1EEEZNS1_14transform_implILb1ES3_S5_PiS7_NS0_8identityIiEEEE10hipError_tT2_T3_mT4_P12ihipStream_tbEUlT_E_NS1_11comp_targetILNS1_3genE9ELNS1_11target_archE1100ELNS1_3gpuE3ELNS1_3repE0EEENS1_30default_config_static_selectorELNS0_4arch9wavefront6targetE1EEEvT1_
	.globl	_ZN7rocprim17ROCPRIM_400000_NS6detail17trampoline_kernelINS0_14default_configENS1_25transform_config_selectorIiLb1EEEZNS1_14transform_implILb1ES3_S5_PiS7_NS0_8identityIiEEEE10hipError_tT2_T3_mT4_P12ihipStream_tbEUlT_E_NS1_11comp_targetILNS1_3genE9ELNS1_11target_archE1100ELNS1_3gpuE3ELNS1_3repE0EEENS1_30default_config_static_selectorELNS0_4arch9wavefront6targetE1EEEvT1_
	.p2align	8
	.type	_ZN7rocprim17ROCPRIM_400000_NS6detail17trampoline_kernelINS0_14default_configENS1_25transform_config_selectorIiLb1EEEZNS1_14transform_implILb1ES3_S5_PiS7_NS0_8identityIiEEEE10hipError_tT2_T3_mT4_P12ihipStream_tbEUlT_E_NS1_11comp_targetILNS1_3genE9ELNS1_11target_archE1100ELNS1_3gpuE3ELNS1_3repE0EEENS1_30default_config_static_selectorELNS0_4arch9wavefront6targetE1EEEvT1_,@function
_ZN7rocprim17ROCPRIM_400000_NS6detail17trampoline_kernelINS0_14default_configENS1_25transform_config_selectorIiLb1EEEZNS1_14transform_implILb1ES3_S5_PiS7_NS0_8identityIiEEEE10hipError_tT2_T3_mT4_P12ihipStream_tbEUlT_E_NS1_11comp_targetILNS1_3genE9ELNS1_11target_archE1100ELNS1_3gpuE3ELNS1_3repE0EEENS1_30default_config_static_selectorELNS0_4arch9wavefront6targetE1EEEvT1_: ; @_ZN7rocprim17ROCPRIM_400000_NS6detail17trampoline_kernelINS0_14default_configENS1_25transform_config_selectorIiLb1EEEZNS1_14transform_implILb1ES3_S5_PiS7_NS0_8identityIiEEEE10hipError_tT2_T3_mT4_P12ihipStream_tbEUlT_E_NS1_11comp_targetILNS1_3genE9ELNS1_11target_archE1100ELNS1_3gpuE3ELNS1_3repE0EEENS1_30default_config_static_selectorELNS0_4arch9wavefront6targetE1EEEvT1_
; %bb.0:
	.section	.rodata,"a",@progbits
	.p2align	6, 0x0
	.amdhsa_kernel _ZN7rocprim17ROCPRIM_400000_NS6detail17trampoline_kernelINS0_14default_configENS1_25transform_config_selectorIiLb1EEEZNS1_14transform_implILb1ES3_S5_PiS7_NS0_8identityIiEEEE10hipError_tT2_T3_mT4_P12ihipStream_tbEUlT_E_NS1_11comp_targetILNS1_3genE9ELNS1_11target_archE1100ELNS1_3gpuE3ELNS1_3repE0EEENS1_30default_config_static_selectorELNS0_4arch9wavefront6targetE1EEEvT1_
		.amdhsa_group_segment_fixed_size 0
		.amdhsa_private_segment_fixed_size 0
		.amdhsa_kernarg_size 40
		.amdhsa_user_sgpr_count 6
		.amdhsa_user_sgpr_private_segment_buffer 1
		.amdhsa_user_sgpr_dispatch_ptr 0
		.amdhsa_user_sgpr_queue_ptr 0
		.amdhsa_user_sgpr_kernarg_segment_ptr 1
		.amdhsa_user_sgpr_dispatch_id 0
		.amdhsa_user_sgpr_flat_scratch_init 0
		.amdhsa_user_sgpr_kernarg_preload_length 0
		.amdhsa_user_sgpr_kernarg_preload_offset 0
		.amdhsa_user_sgpr_private_segment_size 0
		.amdhsa_uses_dynamic_stack 0
		.amdhsa_system_sgpr_private_segment_wavefront_offset 0
		.amdhsa_system_sgpr_workgroup_id_x 1
		.amdhsa_system_sgpr_workgroup_id_y 0
		.amdhsa_system_sgpr_workgroup_id_z 0
		.amdhsa_system_sgpr_workgroup_info 0
		.amdhsa_system_vgpr_workitem_id 0
		.amdhsa_next_free_vgpr 1
		.amdhsa_next_free_sgpr 0
		.amdhsa_accum_offset 4
		.amdhsa_reserve_vcc 0
		.amdhsa_reserve_flat_scratch 0
		.amdhsa_float_round_mode_32 0
		.amdhsa_float_round_mode_16_64 0
		.amdhsa_float_denorm_mode_32 3
		.amdhsa_float_denorm_mode_16_64 3
		.amdhsa_dx10_clamp 1
		.amdhsa_ieee_mode 1
		.amdhsa_fp16_overflow 0
		.amdhsa_tg_split 0
		.amdhsa_exception_fp_ieee_invalid_op 0
		.amdhsa_exception_fp_denorm_src 0
		.amdhsa_exception_fp_ieee_div_zero 0
		.amdhsa_exception_fp_ieee_overflow 0
		.amdhsa_exception_fp_ieee_underflow 0
		.amdhsa_exception_fp_ieee_inexact 0
		.amdhsa_exception_int_div_zero 0
	.end_amdhsa_kernel
	.section	.text._ZN7rocprim17ROCPRIM_400000_NS6detail17trampoline_kernelINS0_14default_configENS1_25transform_config_selectorIiLb1EEEZNS1_14transform_implILb1ES3_S5_PiS7_NS0_8identityIiEEEE10hipError_tT2_T3_mT4_P12ihipStream_tbEUlT_E_NS1_11comp_targetILNS1_3genE9ELNS1_11target_archE1100ELNS1_3gpuE3ELNS1_3repE0EEENS1_30default_config_static_selectorELNS0_4arch9wavefront6targetE1EEEvT1_,"axG",@progbits,_ZN7rocprim17ROCPRIM_400000_NS6detail17trampoline_kernelINS0_14default_configENS1_25transform_config_selectorIiLb1EEEZNS1_14transform_implILb1ES3_S5_PiS7_NS0_8identityIiEEEE10hipError_tT2_T3_mT4_P12ihipStream_tbEUlT_E_NS1_11comp_targetILNS1_3genE9ELNS1_11target_archE1100ELNS1_3gpuE3ELNS1_3repE0EEENS1_30default_config_static_selectorELNS0_4arch9wavefront6targetE1EEEvT1_,comdat
.Lfunc_end35:
	.size	_ZN7rocprim17ROCPRIM_400000_NS6detail17trampoline_kernelINS0_14default_configENS1_25transform_config_selectorIiLb1EEEZNS1_14transform_implILb1ES3_S5_PiS7_NS0_8identityIiEEEE10hipError_tT2_T3_mT4_P12ihipStream_tbEUlT_E_NS1_11comp_targetILNS1_3genE9ELNS1_11target_archE1100ELNS1_3gpuE3ELNS1_3repE0EEENS1_30default_config_static_selectorELNS0_4arch9wavefront6targetE1EEEvT1_, .Lfunc_end35-_ZN7rocprim17ROCPRIM_400000_NS6detail17trampoline_kernelINS0_14default_configENS1_25transform_config_selectorIiLb1EEEZNS1_14transform_implILb1ES3_S5_PiS7_NS0_8identityIiEEEE10hipError_tT2_T3_mT4_P12ihipStream_tbEUlT_E_NS1_11comp_targetILNS1_3genE9ELNS1_11target_archE1100ELNS1_3gpuE3ELNS1_3repE0EEENS1_30default_config_static_selectorELNS0_4arch9wavefront6targetE1EEEvT1_
                                        ; -- End function
	.section	.AMDGPU.csdata,"",@progbits
; Kernel info:
; codeLenInByte = 0
; NumSgprs: 4
; NumVgprs: 0
; NumAgprs: 0
; TotalNumVgprs: 0
; ScratchSize: 0
; MemoryBound: 0
; FloatMode: 240
; IeeeMode: 1
; LDSByteSize: 0 bytes/workgroup (compile time only)
; SGPRBlocks: 0
; VGPRBlocks: 0
; NumSGPRsForWavesPerEU: 4
; NumVGPRsForWavesPerEU: 1
; AccumOffset: 4
; Occupancy: 8
; WaveLimiterHint : 0
; COMPUTE_PGM_RSRC2:SCRATCH_EN: 0
; COMPUTE_PGM_RSRC2:USER_SGPR: 6
; COMPUTE_PGM_RSRC2:TRAP_HANDLER: 0
; COMPUTE_PGM_RSRC2:TGID_X_EN: 1
; COMPUTE_PGM_RSRC2:TGID_Y_EN: 0
; COMPUTE_PGM_RSRC2:TGID_Z_EN: 0
; COMPUTE_PGM_RSRC2:TIDIG_COMP_CNT: 0
; COMPUTE_PGM_RSRC3_GFX90A:ACCUM_OFFSET: 0
; COMPUTE_PGM_RSRC3_GFX90A:TG_SPLIT: 0
	.section	.text._ZN7rocprim17ROCPRIM_400000_NS6detail17trampoline_kernelINS0_14default_configENS1_25transform_config_selectorIiLb1EEEZNS1_14transform_implILb1ES3_S5_PiS7_NS0_8identityIiEEEE10hipError_tT2_T3_mT4_P12ihipStream_tbEUlT_E_NS1_11comp_targetILNS1_3genE8ELNS1_11target_archE1030ELNS1_3gpuE2ELNS1_3repE0EEENS1_30default_config_static_selectorELNS0_4arch9wavefront6targetE1EEEvT1_,"axG",@progbits,_ZN7rocprim17ROCPRIM_400000_NS6detail17trampoline_kernelINS0_14default_configENS1_25transform_config_selectorIiLb1EEEZNS1_14transform_implILb1ES3_S5_PiS7_NS0_8identityIiEEEE10hipError_tT2_T3_mT4_P12ihipStream_tbEUlT_E_NS1_11comp_targetILNS1_3genE8ELNS1_11target_archE1030ELNS1_3gpuE2ELNS1_3repE0EEENS1_30default_config_static_selectorELNS0_4arch9wavefront6targetE1EEEvT1_,comdat
	.protected	_ZN7rocprim17ROCPRIM_400000_NS6detail17trampoline_kernelINS0_14default_configENS1_25transform_config_selectorIiLb1EEEZNS1_14transform_implILb1ES3_S5_PiS7_NS0_8identityIiEEEE10hipError_tT2_T3_mT4_P12ihipStream_tbEUlT_E_NS1_11comp_targetILNS1_3genE8ELNS1_11target_archE1030ELNS1_3gpuE2ELNS1_3repE0EEENS1_30default_config_static_selectorELNS0_4arch9wavefront6targetE1EEEvT1_ ; -- Begin function _ZN7rocprim17ROCPRIM_400000_NS6detail17trampoline_kernelINS0_14default_configENS1_25transform_config_selectorIiLb1EEEZNS1_14transform_implILb1ES3_S5_PiS7_NS0_8identityIiEEEE10hipError_tT2_T3_mT4_P12ihipStream_tbEUlT_E_NS1_11comp_targetILNS1_3genE8ELNS1_11target_archE1030ELNS1_3gpuE2ELNS1_3repE0EEENS1_30default_config_static_selectorELNS0_4arch9wavefront6targetE1EEEvT1_
	.globl	_ZN7rocprim17ROCPRIM_400000_NS6detail17trampoline_kernelINS0_14default_configENS1_25transform_config_selectorIiLb1EEEZNS1_14transform_implILb1ES3_S5_PiS7_NS0_8identityIiEEEE10hipError_tT2_T3_mT4_P12ihipStream_tbEUlT_E_NS1_11comp_targetILNS1_3genE8ELNS1_11target_archE1030ELNS1_3gpuE2ELNS1_3repE0EEENS1_30default_config_static_selectorELNS0_4arch9wavefront6targetE1EEEvT1_
	.p2align	8
	.type	_ZN7rocprim17ROCPRIM_400000_NS6detail17trampoline_kernelINS0_14default_configENS1_25transform_config_selectorIiLb1EEEZNS1_14transform_implILb1ES3_S5_PiS7_NS0_8identityIiEEEE10hipError_tT2_T3_mT4_P12ihipStream_tbEUlT_E_NS1_11comp_targetILNS1_3genE8ELNS1_11target_archE1030ELNS1_3gpuE2ELNS1_3repE0EEENS1_30default_config_static_selectorELNS0_4arch9wavefront6targetE1EEEvT1_,@function
_ZN7rocprim17ROCPRIM_400000_NS6detail17trampoline_kernelINS0_14default_configENS1_25transform_config_selectorIiLb1EEEZNS1_14transform_implILb1ES3_S5_PiS7_NS0_8identityIiEEEE10hipError_tT2_T3_mT4_P12ihipStream_tbEUlT_E_NS1_11comp_targetILNS1_3genE8ELNS1_11target_archE1030ELNS1_3gpuE2ELNS1_3repE0EEENS1_30default_config_static_selectorELNS0_4arch9wavefront6targetE1EEEvT1_: ; @_ZN7rocprim17ROCPRIM_400000_NS6detail17trampoline_kernelINS0_14default_configENS1_25transform_config_selectorIiLb1EEEZNS1_14transform_implILb1ES3_S5_PiS7_NS0_8identityIiEEEE10hipError_tT2_T3_mT4_P12ihipStream_tbEUlT_E_NS1_11comp_targetILNS1_3genE8ELNS1_11target_archE1030ELNS1_3gpuE2ELNS1_3repE0EEENS1_30default_config_static_selectorELNS0_4arch9wavefront6targetE1EEEvT1_
; %bb.0:
	.section	.rodata,"a",@progbits
	.p2align	6, 0x0
	.amdhsa_kernel _ZN7rocprim17ROCPRIM_400000_NS6detail17trampoline_kernelINS0_14default_configENS1_25transform_config_selectorIiLb1EEEZNS1_14transform_implILb1ES3_S5_PiS7_NS0_8identityIiEEEE10hipError_tT2_T3_mT4_P12ihipStream_tbEUlT_E_NS1_11comp_targetILNS1_3genE8ELNS1_11target_archE1030ELNS1_3gpuE2ELNS1_3repE0EEENS1_30default_config_static_selectorELNS0_4arch9wavefront6targetE1EEEvT1_
		.amdhsa_group_segment_fixed_size 0
		.amdhsa_private_segment_fixed_size 0
		.amdhsa_kernarg_size 40
		.amdhsa_user_sgpr_count 6
		.amdhsa_user_sgpr_private_segment_buffer 1
		.amdhsa_user_sgpr_dispatch_ptr 0
		.amdhsa_user_sgpr_queue_ptr 0
		.amdhsa_user_sgpr_kernarg_segment_ptr 1
		.amdhsa_user_sgpr_dispatch_id 0
		.amdhsa_user_sgpr_flat_scratch_init 0
		.amdhsa_user_sgpr_kernarg_preload_length 0
		.amdhsa_user_sgpr_kernarg_preload_offset 0
		.amdhsa_user_sgpr_private_segment_size 0
		.amdhsa_uses_dynamic_stack 0
		.amdhsa_system_sgpr_private_segment_wavefront_offset 0
		.amdhsa_system_sgpr_workgroup_id_x 1
		.amdhsa_system_sgpr_workgroup_id_y 0
		.amdhsa_system_sgpr_workgroup_id_z 0
		.amdhsa_system_sgpr_workgroup_info 0
		.amdhsa_system_vgpr_workitem_id 0
		.amdhsa_next_free_vgpr 1
		.amdhsa_next_free_sgpr 0
		.amdhsa_accum_offset 4
		.amdhsa_reserve_vcc 0
		.amdhsa_reserve_flat_scratch 0
		.amdhsa_float_round_mode_32 0
		.amdhsa_float_round_mode_16_64 0
		.amdhsa_float_denorm_mode_32 3
		.amdhsa_float_denorm_mode_16_64 3
		.amdhsa_dx10_clamp 1
		.amdhsa_ieee_mode 1
		.amdhsa_fp16_overflow 0
		.amdhsa_tg_split 0
		.amdhsa_exception_fp_ieee_invalid_op 0
		.amdhsa_exception_fp_denorm_src 0
		.amdhsa_exception_fp_ieee_div_zero 0
		.amdhsa_exception_fp_ieee_overflow 0
		.amdhsa_exception_fp_ieee_underflow 0
		.amdhsa_exception_fp_ieee_inexact 0
		.amdhsa_exception_int_div_zero 0
	.end_amdhsa_kernel
	.section	.text._ZN7rocprim17ROCPRIM_400000_NS6detail17trampoline_kernelINS0_14default_configENS1_25transform_config_selectorIiLb1EEEZNS1_14transform_implILb1ES3_S5_PiS7_NS0_8identityIiEEEE10hipError_tT2_T3_mT4_P12ihipStream_tbEUlT_E_NS1_11comp_targetILNS1_3genE8ELNS1_11target_archE1030ELNS1_3gpuE2ELNS1_3repE0EEENS1_30default_config_static_selectorELNS0_4arch9wavefront6targetE1EEEvT1_,"axG",@progbits,_ZN7rocprim17ROCPRIM_400000_NS6detail17trampoline_kernelINS0_14default_configENS1_25transform_config_selectorIiLb1EEEZNS1_14transform_implILb1ES3_S5_PiS7_NS0_8identityIiEEEE10hipError_tT2_T3_mT4_P12ihipStream_tbEUlT_E_NS1_11comp_targetILNS1_3genE8ELNS1_11target_archE1030ELNS1_3gpuE2ELNS1_3repE0EEENS1_30default_config_static_selectorELNS0_4arch9wavefront6targetE1EEEvT1_,comdat
.Lfunc_end36:
	.size	_ZN7rocprim17ROCPRIM_400000_NS6detail17trampoline_kernelINS0_14default_configENS1_25transform_config_selectorIiLb1EEEZNS1_14transform_implILb1ES3_S5_PiS7_NS0_8identityIiEEEE10hipError_tT2_T3_mT4_P12ihipStream_tbEUlT_E_NS1_11comp_targetILNS1_3genE8ELNS1_11target_archE1030ELNS1_3gpuE2ELNS1_3repE0EEENS1_30default_config_static_selectorELNS0_4arch9wavefront6targetE1EEEvT1_, .Lfunc_end36-_ZN7rocprim17ROCPRIM_400000_NS6detail17trampoline_kernelINS0_14default_configENS1_25transform_config_selectorIiLb1EEEZNS1_14transform_implILb1ES3_S5_PiS7_NS0_8identityIiEEEE10hipError_tT2_T3_mT4_P12ihipStream_tbEUlT_E_NS1_11comp_targetILNS1_3genE8ELNS1_11target_archE1030ELNS1_3gpuE2ELNS1_3repE0EEENS1_30default_config_static_selectorELNS0_4arch9wavefront6targetE1EEEvT1_
                                        ; -- End function
	.section	.AMDGPU.csdata,"",@progbits
; Kernel info:
; codeLenInByte = 0
; NumSgprs: 4
; NumVgprs: 0
; NumAgprs: 0
; TotalNumVgprs: 0
; ScratchSize: 0
; MemoryBound: 0
; FloatMode: 240
; IeeeMode: 1
; LDSByteSize: 0 bytes/workgroup (compile time only)
; SGPRBlocks: 0
; VGPRBlocks: 0
; NumSGPRsForWavesPerEU: 4
; NumVGPRsForWavesPerEU: 1
; AccumOffset: 4
; Occupancy: 8
; WaveLimiterHint : 0
; COMPUTE_PGM_RSRC2:SCRATCH_EN: 0
; COMPUTE_PGM_RSRC2:USER_SGPR: 6
; COMPUTE_PGM_RSRC2:TRAP_HANDLER: 0
; COMPUTE_PGM_RSRC2:TGID_X_EN: 1
; COMPUTE_PGM_RSRC2:TGID_Y_EN: 0
; COMPUTE_PGM_RSRC2:TGID_Z_EN: 0
; COMPUTE_PGM_RSRC2:TIDIG_COMP_CNT: 0
; COMPUTE_PGM_RSRC3_GFX90A:ACCUM_OFFSET: 0
; COMPUTE_PGM_RSRC3_GFX90A:TG_SPLIT: 0
	.section	.text._ZN7rocprim17ROCPRIM_400000_NS6detail17trampoline_kernelINS0_14default_configENS1_20scan_config_selectorIiEEZZNS1_9scan_implILNS1_25lookback_scan_determinismE0ELb0ELb0ES3_PiS8_iN6thrust23THRUST_200600_302600_NS4plusIvEEiEEDaPvRmT3_T4_T5_mT6_P12ihipStream_tbENKUlT_T0_E_clISt17integral_constantIbLb0EESQ_EEDaSL_SM_EUlSL_E0_NS1_11comp_targetILNS1_3genE0ELNS1_11target_archE4294967295ELNS1_3gpuE0ELNS1_3repE0EEENS1_30default_config_static_selectorELNS0_4arch9wavefront6targetE1EEEvT1_,"axG",@progbits,_ZN7rocprim17ROCPRIM_400000_NS6detail17trampoline_kernelINS0_14default_configENS1_20scan_config_selectorIiEEZZNS1_9scan_implILNS1_25lookback_scan_determinismE0ELb0ELb0ES3_PiS8_iN6thrust23THRUST_200600_302600_NS4plusIvEEiEEDaPvRmT3_T4_T5_mT6_P12ihipStream_tbENKUlT_T0_E_clISt17integral_constantIbLb0EESQ_EEDaSL_SM_EUlSL_E0_NS1_11comp_targetILNS1_3genE0ELNS1_11target_archE4294967295ELNS1_3gpuE0ELNS1_3repE0EEENS1_30default_config_static_selectorELNS0_4arch9wavefront6targetE1EEEvT1_,comdat
	.protected	_ZN7rocprim17ROCPRIM_400000_NS6detail17trampoline_kernelINS0_14default_configENS1_20scan_config_selectorIiEEZZNS1_9scan_implILNS1_25lookback_scan_determinismE0ELb0ELb0ES3_PiS8_iN6thrust23THRUST_200600_302600_NS4plusIvEEiEEDaPvRmT3_T4_T5_mT6_P12ihipStream_tbENKUlT_T0_E_clISt17integral_constantIbLb0EESQ_EEDaSL_SM_EUlSL_E0_NS1_11comp_targetILNS1_3genE0ELNS1_11target_archE4294967295ELNS1_3gpuE0ELNS1_3repE0EEENS1_30default_config_static_selectorELNS0_4arch9wavefront6targetE1EEEvT1_ ; -- Begin function _ZN7rocprim17ROCPRIM_400000_NS6detail17trampoline_kernelINS0_14default_configENS1_20scan_config_selectorIiEEZZNS1_9scan_implILNS1_25lookback_scan_determinismE0ELb0ELb0ES3_PiS8_iN6thrust23THRUST_200600_302600_NS4plusIvEEiEEDaPvRmT3_T4_T5_mT6_P12ihipStream_tbENKUlT_T0_E_clISt17integral_constantIbLb0EESQ_EEDaSL_SM_EUlSL_E0_NS1_11comp_targetILNS1_3genE0ELNS1_11target_archE4294967295ELNS1_3gpuE0ELNS1_3repE0EEENS1_30default_config_static_selectorELNS0_4arch9wavefront6targetE1EEEvT1_
	.globl	_ZN7rocprim17ROCPRIM_400000_NS6detail17trampoline_kernelINS0_14default_configENS1_20scan_config_selectorIiEEZZNS1_9scan_implILNS1_25lookback_scan_determinismE0ELb0ELb0ES3_PiS8_iN6thrust23THRUST_200600_302600_NS4plusIvEEiEEDaPvRmT3_T4_T5_mT6_P12ihipStream_tbENKUlT_T0_E_clISt17integral_constantIbLb0EESQ_EEDaSL_SM_EUlSL_E0_NS1_11comp_targetILNS1_3genE0ELNS1_11target_archE4294967295ELNS1_3gpuE0ELNS1_3repE0EEENS1_30default_config_static_selectorELNS0_4arch9wavefront6targetE1EEEvT1_
	.p2align	8
	.type	_ZN7rocprim17ROCPRIM_400000_NS6detail17trampoline_kernelINS0_14default_configENS1_20scan_config_selectorIiEEZZNS1_9scan_implILNS1_25lookback_scan_determinismE0ELb0ELb0ES3_PiS8_iN6thrust23THRUST_200600_302600_NS4plusIvEEiEEDaPvRmT3_T4_T5_mT6_P12ihipStream_tbENKUlT_T0_E_clISt17integral_constantIbLb0EESQ_EEDaSL_SM_EUlSL_E0_NS1_11comp_targetILNS1_3genE0ELNS1_11target_archE4294967295ELNS1_3gpuE0ELNS1_3repE0EEENS1_30default_config_static_selectorELNS0_4arch9wavefront6targetE1EEEvT1_,@function
_ZN7rocprim17ROCPRIM_400000_NS6detail17trampoline_kernelINS0_14default_configENS1_20scan_config_selectorIiEEZZNS1_9scan_implILNS1_25lookback_scan_determinismE0ELb0ELb0ES3_PiS8_iN6thrust23THRUST_200600_302600_NS4plusIvEEiEEDaPvRmT3_T4_T5_mT6_P12ihipStream_tbENKUlT_T0_E_clISt17integral_constantIbLb0EESQ_EEDaSL_SM_EUlSL_E0_NS1_11comp_targetILNS1_3genE0ELNS1_11target_archE4294967295ELNS1_3gpuE0ELNS1_3repE0EEENS1_30default_config_static_selectorELNS0_4arch9wavefront6targetE1EEEvT1_: ; @_ZN7rocprim17ROCPRIM_400000_NS6detail17trampoline_kernelINS0_14default_configENS1_20scan_config_selectorIiEEZZNS1_9scan_implILNS1_25lookback_scan_determinismE0ELb0ELb0ES3_PiS8_iN6thrust23THRUST_200600_302600_NS4plusIvEEiEEDaPvRmT3_T4_T5_mT6_P12ihipStream_tbENKUlT_T0_E_clISt17integral_constantIbLb0EESQ_EEDaSL_SM_EUlSL_E0_NS1_11comp_targetILNS1_3genE0ELNS1_11target_archE4294967295ELNS1_3gpuE0ELNS1_3repE0EEENS1_30default_config_static_selectorELNS0_4arch9wavefront6targetE1EEEvT1_
; %bb.0:
	.section	.rodata,"a",@progbits
	.p2align	6, 0x0
	.amdhsa_kernel _ZN7rocprim17ROCPRIM_400000_NS6detail17trampoline_kernelINS0_14default_configENS1_20scan_config_selectorIiEEZZNS1_9scan_implILNS1_25lookback_scan_determinismE0ELb0ELb0ES3_PiS8_iN6thrust23THRUST_200600_302600_NS4plusIvEEiEEDaPvRmT3_T4_T5_mT6_P12ihipStream_tbENKUlT_T0_E_clISt17integral_constantIbLb0EESQ_EEDaSL_SM_EUlSL_E0_NS1_11comp_targetILNS1_3genE0ELNS1_11target_archE4294967295ELNS1_3gpuE0ELNS1_3repE0EEENS1_30default_config_static_selectorELNS0_4arch9wavefront6targetE1EEEvT1_
		.amdhsa_group_segment_fixed_size 0
		.amdhsa_private_segment_fixed_size 0
		.amdhsa_kernarg_size 32
		.amdhsa_user_sgpr_count 6
		.amdhsa_user_sgpr_private_segment_buffer 1
		.amdhsa_user_sgpr_dispatch_ptr 0
		.amdhsa_user_sgpr_queue_ptr 0
		.amdhsa_user_sgpr_kernarg_segment_ptr 1
		.amdhsa_user_sgpr_dispatch_id 0
		.amdhsa_user_sgpr_flat_scratch_init 0
		.amdhsa_user_sgpr_kernarg_preload_length 0
		.amdhsa_user_sgpr_kernarg_preload_offset 0
		.amdhsa_user_sgpr_private_segment_size 0
		.amdhsa_uses_dynamic_stack 0
		.amdhsa_system_sgpr_private_segment_wavefront_offset 0
		.amdhsa_system_sgpr_workgroup_id_x 1
		.amdhsa_system_sgpr_workgroup_id_y 0
		.amdhsa_system_sgpr_workgroup_id_z 0
		.amdhsa_system_sgpr_workgroup_info 0
		.amdhsa_system_vgpr_workitem_id 0
		.amdhsa_next_free_vgpr 1
		.amdhsa_next_free_sgpr 0
		.amdhsa_accum_offset 4
		.amdhsa_reserve_vcc 0
		.amdhsa_reserve_flat_scratch 0
		.amdhsa_float_round_mode_32 0
		.amdhsa_float_round_mode_16_64 0
		.amdhsa_float_denorm_mode_32 3
		.amdhsa_float_denorm_mode_16_64 3
		.amdhsa_dx10_clamp 1
		.amdhsa_ieee_mode 1
		.amdhsa_fp16_overflow 0
		.amdhsa_tg_split 0
		.amdhsa_exception_fp_ieee_invalid_op 0
		.amdhsa_exception_fp_denorm_src 0
		.amdhsa_exception_fp_ieee_div_zero 0
		.amdhsa_exception_fp_ieee_overflow 0
		.amdhsa_exception_fp_ieee_underflow 0
		.amdhsa_exception_fp_ieee_inexact 0
		.amdhsa_exception_int_div_zero 0
	.end_amdhsa_kernel
	.section	.text._ZN7rocprim17ROCPRIM_400000_NS6detail17trampoline_kernelINS0_14default_configENS1_20scan_config_selectorIiEEZZNS1_9scan_implILNS1_25lookback_scan_determinismE0ELb0ELb0ES3_PiS8_iN6thrust23THRUST_200600_302600_NS4plusIvEEiEEDaPvRmT3_T4_T5_mT6_P12ihipStream_tbENKUlT_T0_E_clISt17integral_constantIbLb0EESQ_EEDaSL_SM_EUlSL_E0_NS1_11comp_targetILNS1_3genE0ELNS1_11target_archE4294967295ELNS1_3gpuE0ELNS1_3repE0EEENS1_30default_config_static_selectorELNS0_4arch9wavefront6targetE1EEEvT1_,"axG",@progbits,_ZN7rocprim17ROCPRIM_400000_NS6detail17trampoline_kernelINS0_14default_configENS1_20scan_config_selectorIiEEZZNS1_9scan_implILNS1_25lookback_scan_determinismE0ELb0ELb0ES3_PiS8_iN6thrust23THRUST_200600_302600_NS4plusIvEEiEEDaPvRmT3_T4_T5_mT6_P12ihipStream_tbENKUlT_T0_E_clISt17integral_constantIbLb0EESQ_EEDaSL_SM_EUlSL_E0_NS1_11comp_targetILNS1_3genE0ELNS1_11target_archE4294967295ELNS1_3gpuE0ELNS1_3repE0EEENS1_30default_config_static_selectorELNS0_4arch9wavefront6targetE1EEEvT1_,comdat
.Lfunc_end37:
	.size	_ZN7rocprim17ROCPRIM_400000_NS6detail17trampoline_kernelINS0_14default_configENS1_20scan_config_selectorIiEEZZNS1_9scan_implILNS1_25lookback_scan_determinismE0ELb0ELb0ES3_PiS8_iN6thrust23THRUST_200600_302600_NS4plusIvEEiEEDaPvRmT3_T4_T5_mT6_P12ihipStream_tbENKUlT_T0_E_clISt17integral_constantIbLb0EESQ_EEDaSL_SM_EUlSL_E0_NS1_11comp_targetILNS1_3genE0ELNS1_11target_archE4294967295ELNS1_3gpuE0ELNS1_3repE0EEENS1_30default_config_static_selectorELNS0_4arch9wavefront6targetE1EEEvT1_, .Lfunc_end37-_ZN7rocprim17ROCPRIM_400000_NS6detail17trampoline_kernelINS0_14default_configENS1_20scan_config_selectorIiEEZZNS1_9scan_implILNS1_25lookback_scan_determinismE0ELb0ELb0ES3_PiS8_iN6thrust23THRUST_200600_302600_NS4plusIvEEiEEDaPvRmT3_T4_T5_mT6_P12ihipStream_tbENKUlT_T0_E_clISt17integral_constantIbLb0EESQ_EEDaSL_SM_EUlSL_E0_NS1_11comp_targetILNS1_3genE0ELNS1_11target_archE4294967295ELNS1_3gpuE0ELNS1_3repE0EEENS1_30default_config_static_selectorELNS0_4arch9wavefront6targetE1EEEvT1_
                                        ; -- End function
	.section	.AMDGPU.csdata,"",@progbits
; Kernel info:
; codeLenInByte = 0
; NumSgprs: 4
; NumVgprs: 0
; NumAgprs: 0
; TotalNumVgprs: 0
; ScratchSize: 0
; MemoryBound: 0
; FloatMode: 240
; IeeeMode: 1
; LDSByteSize: 0 bytes/workgroup (compile time only)
; SGPRBlocks: 0
; VGPRBlocks: 0
; NumSGPRsForWavesPerEU: 4
; NumVGPRsForWavesPerEU: 1
; AccumOffset: 4
; Occupancy: 8
; WaveLimiterHint : 0
; COMPUTE_PGM_RSRC2:SCRATCH_EN: 0
; COMPUTE_PGM_RSRC2:USER_SGPR: 6
; COMPUTE_PGM_RSRC2:TRAP_HANDLER: 0
; COMPUTE_PGM_RSRC2:TGID_X_EN: 1
; COMPUTE_PGM_RSRC2:TGID_Y_EN: 0
; COMPUTE_PGM_RSRC2:TGID_Z_EN: 0
; COMPUTE_PGM_RSRC2:TIDIG_COMP_CNT: 0
; COMPUTE_PGM_RSRC3_GFX90A:ACCUM_OFFSET: 0
; COMPUTE_PGM_RSRC3_GFX90A:TG_SPLIT: 0
	.section	.text._ZN7rocprim17ROCPRIM_400000_NS6detail17trampoline_kernelINS0_14default_configENS1_20scan_config_selectorIiEEZZNS1_9scan_implILNS1_25lookback_scan_determinismE0ELb0ELb0ES3_PiS8_iN6thrust23THRUST_200600_302600_NS4plusIvEEiEEDaPvRmT3_T4_T5_mT6_P12ihipStream_tbENKUlT_T0_E_clISt17integral_constantIbLb0EESQ_EEDaSL_SM_EUlSL_E0_NS1_11comp_targetILNS1_3genE5ELNS1_11target_archE942ELNS1_3gpuE9ELNS1_3repE0EEENS1_30default_config_static_selectorELNS0_4arch9wavefront6targetE1EEEvT1_,"axG",@progbits,_ZN7rocprim17ROCPRIM_400000_NS6detail17trampoline_kernelINS0_14default_configENS1_20scan_config_selectorIiEEZZNS1_9scan_implILNS1_25lookback_scan_determinismE0ELb0ELb0ES3_PiS8_iN6thrust23THRUST_200600_302600_NS4plusIvEEiEEDaPvRmT3_T4_T5_mT6_P12ihipStream_tbENKUlT_T0_E_clISt17integral_constantIbLb0EESQ_EEDaSL_SM_EUlSL_E0_NS1_11comp_targetILNS1_3genE5ELNS1_11target_archE942ELNS1_3gpuE9ELNS1_3repE0EEENS1_30default_config_static_selectorELNS0_4arch9wavefront6targetE1EEEvT1_,comdat
	.protected	_ZN7rocprim17ROCPRIM_400000_NS6detail17trampoline_kernelINS0_14default_configENS1_20scan_config_selectorIiEEZZNS1_9scan_implILNS1_25lookback_scan_determinismE0ELb0ELb0ES3_PiS8_iN6thrust23THRUST_200600_302600_NS4plusIvEEiEEDaPvRmT3_T4_T5_mT6_P12ihipStream_tbENKUlT_T0_E_clISt17integral_constantIbLb0EESQ_EEDaSL_SM_EUlSL_E0_NS1_11comp_targetILNS1_3genE5ELNS1_11target_archE942ELNS1_3gpuE9ELNS1_3repE0EEENS1_30default_config_static_selectorELNS0_4arch9wavefront6targetE1EEEvT1_ ; -- Begin function _ZN7rocprim17ROCPRIM_400000_NS6detail17trampoline_kernelINS0_14default_configENS1_20scan_config_selectorIiEEZZNS1_9scan_implILNS1_25lookback_scan_determinismE0ELb0ELb0ES3_PiS8_iN6thrust23THRUST_200600_302600_NS4plusIvEEiEEDaPvRmT3_T4_T5_mT6_P12ihipStream_tbENKUlT_T0_E_clISt17integral_constantIbLb0EESQ_EEDaSL_SM_EUlSL_E0_NS1_11comp_targetILNS1_3genE5ELNS1_11target_archE942ELNS1_3gpuE9ELNS1_3repE0EEENS1_30default_config_static_selectorELNS0_4arch9wavefront6targetE1EEEvT1_
	.globl	_ZN7rocprim17ROCPRIM_400000_NS6detail17trampoline_kernelINS0_14default_configENS1_20scan_config_selectorIiEEZZNS1_9scan_implILNS1_25lookback_scan_determinismE0ELb0ELb0ES3_PiS8_iN6thrust23THRUST_200600_302600_NS4plusIvEEiEEDaPvRmT3_T4_T5_mT6_P12ihipStream_tbENKUlT_T0_E_clISt17integral_constantIbLb0EESQ_EEDaSL_SM_EUlSL_E0_NS1_11comp_targetILNS1_3genE5ELNS1_11target_archE942ELNS1_3gpuE9ELNS1_3repE0EEENS1_30default_config_static_selectorELNS0_4arch9wavefront6targetE1EEEvT1_
	.p2align	8
	.type	_ZN7rocprim17ROCPRIM_400000_NS6detail17trampoline_kernelINS0_14default_configENS1_20scan_config_selectorIiEEZZNS1_9scan_implILNS1_25lookback_scan_determinismE0ELb0ELb0ES3_PiS8_iN6thrust23THRUST_200600_302600_NS4plusIvEEiEEDaPvRmT3_T4_T5_mT6_P12ihipStream_tbENKUlT_T0_E_clISt17integral_constantIbLb0EESQ_EEDaSL_SM_EUlSL_E0_NS1_11comp_targetILNS1_3genE5ELNS1_11target_archE942ELNS1_3gpuE9ELNS1_3repE0EEENS1_30default_config_static_selectorELNS0_4arch9wavefront6targetE1EEEvT1_,@function
_ZN7rocprim17ROCPRIM_400000_NS6detail17trampoline_kernelINS0_14default_configENS1_20scan_config_selectorIiEEZZNS1_9scan_implILNS1_25lookback_scan_determinismE0ELb0ELb0ES3_PiS8_iN6thrust23THRUST_200600_302600_NS4plusIvEEiEEDaPvRmT3_T4_T5_mT6_P12ihipStream_tbENKUlT_T0_E_clISt17integral_constantIbLb0EESQ_EEDaSL_SM_EUlSL_E0_NS1_11comp_targetILNS1_3genE5ELNS1_11target_archE942ELNS1_3gpuE9ELNS1_3repE0EEENS1_30default_config_static_selectorELNS0_4arch9wavefront6targetE1EEEvT1_: ; @_ZN7rocprim17ROCPRIM_400000_NS6detail17trampoline_kernelINS0_14default_configENS1_20scan_config_selectorIiEEZZNS1_9scan_implILNS1_25lookback_scan_determinismE0ELb0ELb0ES3_PiS8_iN6thrust23THRUST_200600_302600_NS4plusIvEEiEEDaPvRmT3_T4_T5_mT6_P12ihipStream_tbENKUlT_T0_E_clISt17integral_constantIbLb0EESQ_EEDaSL_SM_EUlSL_E0_NS1_11comp_targetILNS1_3genE5ELNS1_11target_archE942ELNS1_3gpuE9ELNS1_3repE0EEENS1_30default_config_static_selectorELNS0_4arch9wavefront6targetE1EEEvT1_
; %bb.0:
	.section	.rodata,"a",@progbits
	.p2align	6, 0x0
	.amdhsa_kernel _ZN7rocprim17ROCPRIM_400000_NS6detail17trampoline_kernelINS0_14default_configENS1_20scan_config_selectorIiEEZZNS1_9scan_implILNS1_25lookback_scan_determinismE0ELb0ELb0ES3_PiS8_iN6thrust23THRUST_200600_302600_NS4plusIvEEiEEDaPvRmT3_T4_T5_mT6_P12ihipStream_tbENKUlT_T0_E_clISt17integral_constantIbLb0EESQ_EEDaSL_SM_EUlSL_E0_NS1_11comp_targetILNS1_3genE5ELNS1_11target_archE942ELNS1_3gpuE9ELNS1_3repE0EEENS1_30default_config_static_selectorELNS0_4arch9wavefront6targetE1EEEvT1_
		.amdhsa_group_segment_fixed_size 0
		.amdhsa_private_segment_fixed_size 0
		.amdhsa_kernarg_size 32
		.amdhsa_user_sgpr_count 6
		.amdhsa_user_sgpr_private_segment_buffer 1
		.amdhsa_user_sgpr_dispatch_ptr 0
		.amdhsa_user_sgpr_queue_ptr 0
		.amdhsa_user_sgpr_kernarg_segment_ptr 1
		.amdhsa_user_sgpr_dispatch_id 0
		.amdhsa_user_sgpr_flat_scratch_init 0
		.amdhsa_user_sgpr_kernarg_preload_length 0
		.amdhsa_user_sgpr_kernarg_preload_offset 0
		.amdhsa_user_sgpr_private_segment_size 0
		.amdhsa_uses_dynamic_stack 0
		.amdhsa_system_sgpr_private_segment_wavefront_offset 0
		.amdhsa_system_sgpr_workgroup_id_x 1
		.amdhsa_system_sgpr_workgroup_id_y 0
		.amdhsa_system_sgpr_workgroup_id_z 0
		.amdhsa_system_sgpr_workgroup_info 0
		.amdhsa_system_vgpr_workitem_id 0
		.amdhsa_next_free_vgpr 1
		.amdhsa_next_free_sgpr 0
		.amdhsa_accum_offset 4
		.amdhsa_reserve_vcc 0
		.amdhsa_reserve_flat_scratch 0
		.amdhsa_float_round_mode_32 0
		.amdhsa_float_round_mode_16_64 0
		.amdhsa_float_denorm_mode_32 3
		.amdhsa_float_denorm_mode_16_64 3
		.amdhsa_dx10_clamp 1
		.amdhsa_ieee_mode 1
		.amdhsa_fp16_overflow 0
		.amdhsa_tg_split 0
		.amdhsa_exception_fp_ieee_invalid_op 0
		.amdhsa_exception_fp_denorm_src 0
		.amdhsa_exception_fp_ieee_div_zero 0
		.amdhsa_exception_fp_ieee_overflow 0
		.amdhsa_exception_fp_ieee_underflow 0
		.amdhsa_exception_fp_ieee_inexact 0
		.amdhsa_exception_int_div_zero 0
	.end_amdhsa_kernel
	.section	.text._ZN7rocprim17ROCPRIM_400000_NS6detail17trampoline_kernelINS0_14default_configENS1_20scan_config_selectorIiEEZZNS1_9scan_implILNS1_25lookback_scan_determinismE0ELb0ELb0ES3_PiS8_iN6thrust23THRUST_200600_302600_NS4plusIvEEiEEDaPvRmT3_T4_T5_mT6_P12ihipStream_tbENKUlT_T0_E_clISt17integral_constantIbLb0EESQ_EEDaSL_SM_EUlSL_E0_NS1_11comp_targetILNS1_3genE5ELNS1_11target_archE942ELNS1_3gpuE9ELNS1_3repE0EEENS1_30default_config_static_selectorELNS0_4arch9wavefront6targetE1EEEvT1_,"axG",@progbits,_ZN7rocprim17ROCPRIM_400000_NS6detail17trampoline_kernelINS0_14default_configENS1_20scan_config_selectorIiEEZZNS1_9scan_implILNS1_25lookback_scan_determinismE0ELb0ELb0ES3_PiS8_iN6thrust23THRUST_200600_302600_NS4plusIvEEiEEDaPvRmT3_T4_T5_mT6_P12ihipStream_tbENKUlT_T0_E_clISt17integral_constantIbLb0EESQ_EEDaSL_SM_EUlSL_E0_NS1_11comp_targetILNS1_3genE5ELNS1_11target_archE942ELNS1_3gpuE9ELNS1_3repE0EEENS1_30default_config_static_selectorELNS0_4arch9wavefront6targetE1EEEvT1_,comdat
.Lfunc_end38:
	.size	_ZN7rocprim17ROCPRIM_400000_NS6detail17trampoline_kernelINS0_14default_configENS1_20scan_config_selectorIiEEZZNS1_9scan_implILNS1_25lookback_scan_determinismE0ELb0ELb0ES3_PiS8_iN6thrust23THRUST_200600_302600_NS4plusIvEEiEEDaPvRmT3_T4_T5_mT6_P12ihipStream_tbENKUlT_T0_E_clISt17integral_constantIbLb0EESQ_EEDaSL_SM_EUlSL_E0_NS1_11comp_targetILNS1_3genE5ELNS1_11target_archE942ELNS1_3gpuE9ELNS1_3repE0EEENS1_30default_config_static_selectorELNS0_4arch9wavefront6targetE1EEEvT1_, .Lfunc_end38-_ZN7rocprim17ROCPRIM_400000_NS6detail17trampoline_kernelINS0_14default_configENS1_20scan_config_selectorIiEEZZNS1_9scan_implILNS1_25lookback_scan_determinismE0ELb0ELb0ES3_PiS8_iN6thrust23THRUST_200600_302600_NS4plusIvEEiEEDaPvRmT3_T4_T5_mT6_P12ihipStream_tbENKUlT_T0_E_clISt17integral_constantIbLb0EESQ_EEDaSL_SM_EUlSL_E0_NS1_11comp_targetILNS1_3genE5ELNS1_11target_archE942ELNS1_3gpuE9ELNS1_3repE0EEENS1_30default_config_static_selectorELNS0_4arch9wavefront6targetE1EEEvT1_
                                        ; -- End function
	.section	.AMDGPU.csdata,"",@progbits
; Kernel info:
; codeLenInByte = 0
; NumSgprs: 4
; NumVgprs: 0
; NumAgprs: 0
; TotalNumVgprs: 0
; ScratchSize: 0
; MemoryBound: 0
; FloatMode: 240
; IeeeMode: 1
; LDSByteSize: 0 bytes/workgroup (compile time only)
; SGPRBlocks: 0
; VGPRBlocks: 0
; NumSGPRsForWavesPerEU: 4
; NumVGPRsForWavesPerEU: 1
; AccumOffset: 4
; Occupancy: 8
; WaveLimiterHint : 0
; COMPUTE_PGM_RSRC2:SCRATCH_EN: 0
; COMPUTE_PGM_RSRC2:USER_SGPR: 6
; COMPUTE_PGM_RSRC2:TRAP_HANDLER: 0
; COMPUTE_PGM_RSRC2:TGID_X_EN: 1
; COMPUTE_PGM_RSRC2:TGID_Y_EN: 0
; COMPUTE_PGM_RSRC2:TGID_Z_EN: 0
; COMPUTE_PGM_RSRC2:TIDIG_COMP_CNT: 0
; COMPUTE_PGM_RSRC3_GFX90A:ACCUM_OFFSET: 0
; COMPUTE_PGM_RSRC3_GFX90A:TG_SPLIT: 0
	.section	.text._ZN7rocprim17ROCPRIM_400000_NS6detail17trampoline_kernelINS0_14default_configENS1_20scan_config_selectorIiEEZZNS1_9scan_implILNS1_25lookback_scan_determinismE0ELb0ELb0ES3_PiS8_iN6thrust23THRUST_200600_302600_NS4plusIvEEiEEDaPvRmT3_T4_T5_mT6_P12ihipStream_tbENKUlT_T0_E_clISt17integral_constantIbLb0EESQ_EEDaSL_SM_EUlSL_E0_NS1_11comp_targetILNS1_3genE4ELNS1_11target_archE910ELNS1_3gpuE8ELNS1_3repE0EEENS1_30default_config_static_selectorELNS0_4arch9wavefront6targetE1EEEvT1_,"axG",@progbits,_ZN7rocprim17ROCPRIM_400000_NS6detail17trampoline_kernelINS0_14default_configENS1_20scan_config_selectorIiEEZZNS1_9scan_implILNS1_25lookback_scan_determinismE0ELb0ELb0ES3_PiS8_iN6thrust23THRUST_200600_302600_NS4plusIvEEiEEDaPvRmT3_T4_T5_mT6_P12ihipStream_tbENKUlT_T0_E_clISt17integral_constantIbLb0EESQ_EEDaSL_SM_EUlSL_E0_NS1_11comp_targetILNS1_3genE4ELNS1_11target_archE910ELNS1_3gpuE8ELNS1_3repE0EEENS1_30default_config_static_selectorELNS0_4arch9wavefront6targetE1EEEvT1_,comdat
	.protected	_ZN7rocprim17ROCPRIM_400000_NS6detail17trampoline_kernelINS0_14default_configENS1_20scan_config_selectorIiEEZZNS1_9scan_implILNS1_25lookback_scan_determinismE0ELb0ELb0ES3_PiS8_iN6thrust23THRUST_200600_302600_NS4plusIvEEiEEDaPvRmT3_T4_T5_mT6_P12ihipStream_tbENKUlT_T0_E_clISt17integral_constantIbLb0EESQ_EEDaSL_SM_EUlSL_E0_NS1_11comp_targetILNS1_3genE4ELNS1_11target_archE910ELNS1_3gpuE8ELNS1_3repE0EEENS1_30default_config_static_selectorELNS0_4arch9wavefront6targetE1EEEvT1_ ; -- Begin function _ZN7rocprim17ROCPRIM_400000_NS6detail17trampoline_kernelINS0_14default_configENS1_20scan_config_selectorIiEEZZNS1_9scan_implILNS1_25lookback_scan_determinismE0ELb0ELb0ES3_PiS8_iN6thrust23THRUST_200600_302600_NS4plusIvEEiEEDaPvRmT3_T4_T5_mT6_P12ihipStream_tbENKUlT_T0_E_clISt17integral_constantIbLb0EESQ_EEDaSL_SM_EUlSL_E0_NS1_11comp_targetILNS1_3genE4ELNS1_11target_archE910ELNS1_3gpuE8ELNS1_3repE0EEENS1_30default_config_static_selectorELNS0_4arch9wavefront6targetE1EEEvT1_
	.globl	_ZN7rocprim17ROCPRIM_400000_NS6detail17trampoline_kernelINS0_14default_configENS1_20scan_config_selectorIiEEZZNS1_9scan_implILNS1_25lookback_scan_determinismE0ELb0ELb0ES3_PiS8_iN6thrust23THRUST_200600_302600_NS4plusIvEEiEEDaPvRmT3_T4_T5_mT6_P12ihipStream_tbENKUlT_T0_E_clISt17integral_constantIbLb0EESQ_EEDaSL_SM_EUlSL_E0_NS1_11comp_targetILNS1_3genE4ELNS1_11target_archE910ELNS1_3gpuE8ELNS1_3repE0EEENS1_30default_config_static_selectorELNS0_4arch9wavefront6targetE1EEEvT1_
	.p2align	8
	.type	_ZN7rocprim17ROCPRIM_400000_NS6detail17trampoline_kernelINS0_14default_configENS1_20scan_config_selectorIiEEZZNS1_9scan_implILNS1_25lookback_scan_determinismE0ELb0ELb0ES3_PiS8_iN6thrust23THRUST_200600_302600_NS4plusIvEEiEEDaPvRmT3_T4_T5_mT6_P12ihipStream_tbENKUlT_T0_E_clISt17integral_constantIbLb0EESQ_EEDaSL_SM_EUlSL_E0_NS1_11comp_targetILNS1_3genE4ELNS1_11target_archE910ELNS1_3gpuE8ELNS1_3repE0EEENS1_30default_config_static_selectorELNS0_4arch9wavefront6targetE1EEEvT1_,@function
_ZN7rocprim17ROCPRIM_400000_NS6detail17trampoline_kernelINS0_14default_configENS1_20scan_config_selectorIiEEZZNS1_9scan_implILNS1_25lookback_scan_determinismE0ELb0ELb0ES3_PiS8_iN6thrust23THRUST_200600_302600_NS4plusIvEEiEEDaPvRmT3_T4_T5_mT6_P12ihipStream_tbENKUlT_T0_E_clISt17integral_constantIbLb0EESQ_EEDaSL_SM_EUlSL_E0_NS1_11comp_targetILNS1_3genE4ELNS1_11target_archE910ELNS1_3gpuE8ELNS1_3repE0EEENS1_30default_config_static_selectorELNS0_4arch9wavefront6targetE1EEEvT1_: ; @_ZN7rocprim17ROCPRIM_400000_NS6detail17trampoline_kernelINS0_14default_configENS1_20scan_config_selectorIiEEZZNS1_9scan_implILNS1_25lookback_scan_determinismE0ELb0ELb0ES3_PiS8_iN6thrust23THRUST_200600_302600_NS4plusIvEEiEEDaPvRmT3_T4_T5_mT6_P12ihipStream_tbENKUlT_T0_E_clISt17integral_constantIbLb0EESQ_EEDaSL_SM_EUlSL_E0_NS1_11comp_targetILNS1_3genE4ELNS1_11target_archE910ELNS1_3gpuE8ELNS1_3repE0EEENS1_30default_config_static_selectorELNS0_4arch9wavefront6targetE1EEEvT1_
; %bb.0:
	s_load_dwordx4 s[20:23], s[4:5], 0x0
	v_lshlrev_b32_e32 v20, 2, v0
	s_waitcnt lgkmcnt(0)
	s_load_dword s23, s[20:21], 0x0
	v_cmp_gt_u32_e32 vcc, s22, v0
	s_waitcnt lgkmcnt(0)
	v_mov_b32_e32 v1, s23
	s_and_saveexec_b64 s[0:1], vcc
	s_cbranch_execz .LBB39_2
; %bb.1:
	global_load_dword v1, v20, s[20:21]
.LBB39_2:
	s_or_b64 exec, exec, s[0:1]
	v_or_b32_e32 v2, 0x80, v0
	v_cmp_gt_u32_e64 s[0:1], s22, v2
	v_mov_b32_e32 v2, s23
	s_and_saveexec_b64 s[2:3], s[0:1]
	s_cbranch_execz .LBB39_4
; %bb.3:
	global_load_dword v2, v20, s[20:21] offset:512
.LBB39_4:
	s_or_b64 exec, exec, s[2:3]
	v_or_b32_e32 v3, 0x100, v0
	v_cmp_gt_u32_e64 s[2:3], s22, v3
	v_mov_b32_e32 v3, s23
	s_and_saveexec_b64 s[6:7], s[2:3]
	s_cbranch_execz .LBB39_6
; %bb.5:
	global_load_dword v3, v20, s[20:21] offset:1024
.LBB39_6:
	;; [unrolled: 9-line block ×7, first 2 shown]
	s_or_b64 exec, exec, s[14:15]
	v_or_b32_e32 v10, 0x400, v0
	v_cmp_gt_u32_e64 s[14:15], s22, v10
	v_mov_b32_e32 v9, s23
	s_and_saveexec_b64 s[16:17], s[14:15]
	s_cbranch_execz .LBB39_18
; %bb.17:
	v_lshlrev_b32_e32 v9, 2, v10
	global_load_dword v9, v9, s[20:21]
.LBB39_18:
	s_or_b64 exec, exec, s[16:17]
	v_or_b32_e32 v11, 0x480, v0
	v_cmp_gt_u32_e64 s[16:17], s22, v11
	v_mov_b32_e32 v10, s23
	s_and_saveexec_b64 s[22:23], s[16:17]
	s_cbranch_execz .LBB39_20
; %bb.19:
	v_lshlrev_b32_e32 v10, 2, v11
	global_load_dword v10, v10, s[20:21]
.LBB39_20:
	s_or_b64 exec, exec, s[22:23]
	s_waitcnt vmcnt(0)
	ds_write2st64_b32 v20, v1, v2 offset1:2
	ds_write2st64_b32 v20, v3, v4 offset0:4 offset1:6
	ds_write2st64_b32 v20, v5, v6 offset0:8 offset1:10
	;; [unrolled: 1-line block ×4, first 2 shown]
	v_mad_u32_u24 v1, v0, 36, v20
	s_waitcnt lgkmcnt(0)
	s_barrier
	ds_read2_b64 v[6:9], v1 offset1:1
	ds_read2_b64 v[2:5], v1 offset0:2 offset1:3
	ds_read_b64 v[18:19], v1 offset:32
	v_lshrrev_b32_e32 v21, 3, v0
	v_and_b32_e32 v21, 12, v21
	s_waitcnt lgkmcnt(2)
	v_add_u32_e32 v1, v7, v6
	v_add_u32_e32 v14, v1, v8
	;; [unrolled: 1-line block ×3, first 2 shown]
	s_waitcnt lgkmcnt(1)
	v_add_u32_e32 v10, v15, v2
	v_add_u32_e32 v11, v10, v3
	;; [unrolled: 1-line block ×4, first 2 shown]
	s_waitcnt lgkmcnt(0)
	v_add_u32_e32 v16, v13, v18
	v_add_u32_e32 v17, v16, v19
	;; [unrolled: 1-line block ×3, first 2 shown]
	v_cmp_gt_u32_e64 s[20:21], 64, v0
	s_barrier
	ds_write_b32 v21, v17
	s_waitcnt lgkmcnt(0)
	s_barrier
	s_and_saveexec_b64 s[22:23], s[20:21]
	s_cbranch_execz .LBB39_22
; %bb.21:
	v_lshlrev_b32_e32 v21, 1, v0
	v_lshrrev_b32_e32 v22, 4, v0
	v_add_lshl_u32 v21, v22, v21, 2
	ds_read2_b32 v[22:23], v21 offset1:1
	v_mbcnt_lo_u32_b32 v24, -1, 0
	v_mbcnt_hi_u32_b32 v24, -1, v24
	v_and_b32_e32 v25, 15, v24
	v_cmp_ne_u32_e64 s[20:21], 0, v25
	s_waitcnt lgkmcnt(0)
	v_add_u32_e32 v23, v23, v22
	; wave barrier
	s_nop 1
	v_mov_b32_dpp v26, v23 row_shr:1 row_mask:0xf bank_mask:0xf
	v_cndmask_b32_e64 v26, 0, v26, s[20:21]
	v_add_u32_e32 v23, v26, v23
	v_cmp_lt_u32_e64 s[20:21], 1, v25
	s_nop 0
	v_mov_b32_dpp v26, v23 row_shr:2 row_mask:0xf bank_mask:0xf
	v_cndmask_b32_e64 v26, 0, v26, s[20:21]
	v_add_u32_e32 v23, v23, v26
	v_cmp_lt_u32_e64 s[20:21], 3, v25
	;; [unrolled: 5-line block ×3, first 2 shown]
	s_nop 0
	v_mov_b32_dpp v26, v23 row_shr:8 row_mask:0xf bank_mask:0xf
	v_cndmask_b32_e64 v25, 0, v26, s[20:21]
	v_add_u32_e32 v23, v23, v25
	v_bfe_i32 v26, v24, 4, 1
	v_cmp_lt_u32_e64 s[20:21], 31, v24
	v_mov_b32_dpp v25, v23 row_bcast:15 row_mask:0xf bank_mask:0xf
	v_and_b32_e32 v25, v26, v25
	v_add_u32_e32 v23, v23, v25
	v_and_b32_e32 v26, 64, v24
	s_nop 0
	v_mov_b32_dpp v25, v23 row_bcast:31 row_mask:0xf bank_mask:0xf
	v_cndmask_b32_e64 v25, 0, v25, s[20:21]
	v_add_u32_e32 v23, v23, v25
	v_add_u32_e32 v25, -1, v24
	v_cmp_lt_i32_e64 s[20:21], v25, v26
	v_cndmask_b32_e64 v24, v25, v24, s[20:21]
	v_lshlrev_b32_e32 v24, 2, v24
	ds_bpermute_b32 v23, v24, v23
	v_cmp_eq_u32_e64 s[20:21], 0, v0
	s_waitcnt lgkmcnt(0)
	v_add_u32_e32 v22, v23, v22
	v_cndmask_b32_e64 v22, v22, v17, s[20:21]
	ds_write_b32 v21, v22
	; wave barrier
	ds_read_b32 v23, v21 offset:4
	s_waitcnt lgkmcnt(0)
	v_add_u32_e32 v22, v23, v22
	ds_write_b32 v21, v22 offset:4
.LBB39_22:
	s_or_b64 exec, exec, s[22:23]
	s_load_dwordx2 s[20:21], s[4:5], 0x18
	v_cmp_ne_u32_e64 s[4:5], 0, v0
	v_mov_b32_e32 v22, v17
	s_waitcnt lgkmcnt(0)
	s_barrier
	s_and_saveexec_b64 s[22:23], s[4:5]
	s_cbranch_execz .LBB39_24
; %bb.23:
	v_add_u32_e32 v21, -1, v0
	v_lshrrev_b32_e32 v22, 5, v21
	v_add_lshl_u32 v21, v22, v21, 2
	ds_read_b32 v22, v21
.LBB39_24:
	s_or_b64 exec, exec, s[22:23]
	v_mul_u32_u24_e32 v21, 36, v0
	v_mov_b32_e32 v0, v6
	s_and_saveexec_b64 s[22:23], s[4:5]
	s_cbranch_execz .LBB39_26
; %bb.25:
	s_waitcnt lgkmcnt(0)
	v_add_u32_e32 v0, v22, v6
	v_add_u32_e32 v1, v0, v7
	v_add_u32_e32 v14, v1, v8
	v_add_u32_e32 v15, v14, v9
	v_add_u32_e32 v10, v15, v2
	v_add_u32_e32 v11, v10, v3
	v_add_u32_e32 v12, v11, v4
	v_add_u32_e32 v13, v12, v5
	v_add_u32_e32 v16, v13, v18
	v_add_u32_e32 v17, v16, v19
	;;#ASMSTART
	;;#ASMEND
.LBB39_26:
	s_or_b64 exec, exec, s[22:23]
	v_add_u32_e32 v2, v20, v21
	s_waitcnt lgkmcnt(0)
	s_barrier
	ds_write2_b64 v2, v[0:1], v[14:15] offset1:1
	ds_write2_b64 v2, v[10:11], v[12:13] offset0:2 offset1:3
	ds_write_b64 v2, v[16:17] offset:32
	s_waitcnt lgkmcnt(0)
	s_barrier
	ds_read2st64_b32 v[8:9], v20 offset0:2 offset1:4
	ds_read2st64_b32 v[6:7], v20 offset0:6 offset1:8
	;; [unrolled: 1-line block ×4, first 2 shown]
	ds_read_b32 v10, v20 offset:4608
	v_mov_b32_e32 v1, s21
	v_add_co_u32_e64 v0, s[4:5], s20, v20
	v_addc_co_u32_e64 v1, s[4:5], 0, v1, s[4:5]
	s_and_saveexec_b64 s[4:5], vcc
	s_cbranch_execnz .LBB39_37
; %bb.27:
	s_or_b64 exec, exec, s[4:5]
	s_and_saveexec_b64 s[4:5], s[0:1]
	s_cbranch_execnz .LBB39_38
.LBB39_28:
	s_or_b64 exec, exec, s[4:5]
	s_and_saveexec_b64 s[0:1], s[2:3]
	s_cbranch_execnz .LBB39_39
.LBB39_29:
	s_or_b64 exec, exec, s[0:1]
	s_and_saveexec_b64 s[0:1], s[18:19]
	s_cbranch_execnz .LBB39_40
.LBB39_30:
	s_or_b64 exec, exec, s[0:1]
	s_and_saveexec_b64 s[0:1], s[6:7]
	s_cbranch_execnz .LBB39_41
.LBB39_31:
	s_or_b64 exec, exec, s[0:1]
	s_and_saveexec_b64 s[0:1], s[8:9]
	s_cbranch_execnz .LBB39_42
.LBB39_32:
	s_or_b64 exec, exec, s[0:1]
	s_and_saveexec_b64 s[0:1], s[10:11]
	s_cbranch_execnz .LBB39_43
.LBB39_33:
	s_or_b64 exec, exec, s[0:1]
	s_and_saveexec_b64 s[0:1], s[12:13]
	s_cbranch_execnz .LBB39_44
.LBB39_34:
	s_or_b64 exec, exec, s[0:1]
	s_and_saveexec_b64 s[0:1], s[14:15]
	s_cbranch_execnz .LBB39_45
.LBB39_35:
	s_or_b64 exec, exec, s[0:1]
	s_and_saveexec_b64 s[0:1], s[16:17]
	s_cbranch_execnz .LBB39_46
.LBB39_36:
	s_endpgm
.LBB39_37:
	ds_read_b32 v11, v20
	s_waitcnt lgkmcnt(0)
	global_store_dword v[0:1], v11, off
	s_or_b64 exec, exec, s[4:5]
	s_and_saveexec_b64 s[4:5], s[0:1]
	s_cbranch_execz .LBB39_28
.LBB39_38:
	s_waitcnt lgkmcnt(4)
	global_store_dword v[0:1], v8, off offset:512
	s_or_b64 exec, exec, s[4:5]
	s_and_saveexec_b64 s[0:1], s[2:3]
	s_cbranch_execz .LBB39_29
.LBB39_39:
	s_waitcnt lgkmcnt(4)
	global_store_dword v[0:1], v9, off offset:1024
	s_or_b64 exec, exec, s[0:1]
	s_and_saveexec_b64 s[0:1], s[18:19]
	s_cbranch_execz .LBB39_30
.LBB39_40:
	s_waitcnt lgkmcnt(3)
	global_store_dword v[0:1], v6, off offset:1536
	s_or_b64 exec, exec, s[0:1]
	s_and_saveexec_b64 s[0:1], s[6:7]
	s_cbranch_execz .LBB39_31
.LBB39_41:
	s_waitcnt lgkmcnt(3)
	global_store_dword v[0:1], v7, off offset:2048
	s_or_b64 exec, exec, s[0:1]
	s_and_saveexec_b64 s[0:1], s[8:9]
	s_cbranch_execz .LBB39_32
.LBB39_42:
	s_waitcnt lgkmcnt(2)
	global_store_dword v[0:1], v4, off offset:2560
	s_or_b64 exec, exec, s[0:1]
	s_and_saveexec_b64 s[0:1], s[10:11]
	s_cbranch_execz .LBB39_33
.LBB39_43:
	s_waitcnt lgkmcnt(2)
	global_store_dword v[0:1], v5, off offset:3072
	s_or_b64 exec, exec, s[0:1]
	s_and_saveexec_b64 s[0:1], s[12:13]
	s_cbranch_execz .LBB39_34
.LBB39_44:
	s_waitcnt lgkmcnt(1)
	global_store_dword v[0:1], v2, off offset:3584
	s_or_b64 exec, exec, s[0:1]
	s_and_saveexec_b64 s[0:1], s[14:15]
	s_cbranch_execz .LBB39_35
.LBB39_45:
	s_waitcnt lgkmcnt(2)
	v_add_co_u32_e32 v4, vcc, 0x1000, v0
	v_addc_co_u32_e32 v5, vcc, 0, v1, vcc
	s_waitcnt lgkmcnt(1)
	global_store_dword v[4:5], v3, off
	s_or_b64 exec, exec, s[0:1]
	s_and_saveexec_b64 s[0:1], s[16:17]
	s_cbranch_execz .LBB39_36
.LBB39_46:
	v_add_co_u32_e32 v0, vcc, 0x1000, v0
	v_addc_co_u32_e32 v1, vcc, 0, v1, vcc
	s_waitcnt lgkmcnt(0)
	global_store_dword v[0:1], v10, off offset:512
	s_endpgm
	.section	.rodata,"a",@progbits
	.p2align	6, 0x0
	.amdhsa_kernel _ZN7rocprim17ROCPRIM_400000_NS6detail17trampoline_kernelINS0_14default_configENS1_20scan_config_selectorIiEEZZNS1_9scan_implILNS1_25lookback_scan_determinismE0ELb0ELb0ES3_PiS8_iN6thrust23THRUST_200600_302600_NS4plusIvEEiEEDaPvRmT3_T4_T5_mT6_P12ihipStream_tbENKUlT_T0_E_clISt17integral_constantIbLb0EESQ_EEDaSL_SM_EUlSL_E0_NS1_11comp_targetILNS1_3genE4ELNS1_11target_archE910ELNS1_3gpuE8ELNS1_3repE0EEENS1_30default_config_static_selectorELNS0_4arch9wavefront6targetE1EEEvT1_
		.amdhsa_group_segment_fixed_size 5120
		.amdhsa_private_segment_fixed_size 0
		.amdhsa_kernarg_size 32
		.amdhsa_user_sgpr_count 6
		.amdhsa_user_sgpr_private_segment_buffer 1
		.amdhsa_user_sgpr_dispatch_ptr 0
		.amdhsa_user_sgpr_queue_ptr 0
		.amdhsa_user_sgpr_kernarg_segment_ptr 1
		.amdhsa_user_sgpr_dispatch_id 0
		.amdhsa_user_sgpr_flat_scratch_init 0
		.amdhsa_user_sgpr_kernarg_preload_length 0
		.amdhsa_user_sgpr_kernarg_preload_offset 0
		.amdhsa_user_sgpr_private_segment_size 0
		.amdhsa_uses_dynamic_stack 0
		.amdhsa_system_sgpr_private_segment_wavefront_offset 0
		.amdhsa_system_sgpr_workgroup_id_x 1
		.amdhsa_system_sgpr_workgroup_id_y 0
		.amdhsa_system_sgpr_workgroup_id_z 0
		.amdhsa_system_sgpr_workgroup_info 0
		.amdhsa_system_vgpr_workitem_id 0
		.amdhsa_next_free_vgpr 27
		.amdhsa_next_free_sgpr 24
		.amdhsa_accum_offset 28
		.amdhsa_reserve_vcc 1
		.amdhsa_reserve_flat_scratch 0
		.amdhsa_float_round_mode_32 0
		.amdhsa_float_round_mode_16_64 0
		.amdhsa_float_denorm_mode_32 3
		.amdhsa_float_denorm_mode_16_64 3
		.amdhsa_dx10_clamp 1
		.amdhsa_ieee_mode 1
		.amdhsa_fp16_overflow 0
		.amdhsa_tg_split 0
		.amdhsa_exception_fp_ieee_invalid_op 0
		.amdhsa_exception_fp_denorm_src 0
		.amdhsa_exception_fp_ieee_div_zero 0
		.amdhsa_exception_fp_ieee_overflow 0
		.amdhsa_exception_fp_ieee_underflow 0
		.amdhsa_exception_fp_ieee_inexact 0
		.amdhsa_exception_int_div_zero 0
	.end_amdhsa_kernel
	.section	.text._ZN7rocprim17ROCPRIM_400000_NS6detail17trampoline_kernelINS0_14default_configENS1_20scan_config_selectorIiEEZZNS1_9scan_implILNS1_25lookback_scan_determinismE0ELb0ELb0ES3_PiS8_iN6thrust23THRUST_200600_302600_NS4plusIvEEiEEDaPvRmT3_T4_T5_mT6_P12ihipStream_tbENKUlT_T0_E_clISt17integral_constantIbLb0EESQ_EEDaSL_SM_EUlSL_E0_NS1_11comp_targetILNS1_3genE4ELNS1_11target_archE910ELNS1_3gpuE8ELNS1_3repE0EEENS1_30default_config_static_selectorELNS0_4arch9wavefront6targetE1EEEvT1_,"axG",@progbits,_ZN7rocprim17ROCPRIM_400000_NS6detail17trampoline_kernelINS0_14default_configENS1_20scan_config_selectorIiEEZZNS1_9scan_implILNS1_25lookback_scan_determinismE0ELb0ELb0ES3_PiS8_iN6thrust23THRUST_200600_302600_NS4plusIvEEiEEDaPvRmT3_T4_T5_mT6_P12ihipStream_tbENKUlT_T0_E_clISt17integral_constantIbLb0EESQ_EEDaSL_SM_EUlSL_E0_NS1_11comp_targetILNS1_3genE4ELNS1_11target_archE910ELNS1_3gpuE8ELNS1_3repE0EEENS1_30default_config_static_selectorELNS0_4arch9wavefront6targetE1EEEvT1_,comdat
.Lfunc_end39:
	.size	_ZN7rocprim17ROCPRIM_400000_NS6detail17trampoline_kernelINS0_14default_configENS1_20scan_config_selectorIiEEZZNS1_9scan_implILNS1_25lookback_scan_determinismE0ELb0ELb0ES3_PiS8_iN6thrust23THRUST_200600_302600_NS4plusIvEEiEEDaPvRmT3_T4_T5_mT6_P12ihipStream_tbENKUlT_T0_E_clISt17integral_constantIbLb0EESQ_EEDaSL_SM_EUlSL_E0_NS1_11comp_targetILNS1_3genE4ELNS1_11target_archE910ELNS1_3gpuE8ELNS1_3repE0EEENS1_30default_config_static_selectorELNS0_4arch9wavefront6targetE1EEEvT1_, .Lfunc_end39-_ZN7rocprim17ROCPRIM_400000_NS6detail17trampoline_kernelINS0_14default_configENS1_20scan_config_selectorIiEEZZNS1_9scan_implILNS1_25lookback_scan_determinismE0ELb0ELb0ES3_PiS8_iN6thrust23THRUST_200600_302600_NS4plusIvEEiEEDaPvRmT3_T4_T5_mT6_P12ihipStream_tbENKUlT_T0_E_clISt17integral_constantIbLb0EESQ_EEDaSL_SM_EUlSL_E0_NS1_11comp_targetILNS1_3genE4ELNS1_11target_archE910ELNS1_3gpuE8ELNS1_3repE0EEENS1_30default_config_static_selectorELNS0_4arch9wavefront6targetE1EEEvT1_
                                        ; -- End function
	.section	.AMDGPU.csdata,"",@progbits
; Kernel info:
; codeLenInByte = 1556
; NumSgprs: 28
; NumVgprs: 27
; NumAgprs: 0
; TotalNumVgprs: 27
; ScratchSize: 0
; MemoryBound: 0
; FloatMode: 240
; IeeeMode: 1
; LDSByteSize: 5120 bytes/workgroup (compile time only)
; SGPRBlocks: 3
; VGPRBlocks: 3
; NumSGPRsForWavesPerEU: 28
; NumVGPRsForWavesPerEU: 27
; AccumOffset: 28
; Occupancy: 6
; WaveLimiterHint : 0
; COMPUTE_PGM_RSRC2:SCRATCH_EN: 0
; COMPUTE_PGM_RSRC2:USER_SGPR: 6
; COMPUTE_PGM_RSRC2:TRAP_HANDLER: 0
; COMPUTE_PGM_RSRC2:TGID_X_EN: 1
; COMPUTE_PGM_RSRC2:TGID_Y_EN: 0
; COMPUTE_PGM_RSRC2:TGID_Z_EN: 0
; COMPUTE_PGM_RSRC2:TIDIG_COMP_CNT: 0
; COMPUTE_PGM_RSRC3_GFX90A:ACCUM_OFFSET: 6
; COMPUTE_PGM_RSRC3_GFX90A:TG_SPLIT: 0
	.section	.text._ZN7rocprim17ROCPRIM_400000_NS6detail17trampoline_kernelINS0_14default_configENS1_20scan_config_selectorIiEEZZNS1_9scan_implILNS1_25lookback_scan_determinismE0ELb0ELb0ES3_PiS8_iN6thrust23THRUST_200600_302600_NS4plusIvEEiEEDaPvRmT3_T4_T5_mT6_P12ihipStream_tbENKUlT_T0_E_clISt17integral_constantIbLb0EESQ_EEDaSL_SM_EUlSL_E0_NS1_11comp_targetILNS1_3genE3ELNS1_11target_archE908ELNS1_3gpuE7ELNS1_3repE0EEENS1_30default_config_static_selectorELNS0_4arch9wavefront6targetE1EEEvT1_,"axG",@progbits,_ZN7rocprim17ROCPRIM_400000_NS6detail17trampoline_kernelINS0_14default_configENS1_20scan_config_selectorIiEEZZNS1_9scan_implILNS1_25lookback_scan_determinismE0ELb0ELb0ES3_PiS8_iN6thrust23THRUST_200600_302600_NS4plusIvEEiEEDaPvRmT3_T4_T5_mT6_P12ihipStream_tbENKUlT_T0_E_clISt17integral_constantIbLb0EESQ_EEDaSL_SM_EUlSL_E0_NS1_11comp_targetILNS1_3genE3ELNS1_11target_archE908ELNS1_3gpuE7ELNS1_3repE0EEENS1_30default_config_static_selectorELNS0_4arch9wavefront6targetE1EEEvT1_,comdat
	.protected	_ZN7rocprim17ROCPRIM_400000_NS6detail17trampoline_kernelINS0_14default_configENS1_20scan_config_selectorIiEEZZNS1_9scan_implILNS1_25lookback_scan_determinismE0ELb0ELb0ES3_PiS8_iN6thrust23THRUST_200600_302600_NS4plusIvEEiEEDaPvRmT3_T4_T5_mT6_P12ihipStream_tbENKUlT_T0_E_clISt17integral_constantIbLb0EESQ_EEDaSL_SM_EUlSL_E0_NS1_11comp_targetILNS1_3genE3ELNS1_11target_archE908ELNS1_3gpuE7ELNS1_3repE0EEENS1_30default_config_static_selectorELNS0_4arch9wavefront6targetE1EEEvT1_ ; -- Begin function _ZN7rocprim17ROCPRIM_400000_NS6detail17trampoline_kernelINS0_14default_configENS1_20scan_config_selectorIiEEZZNS1_9scan_implILNS1_25lookback_scan_determinismE0ELb0ELb0ES3_PiS8_iN6thrust23THRUST_200600_302600_NS4plusIvEEiEEDaPvRmT3_T4_T5_mT6_P12ihipStream_tbENKUlT_T0_E_clISt17integral_constantIbLb0EESQ_EEDaSL_SM_EUlSL_E0_NS1_11comp_targetILNS1_3genE3ELNS1_11target_archE908ELNS1_3gpuE7ELNS1_3repE0EEENS1_30default_config_static_selectorELNS0_4arch9wavefront6targetE1EEEvT1_
	.globl	_ZN7rocprim17ROCPRIM_400000_NS6detail17trampoline_kernelINS0_14default_configENS1_20scan_config_selectorIiEEZZNS1_9scan_implILNS1_25lookback_scan_determinismE0ELb0ELb0ES3_PiS8_iN6thrust23THRUST_200600_302600_NS4plusIvEEiEEDaPvRmT3_T4_T5_mT6_P12ihipStream_tbENKUlT_T0_E_clISt17integral_constantIbLb0EESQ_EEDaSL_SM_EUlSL_E0_NS1_11comp_targetILNS1_3genE3ELNS1_11target_archE908ELNS1_3gpuE7ELNS1_3repE0EEENS1_30default_config_static_selectorELNS0_4arch9wavefront6targetE1EEEvT1_
	.p2align	8
	.type	_ZN7rocprim17ROCPRIM_400000_NS6detail17trampoline_kernelINS0_14default_configENS1_20scan_config_selectorIiEEZZNS1_9scan_implILNS1_25lookback_scan_determinismE0ELb0ELb0ES3_PiS8_iN6thrust23THRUST_200600_302600_NS4plusIvEEiEEDaPvRmT3_T4_T5_mT6_P12ihipStream_tbENKUlT_T0_E_clISt17integral_constantIbLb0EESQ_EEDaSL_SM_EUlSL_E0_NS1_11comp_targetILNS1_3genE3ELNS1_11target_archE908ELNS1_3gpuE7ELNS1_3repE0EEENS1_30default_config_static_selectorELNS0_4arch9wavefront6targetE1EEEvT1_,@function
_ZN7rocprim17ROCPRIM_400000_NS6detail17trampoline_kernelINS0_14default_configENS1_20scan_config_selectorIiEEZZNS1_9scan_implILNS1_25lookback_scan_determinismE0ELb0ELb0ES3_PiS8_iN6thrust23THRUST_200600_302600_NS4plusIvEEiEEDaPvRmT3_T4_T5_mT6_P12ihipStream_tbENKUlT_T0_E_clISt17integral_constantIbLb0EESQ_EEDaSL_SM_EUlSL_E0_NS1_11comp_targetILNS1_3genE3ELNS1_11target_archE908ELNS1_3gpuE7ELNS1_3repE0EEENS1_30default_config_static_selectorELNS0_4arch9wavefront6targetE1EEEvT1_: ; @_ZN7rocprim17ROCPRIM_400000_NS6detail17trampoline_kernelINS0_14default_configENS1_20scan_config_selectorIiEEZZNS1_9scan_implILNS1_25lookback_scan_determinismE0ELb0ELb0ES3_PiS8_iN6thrust23THRUST_200600_302600_NS4plusIvEEiEEDaPvRmT3_T4_T5_mT6_P12ihipStream_tbENKUlT_T0_E_clISt17integral_constantIbLb0EESQ_EEDaSL_SM_EUlSL_E0_NS1_11comp_targetILNS1_3genE3ELNS1_11target_archE908ELNS1_3gpuE7ELNS1_3repE0EEENS1_30default_config_static_selectorELNS0_4arch9wavefront6targetE1EEEvT1_
; %bb.0:
	.section	.rodata,"a",@progbits
	.p2align	6, 0x0
	.amdhsa_kernel _ZN7rocprim17ROCPRIM_400000_NS6detail17trampoline_kernelINS0_14default_configENS1_20scan_config_selectorIiEEZZNS1_9scan_implILNS1_25lookback_scan_determinismE0ELb0ELb0ES3_PiS8_iN6thrust23THRUST_200600_302600_NS4plusIvEEiEEDaPvRmT3_T4_T5_mT6_P12ihipStream_tbENKUlT_T0_E_clISt17integral_constantIbLb0EESQ_EEDaSL_SM_EUlSL_E0_NS1_11comp_targetILNS1_3genE3ELNS1_11target_archE908ELNS1_3gpuE7ELNS1_3repE0EEENS1_30default_config_static_selectorELNS0_4arch9wavefront6targetE1EEEvT1_
		.amdhsa_group_segment_fixed_size 0
		.amdhsa_private_segment_fixed_size 0
		.amdhsa_kernarg_size 32
		.amdhsa_user_sgpr_count 6
		.amdhsa_user_sgpr_private_segment_buffer 1
		.amdhsa_user_sgpr_dispatch_ptr 0
		.amdhsa_user_sgpr_queue_ptr 0
		.amdhsa_user_sgpr_kernarg_segment_ptr 1
		.amdhsa_user_sgpr_dispatch_id 0
		.amdhsa_user_sgpr_flat_scratch_init 0
		.amdhsa_user_sgpr_kernarg_preload_length 0
		.amdhsa_user_sgpr_kernarg_preload_offset 0
		.amdhsa_user_sgpr_private_segment_size 0
		.amdhsa_uses_dynamic_stack 0
		.amdhsa_system_sgpr_private_segment_wavefront_offset 0
		.amdhsa_system_sgpr_workgroup_id_x 1
		.amdhsa_system_sgpr_workgroup_id_y 0
		.amdhsa_system_sgpr_workgroup_id_z 0
		.amdhsa_system_sgpr_workgroup_info 0
		.amdhsa_system_vgpr_workitem_id 0
		.amdhsa_next_free_vgpr 1
		.amdhsa_next_free_sgpr 0
		.amdhsa_accum_offset 4
		.amdhsa_reserve_vcc 0
		.amdhsa_reserve_flat_scratch 0
		.amdhsa_float_round_mode_32 0
		.amdhsa_float_round_mode_16_64 0
		.amdhsa_float_denorm_mode_32 3
		.amdhsa_float_denorm_mode_16_64 3
		.amdhsa_dx10_clamp 1
		.amdhsa_ieee_mode 1
		.amdhsa_fp16_overflow 0
		.amdhsa_tg_split 0
		.amdhsa_exception_fp_ieee_invalid_op 0
		.amdhsa_exception_fp_denorm_src 0
		.amdhsa_exception_fp_ieee_div_zero 0
		.amdhsa_exception_fp_ieee_overflow 0
		.amdhsa_exception_fp_ieee_underflow 0
		.amdhsa_exception_fp_ieee_inexact 0
		.amdhsa_exception_int_div_zero 0
	.end_amdhsa_kernel
	.section	.text._ZN7rocprim17ROCPRIM_400000_NS6detail17trampoline_kernelINS0_14default_configENS1_20scan_config_selectorIiEEZZNS1_9scan_implILNS1_25lookback_scan_determinismE0ELb0ELb0ES3_PiS8_iN6thrust23THRUST_200600_302600_NS4plusIvEEiEEDaPvRmT3_T4_T5_mT6_P12ihipStream_tbENKUlT_T0_E_clISt17integral_constantIbLb0EESQ_EEDaSL_SM_EUlSL_E0_NS1_11comp_targetILNS1_3genE3ELNS1_11target_archE908ELNS1_3gpuE7ELNS1_3repE0EEENS1_30default_config_static_selectorELNS0_4arch9wavefront6targetE1EEEvT1_,"axG",@progbits,_ZN7rocprim17ROCPRIM_400000_NS6detail17trampoline_kernelINS0_14default_configENS1_20scan_config_selectorIiEEZZNS1_9scan_implILNS1_25lookback_scan_determinismE0ELb0ELb0ES3_PiS8_iN6thrust23THRUST_200600_302600_NS4plusIvEEiEEDaPvRmT3_T4_T5_mT6_P12ihipStream_tbENKUlT_T0_E_clISt17integral_constantIbLb0EESQ_EEDaSL_SM_EUlSL_E0_NS1_11comp_targetILNS1_3genE3ELNS1_11target_archE908ELNS1_3gpuE7ELNS1_3repE0EEENS1_30default_config_static_selectorELNS0_4arch9wavefront6targetE1EEEvT1_,comdat
.Lfunc_end40:
	.size	_ZN7rocprim17ROCPRIM_400000_NS6detail17trampoline_kernelINS0_14default_configENS1_20scan_config_selectorIiEEZZNS1_9scan_implILNS1_25lookback_scan_determinismE0ELb0ELb0ES3_PiS8_iN6thrust23THRUST_200600_302600_NS4plusIvEEiEEDaPvRmT3_T4_T5_mT6_P12ihipStream_tbENKUlT_T0_E_clISt17integral_constantIbLb0EESQ_EEDaSL_SM_EUlSL_E0_NS1_11comp_targetILNS1_3genE3ELNS1_11target_archE908ELNS1_3gpuE7ELNS1_3repE0EEENS1_30default_config_static_selectorELNS0_4arch9wavefront6targetE1EEEvT1_, .Lfunc_end40-_ZN7rocprim17ROCPRIM_400000_NS6detail17trampoline_kernelINS0_14default_configENS1_20scan_config_selectorIiEEZZNS1_9scan_implILNS1_25lookback_scan_determinismE0ELb0ELb0ES3_PiS8_iN6thrust23THRUST_200600_302600_NS4plusIvEEiEEDaPvRmT3_T4_T5_mT6_P12ihipStream_tbENKUlT_T0_E_clISt17integral_constantIbLb0EESQ_EEDaSL_SM_EUlSL_E0_NS1_11comp_targetILNS1_3genE3ELNS1_11target_archE908ELNS1_3gpuE7ELNS1_3repE0EEENS1_30default_config_static_selectorELNS0_4arch9wavefront6targetE1EEEvT1_
                                        ; -- End function
	.section	.AMDGPU.csdata,"",@progbits
; Kernel info:
; codeLenInByte = 0
; NumSgprs: 4
; NumVgprs: 0
; NumAgprs: 0
; TotalNumVgprs: 0
; ScratchSize: 0
; MemoryBound: 0
; FloatMode: 240
; IeeeMode: 1
; LDSByteSize: 0 bytes/workgroup (compile time only)
; SGPRBlocks: 0
; VGPRBlocks: 0
; NumSGPRsForWavesPerEU: 4
; NumVGPRsForWavesPerEU: 1
; AccumOffset: 4
; Occupancy: 8
; WaveLimiterHint : 0
; COMPUTE_PGM_RSRC2:SCRATCH_EN: 0
; COMPUTE_PGM_RSRC2:USER_SGPR: 6
; COMPUTE_PGM_RSRC2:TRAP_HANDLER: 0
; COMPUTE_PGM_RSRC2:TGID_X_EN: 1
; COMPUTE_PGM_RSRC2:TGID_Y_EN: 0
; COMPUTE_PGM_RSRC2:TGID_Z_EN: 0
; COMPUTE_PGM_RSRC2:TIDIG_COMP_CNT: 0
; COMPUTE_PGM_RSRC3_GFX90A:ACCUM_OFFSET: 0
; COMPUTE_PGM_RSRC3_GFX90A:TG_SPLIT: 0
	.section	.text._ZN7rocprim17ROCPRIM_400000_NS6detail17trampoline_kernelINS0_14default_configENS1_20scan_config_selectorIiEEZZNS1_9scan_implILNS1_25lookback_scan_determinismE0ELb0ELb0ES3_PiS8_iN6thrust23THRUST_200600_302600_NS4plusIvEEiEEDaPvRmT3_T4_T5_mT6_P12ihipStream_tbENKUlT_T0_E_clISt17integral_constantIbLb0EESQ_EEDaSL_SM_EUlSL_E0_NS1_11comp_targetILNS1_3genE2ELNS1_11target_archE906ELNS1_3gpuE6ELNS1_3repE0EEENS1_30default_config_static_selectorELNS0_4arch9wavefront6targetE1EEEvT1_,"axG",@progbits,_ZN7rocprim17ROCPRIM_400000_NS6detail17trampoline_kernelINS0_14default_configENS1_20scan_config_selectorIiEEZZNS1_9scan_implILNS1_25lookback_scan_determinismE0ELb0ELb0ES3_PiS8_iN6thrust23THRUST_200600_302600_NS4plusIvEEiEEDaPvRmT3_T4_T5_mT6_P12ihipStream_tbENKUlT_T0_E_clISt17integral_constantIbLb0EESQ_EEDaSL_SM_EUlSL_E0_NS1_11comp_targetILNS1_3genE2ELNS1_11target_archE906ELNS1_3gpuE6ELNS1_3repE0EEENS1_30default_config_static_selectorELNS0_4arch9wavefront6targetE1EEEvT1_,comdat
	.protected	_ZN7rocprim17ROCPRIM_400000_NS6detail17trampoline_kernelINS0_14default_configENS1_20scan_config_selectorIiEEZZNS1_9scan_implILNS1_25lookback_scan_determinismE0ELb0ELb0ES3_PiS8_iN6thrust23THRUST_200600_302600_NS4plusIvEEiEEDaPvRmT3_T4_T5_mT6_P12ihipStream_tbENKUlT_T0_E_clISt17integral_constantIbLb0EESQ_EEDaSL_SM_EUlSL_E0_NS1_11comp_targetILNS1_3genE2ELNS1_11target_archE906ELNS1_3gpuE6ELNS1_3repE0EEENS1_30default_config_static_selectorELNS0_4arch9wavefront6targetE1EEEvT1_ ; -- Begin function _ZN7rocprim17ROCPRIM_400000_NS6detail17trampoline_kernelINS0_14default_configENS1_20scan_config_selectorIiEEZZNS1_9scan_implILNS1_25lookback_scan_determinismE0ELb0ELb0ES3_PiS8_iN6thrust23THRUST_200600_302600_NS4plusIvEEiEEDaPvRmT3_T4_T5_mT6_P12ihipStream_tbENKUlT_T0_E_clISt17integral_constantIbLb0EESQ_EEDaSL_SM_EUlSL_E0_NS1_11comp_targetILNS1_3genE2ELNS1_11target_archE906ELNS1_3gpuE6ELNS1_3repE0EEENS1_30default_config_static_selectorELNS0_4arch9wavefront6targetE1EEEvT1_
	.globl	_ZN7rocprim17ROCPRIM_400000_NS6detail17trampoline_kernelINS0_14default_configENS1_20scan_config_selectorIiEEZZNS1_9scan_implILNS1_25lookback_scan_determinismE0ELb0ELb0ES3_PiS8_iN6thrust23THRUST_200600_302600_NS4plusIvEEiEEDaPvRmT3_T4_T5_mT6_P12ihipStream_tbENKUlT_T0_E_clISt17integral_constantIbLb0EESQ_EEDaSL_SM_EUlSL_E0_NS1_11comp_targetILNS1_3genE2ELNS1_11target_archE906ELNS1_3gpuE6ELNS1_3repE0EEENS1_30default_config_static_selectorELNS0_4arch9wavefront6targetE1EEEvT1_
	.p2align	8
	.type	_ZN7rocprim17ROCPRIM_400000_NS6detail17trampoline_kernelINS0_14default_configENS1_20scan_config_selectorIiEEZZNS1_9scan_implILNS1_25lookback_scan_determinismE0ELb0ELb0ES3_PiS8_iN6thrust23THRUST_200600_302600_NS4plusIvEEiEEDaPvRmT3_T4_T5_mT6_P12ihipStream_tbENKUlT_T0_E_clISt17integral_constantIbLb0EESQ_EEDaSL_SM_EUlSL_E0_NS1_11comp_targetILNS1_3genE2ELNS1_11target_archE906ELNS1_3gpuE6ELNS1_3repE0EEENS1_30default_config_static_selectorELNS0_4arch9wavefront6targetE1EEEvT1_,@function
_ZN7rocprim17ROCPRIM_400000_NS6detail17trampoline_kernelINS0_14default_configENS1_20scan_config_selectorIiEEZZNS1_9scan_implILNS1_25lookback_scan_determinismE0ELb0ELb0ES3_PiS8_iN6thrust23THRUST_200600_302600_NS4plusIvEEiEEDaPvRmT3_T4_T5_mT6_P12ihipStream_tbENKUlT_T0_E_clISt17integral_constantIbLb0EESQ_EEDaSL_SM_EUlSL_E0_NS1_11comp_targetILNS1_3genE2ELNS1_11target_archE906ELNS1_3gpuE6ELNS1_3repE0EEENS1_30default_config_static_selectorELNS0_4arch9wavefront6targetE1EEEvT1_: ; @_ZN7rocprim17ROCPRIM_400000_NS6detail17trampoline_kernelINS0_14default_configENS1_20scan_config_selectorIiEEZZNS1_9scan_implILNS1_25lookback_scan_determinismE0ELb0ELb0ES3_PiS8_iN6thrust23THRUST_200600_302600_NS4plusIvEEiEEDaPvRmT3_T4_T5_mT6_P12ihipStream_tbENKUlT_T0_E_clISt17integral_constantIbLb0EESQ_EEDaSL_SM_EUlSL_E0_NS1_11comp_targetILNS1_3genE2ELNS1_11target_archE906ELNS1_3gpuE6ELNS1_3repE0EEENS1_30default_config_static_selectorELNS0_4arch9wavefront6targetE1EEEvT1_
; %bb.0:
	.section	.rodata,"a",@progbits
	.p2align	6, 0x0
	.amdhsa_kernel _ZN7rocprim17ROCPRIM_400000_NS6detail17trampoline_kernelINS0_14default_configENS1_20scan_config_selectorIiEEZZNS1_9scan_implILNS1_25lookback_scan_determinismE0ELb0ELb0ES3_PiS8_iN6thrust23THRUST_200600_302600_NS4plusIvEEiEEDaPvRmT3_T4_T5_mT6_P12ihipStream_tbENKUlT_T0_E_clISt17integral_constantIbLb0EESQ_EEDaSL_SM_EUlSL_E0_NS1_11comp_targetILNS1_3genE2ELNS1_11target_archE906ELNS1_3gpuE6ELNS1_3repE0EEENS1_30default_config_static_selectorELNS0_4arch9wavefront6targetE1EEEvT1_
		.amdhsa_group_segment_fixed_size 0
		.amdhsa_private_segment_fixed_size 0
		.amdhsa_kernarg_size 32
		.amdhsa_user_sgpr_count 6
		.amdhsa_user_sgpr_private_segment_buffer 1
		.amdhsa_user_sgpr_dispatch_ptr 0
		.amdhsa_user_sgpr_queue_ptr 0
		.amdhsa_user_sgpr_kernarg_segment_ptr 1
		.amdhsa_user_sgpr_dispatch_id 0
		.amdhsa_user_sgpr_flat_scratch_init 0
		.amdhsa_user_sgpr_kernarg_preload_length 0
		.amdhsa_user_sgpr_kernarg_preload_offset 0
		.amdhsa_user_sgpr_private_segment_size 0
		.amdhsa_uses_dynamic_stack 0
		.amdhsa_system_sgpr_private_segment_wavefront_offset 0
		.amdhsa_system_sgpr_workgroup_id_x 1
		.amdhsa_system_sgpr_workgroup_id_y 0
		.amdhsa_system_sgpr_workgroup_id_z 0
		.amdhsa_system_sgpr_workgroup_info 0
		.amdhsa_system_vgpr_workitem_id 0
		.amdhsa_next_free_vgpr 1
		.amdhsa_next_free_sgpr 0
		.amdhsa_accum_offset 4
		.amdhsa_reserve_vcc 0
		.amdhsa_reserve_flat_scratch 0
		.amdhsa_float_round_mode_32 0
		.amdhsa_float_round_mode_16_64 0
		.amdhsa_float_denorm_mode_32 3
		.amdhsa_float_denorm_mode_16_64 3
		.amdhsa_dx10_clamp 1
		.amdhsa_ieee_mode 1
		.amdhsa_fp16_overflow 0
		.amdhsa_tg_split 0
		.amdhsa_exception_fp_ieee_invalid_op 0
		.amdhsa_exception_fp_denorm_src 0
		.amdhsa_exception_fp_ieee_div_zero 0
		.amdhsa_exception_fp_ieee_overflow 0
		.amdhsa_exception_fp_ieee_underflow 0
		.amdhsa_exception_fp_ieee_inexact 0
		.amdhsa_exception_int_div_zero 0
	.end_amdhsa_kernel
	.section	.text._ZN7rocprim17ROCPRIM_400000_NS6detail17trampoline_kernelINS0_14default_configENS1_20scan_config_selectorIiEEZZNS1_9scan_implILNS1_25lookback_scan_determinismE0ELb0ELb0ES3_PiS8_iN6thrust23THRUST_200600_302600_NS4plusIvEEiEEDaPvRmT3_T4_T5_mT6_P12ihipStream_tbENKUlT_T0_E_clISt17integral_constantIbLb0EESQ_EEDaSL_SM_EUlSL_E0_NS1_11comp_targetILNS1_3genE2ELNS1_11target_archE906ELNS1_3gpuE6ELNS1_3repE0EEENS1_30default_config_static_selectorELNS0_4arch9wavefront6targetE1EEEvT1_,"axG",@progbits,_ZN7rocprim17ROCPRIM_400000_NS6detail17trampoline_kernelINS0_14default_configENS1_20scan_config_selectorIiEEZZNS1_9scan_implILNS1_25lookback_scan_determinismE0ELb0ELb0ES3_PiS8_iN6thrust23THRUST_200600_302600_NS4plusIvEEiEEDaPvRmT3_T4_T5_mT6_P12ihipStream_tbENKUlT_T0_E_clISt17integral_constantIbLb0EESQ_EEDaSL_SM_EUlSL_E0_NS1_11comp_targetILNS1_3genE2ELNS1_11target_archE906ELNS1_3gpuE6ELNS1_3repE0EEENS1_30default_config_static_selectorELNS0_4arch9wavefront6targetE1EEEvT1_,comdat
.Lfunc_end41:
	.size	_ZN7rocprim17ROCPRIM_400000_NS6detail17trampoline_kernelINS0_14default_configENS1_20scan_config_selectorIiEEZZNS1_9scan_implILNS1_25lookback_scan_determinismE0ELb0ELb0ES3_PiS8_iN6thrust23THRUST_200600_302600_NS4plusIvEEiEEDaPvRmT3_T4_T5_mT6_P12ihipStream_tbENKUlT_T0_E_clISt17integral_constantIbLb0EESQ_EEDaSL_SM_EUlSL_E0_NS1_11comp_targetILNS1_3genE2ELNS1_11target_archE906ELNS1_3gpuE6ELNS1_3repE0EEENS1_30default_config_static_selectorELNS0_4arch9wavefront6targetE1EEEvT1_, .Lfunc_end41-_ZN7rocprim17ROCPRIM_400000_NS6detail17trampoline_kernelINS0_14default_configENS1_20scan_config_selectorIiEEZZNS1_9scan_implILNS1_25lookback_scan_determinismE0ELb0ELb0ES3_PiS8_iN6thrust23THRUST_200600_302600_NS4plusIvEEiEEDaPvRmT3_T4_T5_mT6_P12ihipStream_tbENKUlT_T0_E_clISt17integral_constantIbLb0EESQ_EEDaSL_SM_EUlSL_E0_NS1_11comp_targetILNS1_3genE2ELNS1_11target_archE906ELNS1_3gpuE6ELNS1_3repE0EEENS1_30default_config_static_selectorELNS0_4arch9wavefront6targetE1EEEvT1_
                                        ; -- End function
	.section	.AMDGPU.csdata,"",@progbits
; Kernel info:
; codeLenInByte = 0
; NumSgprs: 4
; NumVgprs: 0
; NumAgprs: 0
; TotalNumVgprs: 0
; ScratchSize: 0
; MemoryBound: 0
; FloatMode: 240
; IeeeMode: 1
; LDSByteSize: 0 bytes/workgroup (compile time only)
; SGPRBlocks: 0
; VGPRBlocks: 0
; NumSGPRsForWavesPerEU: 4
; NumVGPRsForWavesPerEU: 1
; AccumOffset: 4
; Occupancy: 8
; WaveLimiterHint : 0
; COMPUTE_PGM_RSRC2:SCRATCH_EN: 0
; COMPUTE_PGM_RSRC2:USER_SGPR: 6
; COMPUTE_PGM_RSRC2:TRAP_HANDLER: 0
; COMPUTE_PGM_RSRC2:TGID_X_EN: 1
; COMPUTE_PGM_RSRC2:TGID_Y_EN: 0
; COMPUTE_PGM_RSRC2:TGID_Z_EN: 0
; COMPUTE_PGM_RSRC2:TIDIG_COMP_CNT: 0
; COMPUTE_PGM_RSRC3_GFX90A:ACCUM_OFFSET: 0
; COMPUTE_PGM_RSRC3_GFX90A:TG_SPLIT: 0
	.section	.text._ZN7rocprim17ROCPRIM_400000_NS6detail17trampoline_kernelINS0_14default_configENS1_20scan_config_selectorIiEEZZNS1_9scan_implILNS1_25lookback_scan_determinismE0ELb0ELb0ES3_PiS8_iN6thrust23THRUST_200600_302600_NS4plusIvEEiEEDaPvRmT3_T4_T5_mT6_P12ihipStream_tbENKUlT_T0_E_clISt17integral_constantIbLb0EESQ_EEDaSL_SM_EUlSL_E0_NS1_11comp_targetILNS1_3genE10ELNS1_11target_archE1201ELNS1_3gpuE5ELNS1_3repE0EEENS1_30default_config_static_selectorELNS0_4arch9wavefront6targetE1EEEvT1_,"axG",@progbits,_ZN7rocprim17ROCPRIM_400000_NS6detail17trampoline_kernelINS0_14default_configENS1_20scan_config_selectorIiEEZZNS1_9scan_implILNS1_25lookback_scan_determinismE0ELb0ELb0ES3_PiS8_iN6thrust23THRUST_200600_302600_NS4plusIvEEiEEDaPvRmT3_T4_T5_mT6_P12ihipStream_tbENKUlT_T0_E_clISt17integral_constantIbLb0EESQ_EEDaSL_SM_EUlSL_E0_NS1_11comp_targetILNS1_3genE10ELNS1_11target_archE1201ELNS1_3gpuE5ELNS1_3repE0EEENS1_30default_config_static_selectorELNS0_4arch9wavefront6targetE1EEEvT1_,comdat
	.protected	_ZN7rocprim17ROCPRIM_400000_NS6detail17trampoline_kernelINS0_14default_configENS1_20scan_config_selectorIiEEZZNS1_9scan_implILNS1_25lookback_scan_determinismE0ELb0ELb0ES3_PiS8_iN6thrust23THRUST_200600_302600_NS4plusIvEEiEEDaPvRmT3_T4_T5_mT6_P12ihipStream_tbENKUlT_T0_E_clISt17integral_constantIbLb0EESQ_EEDaSL_SM_EUlSL_E0_NS1_11comp_targetILNS1_3genE10ELNS1_11target_archE1201ELNS1_3gpuE5ELNS1_3repE0EEENS1_30default_config_static_selectorELNS0_4arch9wavefront6targetE1EEEvT1_ ; -- Begin function _ZN7rocprim17ROCPRIM_400000_NS6detail17trampoline_kernelINS0_14default_configENS1_20scan_config_selectorIiEEZZNS1_9scan_implILNS1_25lookback_scan_determinismE0ELb0ELb0ES3_PiS8_iN6thrust23THRUST_200600_302600_NS4plusIvEEiEEDaPvRmT3_T4_T5_mT6_P12ihipStream_tbENKUlT_T0_E_clISt17integral_constantIbLb0EESQ_EEDaSL_SM_EUlSL_E0_NS1_11comp_targetILNS1_3genE10ELNS1_11target_archE1201ELNS1_3gpuE5ELNS1_3repE0EEENS1_30default_config_static_selectorELNS0_4arch9wavefront6targetE1EEEvT1_
	.globl	_ZN7rocprim17ROCPRIM_400000_NS6detail17trampoline_kernelINS0_14default_configENS1_20scan_config_selectorIiEEZZNS1_9scan_implILNS1_25lookback_scan_determinismE0ELb0ELb0ES3_PiS8_iN6thrust23THRUST_200600_302600_NS4plusIvEEiEEDaPvRmT3_T4_T5_mT6_P12ihipStream_tbENKUlT_T0_E_clISt17integral_constantIbLb0EESQ_EEDaSL_SM_EUlSL_E0_NS1_11comp_targetILNS1_3genE10ELNS1_11target_archE1201ELNS1_3gpuE5ELNS1_3repE0EEENS1_30default_config_static_selectorELNS0_4arch9wavefront6targetE1EEEvT1_
	.p2align	8
	.type	_ZN7rocprim17ROCPRIM_400000_NS6detail17trampoline_kernelINS0_14default_configENS1_20scan_config_selectorIiEEZZNS1_9scan_implILNS1_25lookback_scan_determinismE0ELb0ELb0ES3_PiS8_iN6thrust23THRUST_200600_302600_NS4plusIvEEiEEDaPvRmT3_T4_T5_mT6_P12ihipStream_tbENKUlT_T0_E_clISt17integral_constantIbLb0EESQ_EEDaSL_SM_EUlSL_E0_NS1_11comp_targetILNS1_3genE10ELNS1_11target_archE1201ELNS1_3gpuE5ELNS1_3repE0EEENS1_30default_config_static_selectorELNS0_4arch9wavefront6targetE1EEEvT1_,@function
_ZN7rocprim17ROCPRIM_400000_NS6detail17trampoline_kernelINS0_14default_configENS1_20scan_config_selectorIiEEZZNS1_9scan_implILNS1_25lookback_scan_determinismE0ELb0ELb0ES3_PiS8_iN6thrust23THRUST_200600_302600_NS4plusIvEEiEEDaPvRmT3_T4_T5_mT6_P12ihipStream_tbENKUlT_T0_E_clISt17integral_constantIbLb0EESQ_EEDaSL_SM_EUlSL_E0_NS1_11comp_targetILNS1_3genE10ELNS1_11target_archE1201ELNS1_3gpuE5ELNS1_3repE0EEENS1_30default_config_static_selectorELNS0_4arch9wavefront6targetE1EEEvT1_: ; @_ZN7rocprim17ROCPRIM_400000_NS6detail17trampoline_kernelINS0_14default_configENS1_20scan_config_selectorIiEEZZNS1_9scan_implILNS1_25lookback_scan_determinismE0ELb0ELb0ES3_PiS8_iN6thrust23THRUST_200600_302600_NS4plusIvEEiEEDaPvRmT3_T4_T5_mT6_P12ihipStream_tbENKUlT_T0_E_clISt17integral_constantIbLb0EESQ_EEDaSL_SM_EUlSL_E0_NS1_11comp_targetILNS1_3genE10ELNS1_11target_archE1201ELNS1_3gpuE5ELNS1_3repE0EEENS1_30default_config_static_selectorELNS0_4arch9wavefront6targetE1EEEvT1_
; %bb.0:
	.section	.rodata,"a",@progbits
	.p2align	6, 0x0
	.amdhsa_kernel _ZN7rocprim17ROCPRIM_400000_NS6detail17trampoline_kernelINS0_14default_configENS1_20scan_config_selectorIiEEZZNS1_9scan_implILNS1_25lookback_scan_determinismE0ELb0ELb0ES3_PiS8_iN6thrust23THRUST_200600_302600_NS4plusIvEEiEEDaPvRmT3_T4_T5_mT6_P12ihipStream_tbENKUlT_T0_E_clISt17integral_constantIbLb0EESQ_EEDaSL_SM_EUlSL_E0_NS1_11comp_targetILNS1_3genE10ELNS1_11target_archE1201ELNS1_3gpuE5ELNS1_3repE0EEENS1_30default_config_static_selectorELNS0_4arch9wavefront6targetE1EEEvT1_
		.amdhsa_group_segment_fixed_size 0
		.amdhsa_private_segment_fixed_size 0
		.amdhsa_kernarg_size 32
		.amdhsa_user_sgpr_count 6
		.amdhsa_user_sgpr_private_segment_buffer 1
		.amdhsa_user_sgpr_dispatch_ptr 0
		.amdhsa_user_sgpr_queue_ptr 0
		.amdhsa_user_sgpr_kernarg_segment_ptr 1
		.amdhsa_user_sgpr_dispatch_id 0
		.amdhsa_user_sgpr_flat_scratch_init 0
		.amdhsa_user_sgpr_kernarg_preload_length 0
		.amdhsa_user_sgpr_kernarg_preload_offset 0
		.amdhsa_user_sgpr_private_segment_size 0
		.amdhsa_uses_dynamic_stack 0
		.amdhsa_system_sgpr_private_segment_wavefront_offset 0
		.amdhsa_system_sgpr_workgroup_id_x 1
		.amdhsa_system_sgpr_workgroup_id_y 0
		.amdhsa_system_sgpr_workgroup_id_z 0
		.amdhsa_system_sgpr_workgroup_info 0
		.amdhsa_system_vgpr_workitem_id 0
		.amdhsa_next_free_vgpr 1
		.amdhsa_next_free_sgpr 0
		.amdhsa_accum_offset 4
		.amdhsa_reserve_vcc 0
		.amdhsa_reserve_flat_scratch 0
		.amdhsa_float_round_mode_32 0
		.amdhsa_float_round_mode_16_64 0
		.amdhsa_float_denorm_mode_32 3
		.amdhsa_float_denorm_mode_16_64 3
		.amdhsa_dx10_clamp 1
		.amdhsa_ieee_mode 1
		.amdhsa_fp16_overflow 0
		.amdhsa_tg_split 0
		.amdhsa_exception_fp_ieee_invalid_op 0
		.amdhsa_exception_fp_denorm_src 0
		.amdhsa_exception_fp_ieee_div_zero 0
		.amdhsa_exception_fp_ieee_overflow 0
		.amdhsa_exception_fp_ieee_underflow 0
		.amdhsa_exception_fp_ieee_inexact 0
		.amdhsa_exception_int_div_zero 0
	.end_amdhsa_kernel
	.section	.text._ZN7rocprim17ROCPRIM_400000_NS6detail17trampoline_kernelINS0_14default_configENS1_20scan_config_selectorIiEEZZNS1_9scan_implILNS1_25lookback_scan_determinismE0ELb0ELb0ES3_PiS8_iN6thrust23THRUST_200600_302600_NS4plusIvEEiEEDaPvRmT3_T4_T5_mT6_P12ihipStream_tbENKUlT_T0_E_clISt17integral_constantIbLb0EESQ_EEDaSL_SM_EUlSL_E0_NS1_11comp_targetILNS1_3genE10ELNS1_11target_archE1201ELNS1_3gpuE5ELNS1_3repE0EEENS1_30default_config_static_selectorELNS0_4arch9wavefront6targetE1EEEvT1_,"axG",@progbits,_ZN7rocprim17ROCPRIM_400000_NS6detail17trampoline_kernelINS0_14default_configENS1_20scan_config_selectorIiEEZZNS1_9scan_implILNS1_25lookback_scan_determinismE0ELb0ELb0ES3_PiS8_iN6thrust23THRUST_200600_302600_NS4plusIvEEiEEDaPvRmT3_T4_T5_mT6_P12ihipStream_tbENKUlT_T0_E_clISt17integral_constantIbLb0EESQ_EEDaSL_SM_EUlSL_E0_NS1_11comp_targetILNS1_3genE10ELNS1_11target_archE1201ELNS1_3gpuE5ELNS1_3repE0EEENS1_30default_config_static_selectorELNS0_4arch9wavefront6targetE1EEEvT1_,comdat
.Lfunc_end42:
	.size	_ZN7rocprim17ROCPRIM_400000_NS6detail17trampoline_kernelINS0_14default_configENS1_20scan_config_selectorIiEEZZNS1_9scan_implILNS1_25lookback_scan_determinismE0ELb0ELb0ES3_PiS8_iN6thrust23THRUST_200600_302600_NS4plusIvEEiEEDaPvRmT3_T4_T5_mT6_P12ihipStream_tbENKUlT_T0_E_clISt17integral_constantIbLb0EESQ_EEDaSL_SM_EUlSL_E0_NS1_11comp_targetILNS1_3genE10ELNS1_11target_archE1201ELNS1_3gpuE5ELNS1_3repE0EEENS1_30default_config_static_selectorELNS0_4arch9wavefront6targetE1EEEvT1_, .Lfunc_end42-_ZN7rocprim17ROCPRIM_400000_NS6detail17trampoline_kernelINS0_14default_configENS1_20scan_config_selectorIiEEZZNS1_9scan_implILNS1_25lookback_scan_determinismE0ELb0ELb0ES3_PiS8_iN6thrust23THRUST_200600_302600_NS4plusIvEEiEEDaPvRmT3_T4_T5_mT6_P12ihipStream_tbENKUlT_T0_E_clISt17integral_constantIbLb0EESQ_EEDaSL_SM_EUlSL_E0_NS1_11comp_targetILNS1_3genE10ELNS1_11target_archE1201ELNS1_3gpuE5ELNS1_3repE0EEENS1_30default_config_static_selectorELNS0_4arch9wavefront6targetE1EEEvT1_
                                        ; -- End function
	.section	.AMDGPU.csdata,"",@progbits
; Kernel info:
; codeLenInByte = 0
; NumSgprs: 4
; NumVgprs: 0
; NumAgprs: 0
; TotalNumVgprs: 0
; ScratchSize: 0
; MemoryBound: 0
; FloatMode: 240
; IeeeMode: 1
; LDSByteSize: 0 bytes/workgroup (compile time only)
; SGPRBlocks: 0
; VGPRBlocks: 0
; NumSGPRsForWavesPerEU: 4
; NumVGPRsForWavesPerEU: 1
; AccumOffset: 4
; Occupancy: 8
; WaveLimiterHint : 0
; COMPUTE_PGM_RSRC2:SCRATCH_EN: 0
; COMPUTE_PGM_RSRC2:USER_SGPR: 6
; COMPUTE_PGM_RSRC2:TRAP_HANDLER: 0
; COMPUTE_PGM_RSRC2:TGID_X_EN: 1
; COMPUTE_PGM_RSRC2:TGID_Y_EN: 0
; COMPUTE_PGM_RSRC2:TGID_Z_EN: 0
; COMPUTE_PGM_RSRC2:TIDIG_COMP_CNT: 0
; COMPUTE_PGM_RSRC3_GFX90A:ACCUM_OFFSET: 0
; COMPUTE_PGM_RSRC3_GFX90A:TG_SPLIT: 0
	.section	.text._ZN7rocprim17ROCPRIM_400000_NS6detail17trampoline_kernelINS0_14default_configENS1_20scan_config_selectorIiEEZZNS1_9scan_implILNS1_25lookback_scan_determinismE0ELb0ELb0ES3_PiS8_iN6thrust23THRUST_200600_302600_NS4plusIvEEiEEDaPvRmT3_T4_T5_mT6_P12ihipStream_tbENKUlT_T0_E_clISt17integral_constantIbLb0EESQ_EEDaSL_SM_EUlSL_E0_NS1_11comp_targetILNS1_3genE10ELNS1_11target_archE1200ELNS1_3gpuE4ELNS1_3repE0EEENS1_30default_config_static_selectorELNS0_4arch9wavefront6targetE1EEEvT1_,"axG",@progbits,_ZN7rocprim17ROCPRIM_400000_NS6detail17trampoline_kernelINS0_14default_configENS1_20scan_config_selectorIiEEZZNS1_9scan_implILNS1_25lookback_scan_determinismE0ELb0ELb0ES3_PiS8_iN6thrust23THRUST_200600_302600_NS4plusIvEEiEEDaPvRmT3_T4_T5_mT6_P12ihipStream_tbENKUlT_T0_E_clISt17integral_constantIbLb0EESQ_EEDaSL_SM_EUlSL_E0_NS1_11comp_targetILNS1_3genE10ELNS1_11target_archE1200ELNS1_3gpuE4ELNS1_3repE0EEENS1_30default_config_static_selectorELNS0_4arch9wavefront6targetE1EEEvT1_,comdat
	.protected	_ZN7rocprim17ROCPRIM_400000_NS6detail17trampoline_kernelINS0_14default_configENS1_20scan_config_selectorIiEEZZNS1_9scan_implILNS1_25lookback_scan_determinismE0ELb0ELb0ES3_PiS8_iN6thrust23THRUST_200600_302600_NS4plusIvEEiEEDaPvRmT3_T4_T5_mT6_P12ihipStream_tbENKUlT_T0_E_clISt17integral_constantIbLb0EESQ_EEDaSL_SM_EUlSL_E0_NS1_11comp_targetILNS1_3genE10ELNS1_11target_archE1200ELNS1_3gpuE4ELNS1_3repE0EEENS1_30default_config_static_selectorELNS0_4arch9wavefront6targetE1EEEvT1_ ; -- Begin function _ZN7rocprim17ROCPRIM_400000_NS6detail17trampoline_kernelINS0_14default_configENS1_20scan_config_selectorIiEEZZNS1_9scan_implILNS1_25lookback_scan_determinismE0ELb0ELb0ES3_PiS8_iN6thrust23THRUST_200600_302600_NS4plusIvEEiEEDaPvRmT3_T4_T5_mT6_P12ihipStream_tbENKUlT_T0_E_clISt17integral_constantIbLb0EESQ_EEDaSL_SM_EUlSL_E0_NS1_11comp_targetILNS1_3genE10ELNS1_11target_archE1200ELNS1_3gpuE4ELNS1_3repE0EEENS1_30default_config_static_selectorELNS0_4arch9wavefront6targetE1EEEvT1_
	.globl	_ZN7rocprim17ROCPRIM_400000_NS6detail17trampoline_kernelINS0_14default_configENS1_20scan_config_selectorIiEEZZNS1_9scan_implILNS1_25lookback_scan_determinismE0ELb0ELb0ES3_PiS8_iN6thrust23THRUST_200600_302600_NS4plusIvEEiEEDaPvRmT3_T4_T5_mT6_P12ihipStream_tbENKUlT_T0_E_clISt17integral_constantIbLb0EESQ_EEDaSL_SM_EUlSL_E0_NS1_11comp_targetILNS1_3genE10ELNS1_11target_archE1200ELNS1_3gpuE4ELNS1_3repE0EEENS1_30default_config_static_selectorELNS0_4arch9wavefront6targetE1EEEvT1_
	.p2align	8
	.type	_ZN7rocprim17ROCPRIM_400000_NS6detail17trampoline_kernelINS0_14default_configENS1_20scan_config_selectorIiEEZZNS1_9scan_implILNS1_25lookback_scan_determinismE0ELb0ELb0ES3_PiS8_iN6thrust23THRUST_200600_302600_NS4plusIvEEiEEDaPvRmT3_T4_T5_mT6_P12ihipStream_tbENKUlT_T0_E_clISt17integral_constantIbLb0EESQ_EEDaSL_SM_EUlSL_E0_NS1_11comp_targetILNS1_3genE10ELNS1_11target_archE1200ELNS1_3gpuE4ELNS1_3repE0EEENS1_30default_config_static_selectorELNS0_4arch9wavefront6targetE1EEEvT1_,@function
_ZN7rocprim17ROCPRIM_400000_NS6detail17trampoline_kernelINS0_14default_configENS1_20scan_config_selectorIiEEZZNS1_9scan_implILNS1_25lookback_scan_determinismE0ELb0ELb0ES3_PiS8_iN6thrust23THRUST_200600_302600_NS4plusIvEEiEEDaPvRmT3_T4_T5_mT6_P12ihipStream_tbENKUlT_T0_E_clISt17integral_constantIbLb0EESQ_EEDaSL_SM_EUlSL_E0_NS1_11comp_targetILNS1_3genE10ELNS1_11target_archE1200ELNS1_3gpuE4ELNS1_3repE0EEENS1_30default_config_static_selectorELNS0_4arch9wavefront6targetE1EEEvT1_: ; @_ZN7rocprim17ROCPRIM_400000_NS6detail17trampoline_kernelINS0_14default_configENS1_20scan_config_selectorIiEEZZNS1_9scan_implILNS1_25lookback_scan_determinismE0ELb0ELb0ES3_PiS8_iN6thrust23THRUST_200600_302600_NS4plusIvEEiEEDaPvRmT3_T4_T5_mT6_P12ihipStream_tbENKUlT_T0_E_clISt17integral_constantIbLb0EESQ_EEDaSL_SM_EUlSL_E0_NS1_11comp_targetILNS1_3genE10ELNS1_11target_archE1200ELNS1_3gpuE4ELNS1_3repE0EEENS1_30default_config_static_selectorELNS0_4arch9wavefront6targetE1EEEvT1_
; %bb.0:
	.section	.rodata,"a",@progbits
	.p2align	6, 0x0
	.amdhsa_kernel _ZN7rocprim17ROCPRIM_400000_NS6detail17trampoline_kernelINS0_14default_configENS1_20scan_config_selectorIiEEZZNS1_9scan_implILNS1_25lookback_scan_determinismE0ELb0ELb0ES3_PiS8_iN6thrust23THRUST_200600_302600_NS4plusIvEEiEEDaPvRmT3_T4_T5_mT6_P12ihipStream_tbENKUlT_T0_E_clISt17integral_constantIbLb0EESQ_EEDaSL_SM_EUlSL_E0_NS1_11comp_targetILNS1_3genE10ELNS1_11target_archE1200ELNS1_3gpuE4ELNS1_3repE0EEENS1_30default_config_static_selectorELNS0_4arch9wavefront6targetE1EEEvT1_
		.amdhsa_group_segment_fixed_size 0
		.amdhsa_private_segment_fixed_size 0
		.amdhsa_kernarg_size 32
		.amdhsa_user_sgpr_count 6
		.amdhsa_user_sgpr_private_segment_buffer 1
		.amdhsa_user_sgpr_dispatch_ptr 0
		.amdhsa_user_sgpr_queue_ptr 0
		.amdhsa_user_sgpr_kernarg_segment_ptr 1
		.amdhsa_user_sgpr_dispatch_id 0
		.amdhsa_user_sgpr_flat_scratch_init 0
		.amdhsa_user_sgpr_kernarg_preload_length 0
		.amdhsa_user_sgpr_kernarg_preload_offset 0
		.amdhsa_user_sgpr_private_segment_size 0
		.amdhsa_uses_dynamic_stack 0
		.amdhsa_system_sgpr_private_segment_wavefront_offset 0
		.amdhsa_system_sgpr_workgroup_id_x 1
		.amdhsa_system_sgpr_workgroup_id_y 0
		.amdhsa_system_sgpr_workgroup_id_z 0
		.amdhsa_system_sgpr_workgroup_info 0
		.amdhsa_system_vgpr_workitem_id 0
		.amdhsa_next_free_vgpr 1
		.amdhsa_next_free_sgpr 0
		.amdhsa_accum_offset 4
		.amdhsa_reserve_vcc 0
		.amdhsa_reserve_flat_scratch 0
		.amdhsa_float_round_mode_32 0
		.amdhsa_float_round_mode_16_64 0
		.amdhsa_float_denorm_mode_32 3
		.amdhsa_float_denorm_mode_16_64 3
		.amdhsa_dx10_clamp 1
		.amdhsa_ieee_mode 1
		.amdhsa_fp16_overflow 0
		.amdhsa_tg_split 0
		.amdhsa_exception_fp_ieee_invalid_op 0
		.amdhsa_exception_fp_denorm_src 0
		.amdhsa_exception_fp_ieee_div_zero 0
		.amdhsa_exception_fp_ieee_overflow 0
		.amdhsa_exception_fp_ieee_underflow 0
		.amdhsa_exception_fp_ieee_inexact 0
		.amdhsa_exception_int_div_zero 0
	.end_amdhsa_kernel
	.section	.text._ZN7rocprim17ROCPRIM_400000_NS6detail17trampoline_kernelINS0_14default_configENS1_20scan_config_selectorIiEEZZNS1_9scan_implILNS1_25lookback_scan_determinismE0ELb0ELb0ES3_PiS8_iN6thrust23THRUST_200600_302600_NS4plusIvEEiEEDaPvRmT3_T4_T5_mT6_P12ihipStream_tbENKUlT_T0_E_clISt17integral_constantIbLb0EESQ_EEDaSL_SM_EUlSL_E0_NS1_11comp_targetILNS1_3genE10ELNS1_11target_archE1200ELNS1_3gpuE4ELNS1_3repE0EEENS1_30default_config_static_selectorELNS0_4arch9wavefront6targetE1EEEvT1_,"axG",@progbits,_ZN7rocprim17ROCPRIM_400000_NS6detail17trampoline_kernelINS0_14default_configENS1_20scan_config_selectorIiEEZZNS1_9scan_implILNS1_25lookback_scan_determinismE0ELb0ELb0ES3_PiS8_iN6thrust23THRUST_200600_302600_NS4plusIvEEiEEDaPvRmT3_T4_T5_mT6_P12ihipStream_tbENKUlT_T0_E_clISt17integral_constantIbLb0EESQ_EEDaSL_SM_EUlSL_E0_NS1_11comp_targetILNS1_3genE10ELNS1_11target_archE1200ELNS1_3gpuE4ELNS1_3repE0EEENS1_30default_config_static_selectorELNS0_4arch9wavefront6targetE1EEEvT1_,comdat
.Lfunc_end43:
	.size	_ZN7rocprim17ROCPRIM_400000_NS6detail17trampoline_kernelINS0_14default_configENS1_20scan_config_selectorIiEEZZNS1_9scan_implILNS1_25lookback_scan_determinismE0ELb0ELb0ES3_PiS8_iN6thrust23THRUST_200600_302600_NS4plusIvEEiEEDaPvRmT3_T4_T5_mT6_P12ihipStream_tbENKUlT_T0_E_clISt17integral_constantIbLb0EESQ_EEDaSL_SM_EUlSL_E0_NS1_11comp_targetILNS1_3genE10ELNS1_11target_archE1200ELNS1_3gpuE4ELNS1_3repE0EEENS1_30default_config_static_selectorELNS0_4arch9wavefront6targetE1EEEvT1_, .Lfunc_end43-_ZN7rocprim17ROCPRIM_400000_NS6detail17trampoline_kernelINS0_14default_configENS1_20scan_config_selectorIiEEZZNS1_9scan_implILNS1_25lookback_scan_determinismE0ELb0ELb0ES3_PiS8_iN6thrust23THRUST_200600_302600_NS4plusIvEEiEEDaPvRmT3_T4_T5_mT6_P12ihipStream_tbENKUlT_T0_E_clISt17integral_constantIbLb0EESQ_EEDaSL_SM_EUlSL_E0_NS1_11comp_targetILNS1_3genE10ELNS1_11target_archE1200ELNS1_3gpuE4ELNS1_3repE0EEENS1_30default_config_static_selectorELNS0_4arch9wavefront6targetE1EEEvT1_
                                        ; -- End function
	.section	.AMDGPU.csdata,"",@progbits
; Kernel info:
; codeLenInByte = 0
; NumSgprs: 4
; NumVgprs: 0
; NumAgprs: 0
; TotalNumVgprs: 0
; ScratchSize: 0
; MemoryBound: 0
; FloatMode: 240
; IeeeMode: 1
; LDSByteSize: 0 bytes/workgroup (compile time only)
; SGPRBlocks: 0
; VGPRBlocks: 0
; NumSGPRsForWavesPerEU: 4
; NumVGPRsForWavesPerEU: 1
; AccumOffset: 4
; Occupancy: 8
; WaveLimiterHint : 0
; COMPUTE_PGM_RSRC2:SCRATCH_EN: 0
; COMPUTE_PGM_RSRC2:USER_SGPR: 6
; COMPUTE_PGM_RSRC2:TRAP_HANDLER: 0
; COMPUTE_PGM_RSRC2:TGID_X_EN: 1
; COMPUTE_PGM_RSRC2:TGID_Y_EN: 0
; COMPUTE_PGM_RSRC2:TGID_Z_EN: 0
; COMPUTE_PGM_RSRC2:TIDIG_COMP_CNT: 0
; COMPUTE_PGM_RSRC3_GFX90A:ACCUM_OFFSET: 0
; COMPUTE_PGM_RSRC3_GFX90A:TG_SPLIT: 0
	.section	.text._ZN7rocprim17ROCPRIM_400000_NS6detail17trampoline_kernelINS0_14default_configENS1_20scan_config_selectorIiEEZZNS1_9scan_implILNS1_25lookback_scan_determinismE0ELb0ELb0ES3_PiS8_iN6thrust23THRUST_200600_302600_NS4plusIvEEiEEDaPvRmT3_T4_T5_mT6_P12ihipStream_tbENKUlT_T0_E_clISt17integral_constantIbLb0EESQ_EEDaSL_SM_EUlSL_E0_NS1_11comp_targetILNS1_3genE9ELNS1_11target_archE1100ELNS1_3gpuE3ELNS1_3repE0EEENS1_30default_config_static_selectorELNS0_4arch9wavefront6targetE1EEEvT1_,"axG",@progbits,_ZN7rocprim17ROCPRIM_400000_NS6detail17trampoline_kernelINS0_14default_configENS1_20scan_config_selectorIiEEZZNS1_9scan_implILNS1_25lookback_scan_determinismE0ELb0ELb0ES3_PiS8_iN6thrust23THRUST_200600_302600_NS4plusIvEEiEEDaPvRmT3_T4_T5_mT6_P12ihipStream_tbENKUlT_T0_E_clISt17integral_constantIbLb0EESQ_EEDaSL_SM_EUlSL_E0_NS1_11comp_targetILNS1_3genE9ELNS1_11target_archE1100ELNS1_3gpuE3ELNS1_3repE0EEENS1_30default_config_static_selectorELNS0_4arch9wavefront6targetE1EEEvT1_,comdat
	.protected	_ZN7rocprim17ROCPRIM_400000_NS6detail17trampoline_kernelINS0_14default_configENS1_20scan_config_selectorIiEEZZNS1_9scan_implILNS1_25lookback_scan_determinismE0ELb0ELb0ES3_PiS8_iN6thrust23THRUST_200600_302600_NS4plusIvEEiEEDaPvRmT3_T4_T5_mT6_P12ihipStream_tbENKUlT_T0_E_clISt17integral_constantIbLb0EESQ_EEDaSL_SM_EUlSL_E0_NS1_11comp_targetILNS1_3genE9ELNS1_11target_archE1100ELNS1_3gpuE3ELNS1_3repE0EEENS1_30default_config_static_selectorELNS0_4arch9wavefront6targetE1EEEvT1_ ; -- Begin function _ZN7rocprim17ROCPRIM_400000_NS6detail17trampoline_kernelINS0_14default_configENS1_20scan_config_selectorIiEEZZNS1_9scan_implILNS1_25lookback_scan_determinismE0ELb0ELb0ES3_PiS8_iN6thrust23THRUST_200600_302600_NS4plusIvEEiEEDaPvRmT3_T4_T5_mT6_P12ihipStream_tbENKUlT_T0_E_clISt17integral_constantIbLb0EESQ_EEDaSL_SM_EUlSL_E0_NS1_11comp_targetILNS1_3genE9ELNS1_11target_archE1100ELNS1_3gpuE3ELNS1_3repE0EEENS1_30default_config_static_selectorELNS0_4arch9wavefront6targetE1EEEvT1_
	.globl	_ZN7rocprim17ROCPRIM_400000_NS6detail17trampoline_kernelINS0_14default_configENS1_20scan_config_selectorIiEEZZNS1_9scan_implILNS1_25lookback_scan_determinismE0ELb0ELb0ES3_PiS8_iN6thrust23THRUST_200600_302600_NS4plusIvEEiEEDaPvRmT3_T4_T5_mT6_P12ihipStream_tbENKUlT_T0_E_clISt17integral_constantIbLb0EESQ_EEDaSL_SM_EUlSL_E0_NS1_11comp_targetILNS1_3genE9ELNS1_11target_archE1100ELNS1_3gpuE3ELNS1_3repE0EEENS1_30default_config_static_selectorELNS0_4arch9wavefront6targetE1EEEvT1_
	.p2align	8
	.type	_ZN7rocprim17ROCPRIM_400000_NS6detail17trampoline_kernelINS0_14default_configENS1_20scan_config_selectorIiEEZZNS1_9scan_implILNS1_25lookback_scan_determinismE0ELb0ELb0ES3_PiS8_iN6thrust23THRUST_200600_302600_NS4plusIvEEiEEDaPvRmT3_T4_T5_mT6_P12ihipStream_tbENKUlT_T0_E_clISt17integral_constantIbLb0EESQ_EEDaSL_SM_EUlSL_E0_NS1_11comp_targetILNS1_3genE9ELNS1_11target_archE1100ELNS1_3gpuE3ELNS1_3repE0EEENS1_30default_config_static_selectorELNS0_4arch9wavefront6targetE1EEEvT1_,@function
_ZN7rocprim17ROCPRIM_400000_NS6detail17trampoline_kernelINS0_14default_configENS1_20scan_config_selectorIiEEZZNS1_9scan_implILNS1_25lookback_scan_determinismE0ELb0ELb0ES3_PiS8_iN6thrust23THRUST_200600_302600_NS4plusIvEEiEEDaPvRmT3_T4_T5_mT6_P12ihipStream_tbENKUlT_T0_E_clISt17integral_constantIbLb0EESQ_EEDaSL_SM_EUlSL_E0_NS1_11comp_targetILNS1_3genE9ELNS1_11target_archE1100ELNS1_3gpuE3ELNS1_3repE0EEENS1_30default_config_static_selectorELNS0_4arch9wavefront6targetE1EEEvT1_: ; @_ZN7rocprim17ROCPRIM_400000_NS6detail17trampoline_kernelINS0_14default_configENS1_20scan_config_selectorIiEEZZNS1_9scan_implILNS1_25lookback_scan_determinismE0ELb0ELb0ES3_PiS8_iN6thrust23THRUST_200600_302600_NS4plusIvEEiEEDaPvRmT3_T4_T5_mT6_P12ihipStream_tbENKUlT_T0_E_clISt17integral_constantIbLb0EESQ_EEDaSL_SM_EUlSL_E0_NS1_11comp_targetILNS1_3genE9ELNS1_11target_archE1100ELNS1_3gpuE3ELNS1_3repE0EEENS1_30default_config_static_selectorELNS0_4arch9wavefront6targetE1EEEvT1_
; %bb.0:
	.section	.rodata,"a",@progbits
	.p2align	6, 0x0
	.amdhsa_kernel _ZN7rocprim17ROCPRIM_400000_NS6detail17trampoline_kernelINS0_14default_configENS1_20scan_config_selectorIiEEZZNS1_9scan_implILNS1_25lookback_scan_determinismE0ELb0ELb0ES3_PiS8_iN6thrust23THRUST_200600_302600_NS4plusIvEEiEEDaPvRmT3_T4_T5_mT6_P12ihipStream_tbENKUlT_T0_E_clISt17integral_constantIbLb0EESQ_EEDaSL_SM_EUlSL_E0_NS1_11comp_targetILNS1_3genE9ELNS1_11target_archE1100ELNS1_3gpuE3ELNS1_3repE0EEENS1_30default_config_static_selectorELNS0_4arch9wavefront6targetE1EEEvT1_
		.amdhsa_group_segment_fixed_size 0
		.amdhsa_private_segment_fixed_size 0
		.amdhsa_kernarg_size 32
		.amdhsa_user_sgpr_count 6
		.amdhsa_user_sgpr_private_segment_buffer 1
		.amdhsa_user_sgpr_dispatch_ptr 0
		.amdhsa_user_sgpr_queue_ptr 0
		.amdhsa_user_sgpr_kernarg_segment_ptr 1
		.amdhsa_user_sgpr_dispatch_id 0
		.amdhsa_user_sgpr_flat_scratch_init 0
		.amdhsa_user_sgpr_kernarg_preload_length 0
		.amdhsa_user_sgpr_kernarg_preload_offset 0
		.amdhsa_user_sgpr_private_segment_size 0
		.amdhsa_uses_dynamic_stack 0
		.amdhsa_system_sgpr_private_segment_wavefront_offset 0
		.amdhsa_system_sgpr_workgroup_id_x 1
		.amdhsa_system_sgpr_workgroup_id_y 0
		.amdhsa_system_sgpr_workgroup_id_z 0
		.amdhsa_system_sgpr_workgroup_info 0
		.amdhsa_system_vgpr_workitem_id 0
		.amdhsa_next_free_vgpr 1
		.amdhsa_next_free_sgpr 0
		.amdhsa_accum_offset 4
		.amdhsa_reserve_vcc 0
		.amdhsa_reserve_flat_scratch 0
		.amdhsa_float_round_mode_32 0
		.amdhsa_float_round_mode_16_64 0
		.amdhsa_float_denorm_mode_32 3
		.amdhsa_float_denorm_mode_16_64 3
		.amdhsa_dx10_clamp 1
		.amdhsa_ieee_mode 1
		.amdhsa_fp16_overflow 0
		.amdhsa_tg_split 0
		.amdhsa_exception_fp_ieee_invalid_op 0
		.amdhsa_exception_fp_denorm_src 0
		.amdhsa_exception_fp_ieee_div_zero 0
		.amdhsa_exception_fp_ieee_overflow 0
		.amdhsa_exception_fp_ieee_underflow 0
		.amdhsa_exception_fp_ieee_inexact 0
		.amdhsa_exception_int_div_zero 0
	.end_amdhsa_kernel
	.section	.text._ZN7rocprim17ROCPRIM_400000_NS6detail17trampoline_kernelINS0_14default_configENS1_20scan_config_selectorIiEEZZNS1_9scan_implILNS1_25lookback_scan_determinismE0ELb0ELb0ES3_PiS8_iN6thrust23THRUST_200600_302600_NS4plusIvEEiEEDaPvRmT3_T4_T5_mT6_P12ihipStream_tbENKUlT_T0_E_clISt17integral_constantIbLb0EESQ_EEDaSL_SM_EUlSL_E0_NS1_11comp_targetILNS1_3genE9ELNS1_11target_archE1100ELNS1_3gpuE3ELNS1_3repE0EEENS1_30default_config_static_selectorELNS0_4arch9wavefront6targetE1EEEvT1_,"axG",@progbits,_ZN7rocprim17ROCPRIM_400000_NS6detail17trampoline_kernelINS0_14default_configENS1_20scan_config_selectorIiEEZZNS1_9scan_implILNS1_25lookback_scan_determinismE0ELb0ELb0ES3_PiS8_iN6thrust23THRUST_200600_302600_NS4plusIvEEiEEDaPvRmT3_T4_T5_mT6_P12ihipStream_tbENKUlT_T0_E_clISt17integral_constantIbLb0EESQ_EEDaSL_SM_EUlSL_E0_NS1_11comp_targetILNS1_3genE9ELNS1_11target_archE1100ELNS1_3gpuE3ELNS1_3repE0EEENS1_30default_config_static_selectorELNS0_4arch9wavefront6targetE1EEEvT1_,comdat
.Lfunc_end44:
	.size	_ZN7rocprim17ROCPRIM_400000_NS6detail17trampoline_kernelINS0_14default_configENS1_20scan_config_selectorIiEEZZNS1_9scan_implILNS1_25lookback_scan_determinismE0ELb0ELb0ES3_PiS8_iN6thrust23THRUST_200600_302600_NS4plusIvEEiEEDaPvRmT3_T4_T5_mT6_P12ihipStream_tbENKUlT_T0_E_clISt17integral_constantIbLb0EESQ_EEDaSL_SM_EUlSL_E0_NS1_11comp_targetILNS1_3genE9ELNS1_11target_archE1100ELNS1_3gpuE3ELNS1_3repE0EEENS1_30default_config_static_selectorELNS0_4arch9wavefront6targetE1EEEvT1_, .Lfunc_end44-_ZN7rocprim17ROCPRIM_400000_NS6detail17trampoline_kernelINS0_14default_configENS1_20scan_config_selectorIiEEZZNS1_9scan_implILNS1_25lookback_scan_determinismE0ELb0ELb0ES3_PiS8_iN6thrust23THRUST_200600_302600_NS4plusIvEEiEEDaPvRmT3_T4_T5_mT6_P12ihipStream_tbENKUlT_T0_E_clISt17integral_constantIbLb0EESQ_EEDaSL_SM_EUlSL_E0_NS1_11comp_targetILNS1_3genE9ELNS1_11target_archE1100ELNS1_3gpuE3ELNS1_3repE0EEENS1_30default_config_static_selectorELNS0_4arch9wavefront6targetE1EEEvT1_
                                        ; -- End function
	.section	.AMDGPU.csdata,"",@progbits
; Kernel info:
; codeLenInByte = 0
; NumSgprs: 4
; NumVgprs: 0
; NumAgprs: 0
; TotalNumVgprs: 0
; ScratchSize: 0
; MemoryBound: 0
; FloatMode: 240
; IeeeMode: 1
; LDSByteSize: 0 bytes/workgroup (compile time only)
; SGPRBlocks: 0
; VGPRBlocks: 0
; NumSGPRsForWavesPerEU: 4
; NumVGPRsForWavesPerEU: 1
; AccumOffset: 4
; Occupancy: 8
; WaveLimiterHint : 0
; COMPUTE_PGM_RSRC2:SCRATCH_EN: 0
; COMPUTE_PGM_RSRC2:USER_SGPR: 6
; COMPUTE_PGM_RSRC2:TRAP_HANDLER: 0
; COMPUTE_PGM_RSRC2:TGID_X_EN: 1
; COMPUTE_PGM_RSRC2:TGID_Y_EN: 0
; COMPUTE_PGM_RSRC2:TGID_Z_EN: 0
; COMPUTE_PGM_RSRC2:TIDIG_COMP_CNT: 0
; COMPUTE_PGM_RSRC3_GFX90A:ACCUM_OFFSET: 0
; COMPUTE_PGM_RSRC3_GFX90A:TG_SPLIT: 0
	.section	.text._ZN7rocprim17ROCPRIM_400000_NS6detail17trampoline_kernelINS0_14default_configENS1_20scan_config_selectorIiEEZZNS1_9scan_implILNS1_25lookback_scan_determinismE0ELb0ELb0ES3_PiS8_iN6thrust23THRUST_200600_302600_NS4plusIvEEiEEDaPvRmT3_T4_T5_mT6_P12ihipStream_tbENKUlT_T0_E_clISt17integral_constantIbLb0EESQ_EEDaSL_SM_EUlSL_E0_NS1_11comp_targetILNS1_3genE8ELNS1_11target_archE1030ELNS1_3gpuE2ELNS1_3repE0EEENS1_30default_config_static_selectorELNS0_4arch9wavefront6targetE1EEEvT1_,"axG",@progbits,_ZN7rocprim17ROCPRIM_400000_NS6detail17trampoline_kernelINS0_14default_configENS1_20scan_config_selectorIiEEZZNS1_9scan_implILNS1_25lookback_scan_determinismE0ELb0ELb0ES3_PiS8_iN6thrust23THRUST_200600_302600_NS4plusIvEEiEEDaPvRmT3_T4_T5_mT6_P12ihipStream_tbENKUlT_T0_E_clISt17integral_constantIbLb0EESQ_EEDaSL_SM_EUlSL_E0_NS1_11comp_targetILNS1_3genE8ELNS1_11target_archE1030ELNS1_3gpuE2ELNS1_3repE0EEENS1_30default_config_static_selectorELNS0_4arch9wavefront6targetE1EEEvT1_,comdat
	.protected	_ZN7rocprim17ROCPRIM_400000_NS6detail17trampoline_kernelINS0_14default_configENS1_20scan_config_selectorIiEEZZNS1_9scan_implILNS1_25lookback_scan_determinismE0ELb0ELb0ES3_PiS8_iN6thrust23THRUST_200600_302600_NS4plusIvEEiEEDaPvRmT3_T4_T5_mT6_P12ihipStream_tbENKUlT_T0_E_clISt17integral_constantIbLb0EESQ_EEDaSL_SM_EUlSL_E0_NS1_11comp_targetILNS1_3genE8ELNS1_11target_archE1030ELNS1_3gpuE2ELNS1_3repE0EEENS1_30default_config_static_selectorELNS0_4arch9wavefront6targetE1EEEvT1_ ; -- Begin function _ZN7rocprim17ROCPRIM_400000_NS6detail17trampoline_kernelINS0_14default_configENS1_20scan_config_selectorIiEEZZNS1_9scan_implILNS1_25lookback_scan_determinismE0ELb0ELb0ES3_PiS8_iN6thrust23THRUST_200600_302600_NS4plusIvEEiEEDaPvRmT3_T4_T5_mT6_P12ihipStream_tbENKUlT_T0_E_clISt17integral_constantIbLb0EESQ_EEDaSL_SM_EUlSL_E0_NS1_11comp_targetILNS1_3genE8ELNS1_11target_archE1030ELNS1_3gpuE2ELNS1_3repE0EEENS1_30default_config_static_selectorELNS0_4arch9wavefront6targetE1EEEvT1_
	.globl	_ZN7rocprim17ROCPRIM_400000_NS6detail17trampoline_kernelINS0_14default_configENS1_20scan_config_selectorIiEEZZNS1_9scan_implILNS1_25lookback_scan_determinismE0ELb0ELb0ES3_PiS8_iN6thrust23THRUST_200600_302600_NS4plusIvEEiEEDaPvRmT3_T4_T5_mT6_P12ihipStream_tbENKUlT_T0_E_clISt17integral_constantIbLb0EESQ_EEDaSL_SM_EUlSL_E0_NS1_11comp_targetILNS1_3genE8ELNS1_11target_archE1030ELNS1_3gpuE2ELNS1_3repE0EEENS1_30default_config_static_selectorELNS0_4arch9wavefront6targetE1EEEvT1_
	.p2align	8
	.type	_ZN7rocprim17ROCPRIM_400000_NS6detail17trampoline_kernelINS0_14default_configENS1_20scan_config_selectorIiEEZZNS1_9scan_implILNS1_25lookback_scan_determinismE0ELb0ELb0ES3_PiS8_iN6thrust23THRUST_200600_302600_NS4plusIvEEiEEDaPvRmT3_T4_T5_mT6_P12ihipStream_tbENKUlT_T0_E_clISt17integral_constantIbLb0EESQ_EEDaSL_SM_EUlSL_E0_NS1_11comp_targetILNS1_3genE8ELNS1_11target_archE1030ELNS1_3gpuE2ELNS1_3repE0EEENS1_30default_config_static_selectorELNS0_4arch9wavefront6targetE1EEEvT1_,@function
_ZN7rocprim17ROCPRIM_400000_NS6detail17trampoline_kernelINS0_14default_configENS1_20scan_config_selectorIiEEZZNS1_9scan_implILNS1_25lookback_scan_determinismE0ELb0ELb0ES3_PiS8_iN6thrust23THRUST_200600_302600_NS4plusIvEEiEEDaPvRmT3_T4_T5_mT6_P12ihipStream_tbENKUlT_T0_E_clISt17integral_constantIbLb0EESQ_EEDaSL_SM_EUlSL_E0_NS1_11comp_targetILNS1_3genE8ELNS1_11target_archE1030ELNS1_3gpuE2ELNS1_3repE0EEENS1_30default_config_static_selectorELNS0_4arch9wavefront6targetE1EEEvT1_: ; @_ZN7rocprim17ROCPRIM_400000_NS6detail17trampoline_kernelINS0_14default_configENS1_20scan_config_selectorIiEEZZNS1_9scan_implILNS1_25lookback_scan_determinismE0ELb0ELb0ES3_PiS8_iN6thrust23THRUST_200600_302600_NS4plusIvEEiEEDaPvRmT3_T4_T5_mT6_P12ihipStream_tbENKUlT_T0_E_clISt17integral_constantIbLb0EESQ_EEDaSL_SM_EUlSL_E0_NS1_11comp_targetILNS1_3genE8ELNS1_11target_archE1030ELNS1_3gpuE2ELNS1_3repE0EEENS1_30default_config_static_selectorELNS0_4arch9wavefront6targetE1EEEvT1_
; %bb.0:
	.section	.rodata,"a",@progbits
	.p2align	6, 0x0
	.amdhsa_kernel _ZN7rocprim17ROCPRIM_400000_NS6detail17trampoline_kernelINS0_14default_configENS1_20scan_config_selectorIiEEZZNS1_9scan_implILNS1_25lookback_scan_determinismE0ELb0ELb0ES3_PiS8_iN6thrust23THRUST_200600_302600_NS4plusIvEEiEEDaPvRmT3_T4_T5_mT6_P12ihipStream_tbENKUlT_T0_E_clISt17integral_constantIbLb0EESQ_EEDaSL_SM_EUlSL_E0_NS1_11comp_targetILNS1_3genE8ELNS1_11target_archE1030ELNS1_3gpuE2ELNS1_3repE0EEENS1_30default_config_static_selectorELNS0_4arch9wavefront6targetE1EEEvT1_
		.amdhsa_group_segment_fixed_size 0
		.amdhsa_private_segment_fixed_size 0
		.amdhsa_kernarg_size 32
		.amdhsa_user_sgpr_count 6
		.amdhsa_user_sgpr_private_segment_buffer 1
		.amdhsa_user_sgpr_dispatch_ptr 0
		.amdhsa_user_sgpr_queue_ptr 0
		.amdhsa_user_sgpr_kernarg_segment_ptr 1
		.amdhsa_user_sgpr_dispatch_id 0
		.amdhsa_user_sgpr_flat_scratch_init 0
		.amdhsa_user_sgpr_kernarg_preload_length 0
		.amdhsa_user_sgpr_kernarg_preload_offset 0
		.amdhsa_user_sgpr_private_segment_size 0
		.amdhsa_uses_dynamic_stack 0
		.amdhsa_system_sgpr_private_segment_wavefront_offset 0
		.amdhsa_system_sgpr_workgroup_id_x 1
		.amdhsa_system_sgpr_workgroup_id_y 0
		.amdhsa_system_sgpr_workgroup_id_z 0
		.amdhsa_system_sgpr_workgroup_info 0
		.amdhsa_system_vgpr_workitem_id 0
		.amdhsa_next_free_vgpr 1
		.amdhsa_next_free_sgpr 0
		.amdhsa_accum_offset 4
		.amdhsa_reserve_vcc 0
		.amdhsa_reserve_flat_scratch 0
		.amdhsa_float_round_mode_32 0
		.amdhsa_float_round_mode_16_64 0
		.amdhsa_float_denorm_mode_32 3
		.amdhsa_float_denorm_mode_16_64 3
		.amdhsa_dx10_clamp 1
		.amdhsa_ieee_mode 1
		.amdhsa_fp16_overflow 0
		.amdhsa_tg_split 0
		.amdhsa_exception_fp_ieee_invalid_op 0
		.amdhsa_exception_fp_denorm_src 0
		.amdhsa_exception_fp_ieee_div_zero 0
		.amdhsa_exception_fp_ieee_overflow 0
		.amdhsa_exception_fp_ieee_underflow 0
		.amdhsa_exception_fp_ieee_inexact 0
		.amdhsa_exception_int_div_zero 0
	.end_amdhsa_kernel
	.section	.text._ZN7rocprim17ROCPRIM_400000_NS6detail17trampoline_kernelINS0_14default_configENS1_20scan_config_selectorIiEEZZNS1_9scan_implILNS1_25lookback_scan_determinismE0ELb0ELb0ES3_PiS8_iN6thrust23THRUST_200600_302600_NS4plusIvEEiEEDaPvRmT3_T4_T5_mT6_P12ihipStream_tbENKUlT_T0_E_clISt17integral_constantIbLb0EESQ_EEDaSL_SM_EUlSL_E0_NS1_11comp_targetILNS1_3genE8ELNS1_11target_archE1030ELNS1_3gpuE2ELNS1_3repE0EEENS1_30default_config_static_selectorELNS0_4arch9wavefront6targetE1EEEvT1_,"axG",@progbits,_ZN7rocprim17ROCPRIM_400000_NS6detail17trampoline_kernelINS0_14default_configENS1_20scan_config_selectorIiEEZZNS1_9scan_implILNS1_25lookback_scan_determinismE0ELb0ELb0ES3_PiS8_iN6thrust23THRUST_200600_302600_NS4plusIvEEiEEDaPvRmT3_T4_T5_mT6_P12ihipStream_tbENKUlT_T0_E_clISt17integral_constantIbLb0EESQ_EEDaSL_SM_EUlSL_E0_NS1_11comp_targetILNS1_3genE8ELNS1_11target_archE1030ELNS1_3gpuE2ELNS1_3repE0EEENS1_30default_config_static_selectorELNS0_4arch9wavefront6targetE1EEEvT1_,comdat
.Lfunc_end45:
	.size	_ZN7rocprim17ROCPRIM_400000_NS6detail17trampoline_kernelINS0_14default_configENS1_20scan_config_selectorIiEEZZNS1_9scan_implILNS1_25lookback_scan_determinismE0ELb0ELb0ES3_PiS8_iN6thrust23THRUST_200600_302600_NS4plusIvEEiEEDaPvRmT3_T4_T5_mT6_P12ihipStream_tbENKUlT_T0_E_clISt17integral_constantIbLb0EESQ_EEDaSL_SM_EUlSL_E0_NS1_11comp_targetILNS1_3genE8ELNS1_11target_archE1030ELNS1_3gpuE2ELNS1_3repE0EEENS1_30default_config_static_selectorELNS0_4arch9wavefront6targetE1EEEvT1_, .Lfunc_end45-_ZN7rocprim17ROCPRIM_400000_NS6detail17trampoline_kernelINS0_14default_configENS1_20scan_config_selectorIiEEZZNS1_9scan_implILNS1_25lookback_scan_determinismE0ELb0ELb0ES3_PiS8_iN6thrust23THRUST_200600_302600_NS4plusIvEEiEEDaPvRmT3_T4_T5_mT6_P12ihipStream_tbENKUlT_T0_E_clISt17integral_constantIbLb0EESQ_EEDaSL_SM_EUlSL_E0_NS1_11comp_targetILNS1_3genE8ELNS1_11target_archE1030ELNS1_3gpuE2ELNS1_3repE0EEENS1_30default_config_static_selectorELNS0_4arch9wavefront6targetE1EEEvT1_
                                        ; -- End function
	.section	.AMDGPU.csdata,"",@progbits
; Kernel info:
; codeLenInByte = 0
; NumSgprs: 4
; NumVgprs: 0
; NumAgprs: 0
; TotalNumVgprs: 0
; ScratchSize: 0
; MemoryBound: 0
; FloatMode: 240
; IeeeMode: 1
; LDSByteSize: 0 bytes/workgroup (compile time only)
; SGPRBlocks: 0
; VGPRBlocks: 0
; NumSGPRsForWavesPerEU: 4
; NumVGPRsForWavesPerEU: 1
; AccumOffset: 4
; Occupancy: 8
; WaveLimiterHint : 0
; COMPUTE_PGM_RSRC2:SCRATCH_EN: 0
; COMPUTE_PGM_RSRC2:USER_SGPR: 6
; COMPUTE_PGM_RSRC2:TRAP_HANDLER: 0
; COMPUTE_PGM_RSRC2:TGID_X_EN: 1
; COMPUTE_PGM_RSRC2:TGID_Y_EN: 0
; COMPUTE_PGM_RSRC2:TGID_Z_EN: 0
; COMPUTE_PGM_RSRC2:TIDIG_COMP_CNT: 0
; COMPUTE_PGM_RSRC3_GFX90A:ACCUM_OFFSET: 0
; COMPUTE_PGM_RSRC3_GFX90A:TG_SPLIT: 0
	.section	.text._ZN7rocprim17ROCPRIM_400000_NS6detail31init_lookback_scan_state_kernelINS1_19lookback_scan_stateIiLb1ELb1EEENS1_16block_id_wrapperIjLb1EEEEEvT_jT0_jPNS7_10value_typeE,"axG",@progbits,_ZN7rocprim17ROCPRIM_400000_NS6detail31init_lookback_scan_state_kernelINS1_19lookback_scan_stateIiLb1ELb1EEENS1_16block_id_wrapperIjLb1EEEEEvT_jT0_jPNS7_10value_typeE,comdat
	.protected	_ZN7rocprim17ROCPRIM_400000_NS6detail31init_lookback_scan_state_kernelINS1_19lookback_scan_stateIiLb1ELb1EEENS1_16block_id_wrapperIjLb1EEEEEvT_jT0_jPNS7_10value_typeE ; -- Begin function _ZN7rocprim17ROCPRIM_400000_NS6detail31init_lookback_scan_state_kernelINS1_19lookback_scan_stateIiLb1ELb1EEENS1_16block_id_wrapperIjLb1EEEEEvT_jT0_jPNS7_10value_typeE
	.globl	_ZN7rocprim17ROCPRIM_400000_NS6detail31init_lookback_scan_state_kernelINS1_19lookback_scan_stateIiLb1ELb1EEENS1_16block_id_wrapperIjLb1EEEEEvT_jT0_jPNS7_10value_typeE
	.p2align	8
	.type	_ZN7rocprim17ROCPRIM_400000_NS6detail31init_lookback_scan_state_kernelINS1_19lookback_scan_stateIiLb1ELb1EEENS1_16block_id_wrapperIjLb1EEEEEvT_jT0_jPNS7_10value_typeE,@function
_ZN7rocprim17ROCPRIM_400000_NS6detail31init_lookback_scan_state_kernelINS1_19lookback_scan_stateIiLb1ELb1EEENS1_16block_id_wrapperIjLb1EEEEEvT_jT0_jPNS7_10value_typeE: ; @_ZN7rocprim17ROCPRIM_400000_NS6detail31init_lookback_scan_state_kernelINS1_19lookback_scan_stateIiLb1ELb1EEENS1_16block_id_wrapperIjLb1EEEEEvT_jT0_jPNS7_10value_typeE
; %bb.0:
	s_load_dword s7, s[4:5], 0x34
	s_load_dwordx2 s[2:3], s[4:5], 0x20
	s_load_dwordx2 s[0:1], s[4:5], 0x0
	s_load_dword s10, s[4:5], 0x8
	s_waitcnt lgkmcnt(0)
	s_and_b32 s7, s7, 0xffff
	s_mul_i32 s6, s6, s7
	s_cmp_eq_u64 s[2:3], 0
	v_add_u32_e32 v0, s6, v0
	s_cbranch_scc1 .LBB46_9
; %bb.1:
	s_load_dword s8, s[4:5], 0x18
	s_mov_b32 s9, 0
	s_waitcnt lgkmcnt(0)
	s_cmp_lt_u32 s8, s10
	s_cselect_b32 s6, s8, 0
	v_cmp_eq_u32_e32 vcc, s6, v0
	s_and_saveexec_b64 s[6:7], vcc
	s_cbranch_execz .LBB46_8
; %bb.2:
	s_add_i32 s8, s8, 64
	s_lshl_b64 s[8:9], s[8:9], 3
	s_add_u32 s8, s0, s8
	s_addc_u32 s9, s1, s9
	v_mov_b32_e32 v2, 0
	global_load_dwordx2 v[4:5], v2, s[8:9] glc
	s_waitcnt vmcnt(0)
	v_and_b32_e32 v3, 0xff, v5
	v_cmp_ne_u64_e32 vcc, 0, v[2:3]
	s_cbranch_vccnz .LBB46_7
; %bb.3:
	s_mov_b32 s11, 1
.LBB46_4:                               ; =>This Loop Header: Depth=1
                                        ;     Child Loop BB46_5 Depth 2
	s_max_u32 s12, s11, 1
.LBB46_5:                               ;   Parent Loop BB46_4 Depth=1
                                        ; =>  This Inner Loop Header: Depth=2
	s_add_i32 s12, s12, -1
	s_cmp_eq_u32 s12, 0
	s_sleep 1
	s_cbranch_scc0 .LBB46_5
; %bb.6:                                ;   in Loop: Header=BB46_4 Depth=1
	global_load_dwordx2 v[4:5], v2, s[8:9] glc
	s_cmp_lt_u32 s11, 32
	s_cselect_b64 s[12:13], -1, 0
	s_cmp_lg_u64 s[12:13], 0
	s_addc_u32 s11, s11, 0
	s_waitcnt vmcnt(0)
	v_and_b32_e32 v3, 0xff, v5
	v_cmp_ne_u64_e32 vcc, 0, v[2:3]
	s_cbranch_vccz .LBB46_4
.LBB46_7:
	v_mov_b32_e32 v1, 0
	global_store_dword v1, v4, s[2:3]
.LBB46_8:
	s_or_b64 exec, exec, s[6:7]
.LBB46_9:
	v_cmp_eq_u32_e32 vcc, 0, v0
	s_and_saveexec_b64 s[2:3], vcc
	s_cbranch_execnz .LBB46_13
; %bb.10:
	s_or_b64 exec, exec, s[2:3]
	v_cmp_gt_u32_e32 vcc, s10, v0
	s_and_saveexec_b64 s[2:3], vcc
	s_cbranch_execnz .LBB46_14
.LBB46_11:
	s_or_b64 exec, exec, s[2:3]
	v_cmp_gt_u32_e32 vcc, 64, v0
	s_and_saveexec_b64 s[2:3], vcc
	s_cbranch_execnz .LBB46_15
.LBB46_12:
	s_endpgm
.LBB46_13:
	s_load_dwordx2 s[4:5], s[4:5], 0x10
	v_mov_b32_e32 v1, 0
	s_waitcnt lgkmcnt(0)
	global_store_dword v1, v1, s[4:5]
	s_or_b64 exec, exec, s[2:3]
	v_cmp_gt_u32_e32 vcc, s10, v0
	s_and_saveexec_b64 s[2:3], vcc
	s_cbranch_execz .LBB46_11
.LBB46_14:
	v_add_u32_e32 v2, 64, v0
	v_mov_b32_e32 v3, 0
	v_lshlrev_b64 v[4:5], 3, v[2:3]
	v_mov_b32_e32 v1, s1
	v_add_co_u32_e32 v4, vcc, s0, v4
	v_addc_co_u32_e32 v5, vcc, v1, v5, vcc
	v_mov_b32_e32 v2, v3
	global_store_dwordx2 v[4:5], v[2:3], off
	s_or_b64 exec, exec, s[2:3]
	v_cmp_gt_u32_e32 vcc, 64, v0
	s_and_saveexec_b64 s[2:3], vcc
	s_cbranch_execz .LBB46_12
.LBB46_15:
	v_mov_b32_e32 v1, 0
	v_lshlrev_b64 v[2:3], 3, v[0:1]
	v_mov_b32_e32 v0, s1
	v_add_co_u32_e32 v2, vcc, s0, v2
	v_addc_co_u32_e32 v3, vcc, v0, v3, vcc
	v_mov_b32_e32 v5, 0xff
	v_mov_b32_e32 v4, v1
	global_store_dwordx2 v[2:3], v[4:5], off
	s_endpgm
	.section	.rodata,"a",@progbits
	.p2align	6, 0x0
	.amdhsa_kernel _ZN7rocprim17ROCPRIM_400000_NS6detail31init_lookback_scan_state_kernelINS1_19lookback_scan_stateIiLb1ELb1EEENS1_16block_id_wrapperIjLb1EEEEEvT_jT0_jPNS7_10value_typeE
		.amdhsa_group_segment_fixed_size 0
		.amdhsa_private_segment_fixed_size 0
		.amdhsa_kernarg_size 296
		.amdhsa_user_sgpr_count 6
		.amdhsa_user_sgpr_private_segment_buffer 1
		.amdhsa_user_sgpr_dispatch_ptr 0
		.amdhsa_user_sgpr_queue_ptr 0
		.amdhsa_user_sgpr_kernarg_segment_ptr 1
		.amdhsa_user_sgpr_dispatch_id 0
		.amdhsa_user_sgpr_flat_scratch_init 0
		.amdhsa_user_sgpr_kernarg_preload_length 0
		.amdhsa_user_sgpr_kernarg_preload_offset 0
		.amdhsa_user_sgpr_private_segment_size 0
		.amdhsa_uses_dynamic_stack 0
		.amdhsa_system_sgpr_private_segment_wavefront_offset 0
		.amdhsa_system_sgpr_workgroup_id_x 1
		.amdhsa_system_sgpr_workgroup_id_y 0
		.amdhsa_system_sgpr_workgroup_id_z 0
		.amdhsa_system_sgpr_workgroup_info 0
		.amdhsa_system_vgpr_workitem_id 0
		.amdhsa_next_free_vgpr 6
		.amdhsa_next_free_sgpr 14
		.amdhsa_accum_offset 8
		.amdhsa_reserve_vcc 1
		.amdhsa_reserve_flat_scratch 0
		.amdhsa_float_round_mode_32 0
		.amdhsa_float_round_mode_16_64 0
		.amdhsa_float_denorm_mode_32 3
		.amdhsa_float_denorm_mode_16_64 3
		.amdhsa_dx10_clamp 1
		.amdhsa_ieee_mode 1
		.amdhsa_fp16_overflow 0
		.amdhsa_tg_split 0
		.amdhsa_exception_fp_ieee_invalid_op 0
		.amdhsa_exception_fp_denorm_src 0
		.amdhsa_exception_fp_ieee_div_zero 0
		.amdhsa_exception_fp_ieee_overflow 0
		.amdhsa_exception_fp_ieee_underflow 0
		.amdhsa_exception_fp_ieee_inexact 0
		.amdhsa_exception_int_div_zero 0
	.end_amdhsa_kernel
	.section	.text._ZN7rocprim17ROCPRIM_400000_NS6detail31init_lookback_scan_state_kernelINS1_19lookback_scan_stateIiLb1ELb1EEENS1_16block_id_wrapperIjLb1EEEEEvT_jT0_jPNS7_10value_typeE,"axG",@progbits,_ZN7rocprim17ROCPRIM_400000_NS6detail31init_lookback_scan_state_kernelINS1_19lookback_scan_stateIiLb1ELb1EEENS1_16block_id_wrapperIjLb1EEEEEvT_jT0_jPNS7_10value_typeE,comdat
.Lfunc_end46:
	.size	_ZN7rocprim17ROCPRIM_400000_NS6detail31init_lookback_scan_state_kernelINS1_19lookback_scan_stateIiLb1ELb1EEENS1_16block_id_wrapperIjLb1EEEEEvT_jT0_jPNS7_10value_typeE, .Lfunc_end46-_ZN7rocprim17ROCPRIM_400000_NS6detail31init_lookback_scan_state_kernelINS1_19lookback_scan_stateIiLb1ELb1EEENS1_16block_id_wrapperIjLb1EEEEEvT_jT0_jPNS7_10value_typeE
                                        ; -- End function
	.section	.AMDGPU.csdata,"",@progbits
; Kernel info:
; codeLenInByte = 420
; NumSgprs: 18
; NumVgprs: 6
; NumAgprs: 0
; TotalNumVgprs: 6
; ScratchSize: 0
; MemoryBound: 0
; FloatMode: 240
; IeeeMode: 1
; LDSByteSize: 0 bytes/workgroup (compile time only)
; SGPRBlocks: 2
; VGPRBlocks: 0
; NumSGPRsForWavesPerEU: 18
; NumVGPRsForWavesPerEU: 6
; AccumOffset: 8
; Occupancy: 8
; WaveLimiterHint : 0
; COMPUTE_PGM_RSRC2:SCRATCH_EN: 0
; COMPUTE_PGM_RSRC2:USER_SGPR: 6
; COMPUTE_PGM_RSRC2:TRAP_HANDLER: 0
; COMPUTE_PGM_RSRC2:TGID_X_EN: 1
; COMPUTE_PGM_RSRC2:TGID_Y_EN: 0
; COMPUTE_PGM_RSRC2:TGID_Z_EN: 0
; COMPUTE_PGM_RSRC2:TIDIG_COMP_CNT: 0
; COMPUTE_PGM_RSRC3_GFX90A:ACCUM_OFFSET: 1
; COMPUTE_PGM_RSRC3_GFX90A:TG_SPLIT: 0
	.section	.text._ZN7rocprim17ROCPRIM_400000_NS6detail17trampoline_kernelINS0_14default_configENS1_20scan_config_selectorIiEEZZNS1_9scan_implILNS1_25lookback_scan_determinismE0ELb0ELb0ES3_PiS8_iN6thrust23THRUST_200600_302600_NS4plusIvEEiEEDaPvRmT3_T4_T5_mT6_P12ihipStream_tbENKUlT_T0_E_clISt17integral_constantIbLb1EESQ_EEDaSL_SM_EUlSL_E_NS1_11comp_targetILNS1_3genE0ELNS1_11target_archE4294967295ELNS1_3gpuE0ELNS1_3repE0EEENS1_30default_config_static_selectorELNS0_4arch9wavefront6targetE1EEEvT1_,"axG",@progbits,_ZN7rocprim17ROCPRIM_400000_NS6detail17trampoline_kernelINS0_14default_configENS1_20scan_config_selectorIiEEZZNS1_9scan_implILNS1_25lookback_scan_determinismE0ELb0ELb0ES3_PiS8_iN6thrust23THRUST_200600_302600_NS4plusIvEEiEEDaPvRmT3_T4_T5_mT6_P12ihipStream_tbENKUlT_T0_E_clISt17integral_constantIbLb1EESQ_EEDaSL_SM_EUlSL_E_NS1_11comp_targetILNS1_3genE0ELNS1_11target_archE4294967295ELNS1_3gpuE0ELNS1_3repE0EEENS1_30default_config_static_selectorELNS0_4arch9wavefront6targetE1EEEvT1_,comdat
	.protected	_ZN7rocprim17ROCPRIM_400000_NS6detail17trampoline_kernelINS0_14default_configENS1_20scan_config_selectorIiEEZZNS1_9scan_implILNS1_25lookback_scan_determinismE0ELb0ELb0ES3_PiS8_iN6thrust23THRUST_200600_302600_NS4plusIvEEiEEDaPvRmT3_T4_T5_mT6_P12ihipStream_tbENKUlT_T0_E_clISt17integral_constantIbLb1EESQ_EEDaSL_SM_EUlSL_E_NS1_11comp_targetILNS1_3genE0ELNS1_11target_archE4294967295ELNS1_3gpuE0ELNS1_3repE0EEENS1_30default_config_static_selectorELNS0_4arch9wavefront6targetE1EEEvT1_ ; -- Begin function _ZN7rocprim17ROCPRIM_400000_NS6detail17trampoline_kernelINS0_14default_configENS1_20scan_config_selectorIiEEZZNS1_9scan_implILNS1_25lookback_scan_determinismE0ELb0ELb0ES3_PiS8_iN6thrust23THRUST_200600_302600_NS4plusIvEEiEEDaPvRmT3_T4_T5_mT6_P12ihipStream_tbENKUlT_T0_E_clISt17integral_constantIbLb1EESQ_EEDaSL_SM_EUlSL_E_NS1_11comp_targetILNS1_3genE0ELNS1_11target_archE4294967295ELNS1_3gpuE0ELNS1_3repE0EEENS1_30default_config_static_selectorELNS0_4arch9wavefront6targetE1EEEvT1_
	.globl	_ZN7rocprim17ROCPRIM_400000_NS6detail17trampoline_kernelINS0_14default_configENS1_20scan_config_selectorIiEEZZNS1_9scan_implILNS1_25lookback_scan_determinismE0ELb0ELb0ES3_PiS8_iN6thrust23THRUST_200600_302600_NS4plusIvEEiEEDaPvRmT3_T4_T5_mT6_P12ihipStream_tbENKUlT_T0_E_clISt17integral_constantIbLb1EESQ_EEDaSL_SM_EUlSL_E_NS1_11comp_targetILNS1_3genE0ELNS1_11target_archE4294967295ELNS1_3gpuE0ELNS1_3repE0EEENS1_30default_config_static_selectorELNS0_4arch9wavefront6targetE1EEEvT1_
	.p2align	8
	.type	_ZN7rocprim17ROCPRIM_400000_NS6detail17trampoline_kernelINS0_14default_configENS1_20scan_config_selectorIiEEZZNS1_9scan_implILNS1_25lookback_scan_determinismE0ELb0ELb0ES3_PiS8_iN6thrust23THRUST_200600_302600_NS4plusIvEEiEEDaPvRmT3_T4_T5_mT6_P12ihipStream_tbENKUlT_T0_E_clISt17integral_constantIbLb1EESQ_EEDaSL_SM_EUlSL_E_NS1_11comp_targetILNS1_3genE0ELNS1_11target_archE4294967295ELNS1_3gpuE0ELNS1_3repE0EEENS1_30default_config_static_selectorELNS0_4arch9wavefront6targetE1EEEvT1_,@function
_ZN7rocprim17ROCPRIM_400000_NS6detail17trampoline_kernelINS0_14default_configENS1_20scan_config_selectorIiEEZZNS1_9scan_implILNS1_25lookback_scan_determinismE0ELb0ELb0ES3_PiS8_iN6thrust23THRUST_200600_302600_NS4plusIvEEiEEDaPvRmT3_T4_T5_mT6_P12ihipStream_tbENKUlT_T0_E_clISt17integral_constantIbLb1EESQ_EEDaSL_SM_EUlSL_E_NS1_11comp_targetILNS1_3genE0ELNS1_11target_archE4294967295ELNS1_3gpuE0ELNS1_3repE0EEENS1_30default_config_static_selectorELNS0_4arch9wavefront6targetE1EEEvT1_: ; @_ZN7rocprim17ROCPRIM_400000_NS6detail17trampoline_kernelINS0_14default_configENS1_20scan_config_selectorIiEEZZNS1_9scan_implILNS1_25lookback_scan_determinismE0ELb0ELb0ES3_PiS8_iN6thrust23THRUST_200600_302600_NS4plusIvEEiEEDaPvRmT3_T4_T5_mT6_P12ihipStream_tbENKUlT_T0_E_clISt17integral_constantIbLb1EESQ_EEDaSL_SM_EUlSL_E_NS1_11comp_targetILNS1_3genE0ELNS1_11target_archE4294967295ELNS1_3gpuE0ELNS1_3repE0EEENS1_30default_config_static_selectorELNS0_4arch9wavefront6targetE1EEEvT1_
; %bb.0:
	.section	.rodata,"a",@progbits
	.p2align	6, 0x0
	.amdhsa_kernel _ZN7rocprim17ROCPRIM_400000_NS6detail17trampoline_kernelINS0_14default_configENS1_20scan_config_selectorIiEEZZNS1_9scan_implILNS1_25lookback_scan_determinismE0ELb0ELb0ES3_PiS8_iN6thrust23THRUST_200600_302600_NS4plusIvEEiEEDaPvRmT3_T4_T5_mT6_P12ihipStream_tbENKUlT_T0_E_clISt17integral_constantIbLb1EESQ_EEDaSL_SM_EUlSL_E_NS1_11comp_targetILNS1_3genE0ELNS1_11target_archE4294967295ELNS1_3gpuE0ELNS1_3repE0EEENS1_30default_config_static_selectorELNS0_4arch9wavefront6targetE1EEEvT1_
		.amdhsa_group_segment_fixed_size 0
		.amdhsa_private_segment_fixed_size 0
		.amdhsa_kernarg_size 96
		.amdhsa_user_sgpr_count 6
		.amdhsa_user_sgpr_private_segment_buffer 1
		.amdhsa_user_sgpr_dispatch_ptr 0
		.amdhsa_user_sgpr_queue_ptr 0
		.amdhsa_user_sgpr_kernarg_segment_ptr 1
		.amdhsa_user_sgpr_dispatch_id 0
		.amdhsa_user_sgpr_flat_scratch_init 0
		.amdhsa_user_sgpr_kernarg_preload_length 0
		.amdhsa_user_sgpr_kernarg_preload_offset 0
		.amdhsa_user_sgpr_private_segment_size 0
		.amdhsa_uses_dynamic_stack 0
		.amdhsa_system_sgpr_private_segment_wavefront_offset 0
		.amdhsa_system_sgpr_workgroup_id_x 1
		.amdhsa_system_sgpr_workgroup_id_y 0
		.amdhsa_system_sgpr_workgroup_id_z 0
		.amdhsa_system_sgpr_workgroup_info 0
		.amdhsa_system_vgpr_workitem_id 0
		.amdhsa_next_free_vgpr 1
		.amdhsa_next_free_sgpr 0
		.amdhsa_accum_offset 4
		.amdhsa_reserve_vcc 0
		.amdhsa_reserve_flat_scratch 0
		.amdhsa_float_round_mode_32 0
		.amdhsa_float_round_mode_16_64 0
		.amdhsa_float_denorm_mode_32 3
		.amdhsa_float_denorm_mode_16_64 3
		.amdhsa_dx10_clamp 1
		.amdhsa_ieee_mode 1
		.amdhsa_fp16_overflow 0
		.amdhsa_tg_split 0
		.amdhsa_exception_fp_ieee_invalid_op 0
		.amdhsa_exception_fp_denorm_src 0
		.amdhsa_exception_fp_ieee_div_zero 0
		.amdhsa_exception_fp_ieee_overflow 0
		.amdhsa_exception_fp_ieee_underflow 0
		.amdhsa_exception_fp_ieee_inexact 0
		.amdhsa_exception_int_div_zero 0
	.end_amdhsa_kernel
	.section	.text._ZN7rocprim17ROCPRIM_400000_NS6detail17trampoline_kernelINS0_14default_configENS1_20scan_config_selectorIiEEZZNS1_9scan_implILNS1_25lookback_scan_determinismE0ELb0ELb0ES3_PiS8_iN6thrust23THRUST_200600_302600_NS4plusIvEEiEEDaPvRmT3_T4_T5_mT6_P12ihipStream_tbENKUlT_T0_E_clISt17integral_constantIbLb1EESQ_EEDaSL_SM_EUlSL_E_NS1_11comp_targetILNS1_3genE0ELNS1_11target_archE4294967295ELNS1_3gpuE0ELNS1_3repE0EEENS1_30default_config_static_selectorELNS0_4arch9wavefront6targetE1EEEvT1_,"axG",@progbits,_ZN7rocprim17ROCPRIM_400000_NS6detail17trampoline_kernelINS0_14default_configENS1_20scan_config_selectorIiEEZZNS1_9scan_implILNS1_25lookback_scan_determinismE0ELb0ELb0ES3_PiS8_iN6thrust23THRUST_200600_302600_NS4plusIvEEiEEDaPvRmT3_T4_T5_mT6_P12ihipStream_tbENKUlT_T0_E_clISt17integral_constantIbLb1EESQ_EEDaSL_SM_EUlSL_E_NS1_11comp_targetILNS1_3genE0ELNS1_11target_archE4294967295ELNS1_3gpuE0ELNS1_3repE0EEENS1_30default_config_static_selectorELNS0_4arch9wavefront6targetE1EEEvT1_,comdat
.Lfunc_end47:
	.size	_ZN7rocprim17ROCPRIM_400000_NS6detail17trampoline_kernelINS0_14default_configENS1_20scan_config_selectorIiEEZZNS1_9scan_implILNS1_25lookback_scan_determinismE0ELb0ELb0ES3_PiS8_iN6thrust23THRUST_200600_302600_NS4plusIvEEiEEDaPvRmT3_T4_T5_mT6_P12ihipStream_tbENKUlT_T0_E_clISt17integral_constantIbLb1EESQ_EEDaSL_SM_EUlSL_E_NS1_11comp_targetILNS1_3genE0ELNS1_11target_archE4294967295ELNS1_3gpuE0ELNS1_3repE0EEENS1_30default_config_static_selectorELNS0_4arch9wavefront6targetE1EEEvT1_, .Lfunc_end47-_ZN7rocprim17ROCPRIM_400000_NS6detail17trampoline_kernelINS0_14default_configENS1_20scan_config_selectorIiEEZZNS1_9scan_implILNS1_25lookback_scan_determinismE0ELb0ELb0ES3_PiS8_iN6thrust23THRUST_200600_302600_NS4plusIvEEiEEDaPvRmT3_T4_T5_mT6_P12ihipStream_tbENKUlT_T0_E_clISt17integral_constantIbLb1EESQ_EEDaSL_SM_EUlSL_E_NS1_11comp_targetILNS1_3genE0ELNS1_11target_archE4294967295ELNS1_3gpuE0ELNS1_3repE0EEENS1_30default_config_static_selectorELNS0_4arch9wavefront6targetE1EEEvT1_
                                        ; -- End function
	.section	.AMDGPU.csdata,"",@progbits
; Kernel info:
; codeLenInByte = 0
; NumSgprs: 4
; NumVgprs: 0
; NumAgprs: 0
; TotalNumVgprs: 0
; ScratchSize: 0
; MemoryBound: 0
; FloatMode: 240
; IeeeMode: 1
; LDSByteSize: 0 bytes/workgroup (compile time only)
; SGPRBlocks: 0
; VGPRBlocks: 0
; NumSGPRsForWavesPerEU: 4
; NumVGPRsForWavesPerEU: 1
; AccumOffset: 4
; Occupancy: 8
; WaveLimiterHint : 0
; COMPUTE_PGM_RSRC2:SCRATCH_EN: 0
; COMPUTE_PGM_RSRC2:USER_SGPR: 6
; COMPUTE_PGM_RSRC2:TRAP_HANDLER: 0
; COMPUTE_PGM_RSRC2:TGID_X_EN: 1
; COMPUTE_PGM_RSRC2:TGID_Y_EN: 0
; COMPUTE_PGM_RSRC2:TGID_Z_EN: 0
; COMPUTE_PGM_RSRC2:TIDIG_COMP_CNT: 0
; COMPUTE_PGM_RSRC3_GFX90A:ACCUM_OFFSET: 0
; COMPUTE_PGM_RSRC3_GFX90A:TG_SPLIT: 0
	.section	.text._ZN7rocprim17ROCPRIM_400000_NS6detail17trampoline_kernelINS0_14default_configENS1_20scan_config_selectorIiEEZZNS1_9scan_implILNS1_25lookback_scan_determinismE0ELb0ELb0ES3_PiS8_iN6thrust23THRUST_200600_302600_NS4plusIvEEiEEDaPvRmT3_T4_T5_mT6_P12ihipStream_tbENKUlT_T0_E_clISt17integral_constantIbLb1EESQ_EEDaSL_SM_EUlSL_E_NS1_11comp_targetILNS1_3genE5ELNS1_11target_archE942ELNS1_3gpuE9ELNS1_3repE0EEENS1_30default_config_static_selectorELNS0_4arch9wavefront6targetE1EEEvT1_,"axG",@progbits,_ZN7rocprim17ROCPRIM_400000_NS6detail17trampoline_kernelINS0_14default_configENS1_20scan_config_selectorIiEEZZNS1_9scan_implILNS1_25lookback_scan_determinismE0ELb0ELb0ES3_PiS8_iN6thrust23THRUST_200600_302600_NS4plusIvEEiEEDaPvRmT3_T4_T5_mT6_P12ihipStream_tbENKUlT_T0_E_clISt17integral_constantIbLb1EESQ_EEDaSL_SM_EUlSL_E_NS1_11comp_targetILNS1_3genE5ELNS1_11target_archE942ELNS1_3gpuE9ELNS1_3repE0EEENS1_30default_config_static_selectorELNS0_4arch9wavefront6targetE1EEEvT1_,comdat
	.protected	_ZN7rocprim17ROCPRIM_400000_NS6detail17trampoline_kernelINS0_14default_configENS1_20scan_config_selectorIiEEZZNS1_9scan_implILNS1_25lookback_scan_determinismE0ELb0ELb0ES3_PiS8_iN6thrust23THRUST_200600_302600_NS4plusIvEEiEEDaPvRmT3_T4_T5_mT6_P12ihipStream_tbENKUlT_T0_E_clISt17integral_constantIbLb1EESQ_EEDaSL_SM_EUlSL_E_NS1_11comp_targetILNS1_3genE5ELNS1_11target_archE942ELNS1_3gpuE9ELNS1_3repE0EEENS1_30default_config_static_selectorELNS0_4arch9wavefront6targetE1EEEvT1_ ; -- Begin function _ZN7rocprim17ROCPRIM_400000_NS6detail17trampoline_kernelINS0_14default_configENS1_20scan_config_selectorIiEEZZNS1_9scan_implILNS1_25lookback_scan_determinismE0ELb0ELb0ES3_PiS8_iN6thrust23THRUST_200600_302600_NS4plusIvEEiEEDaPvRmT3_T4_T5_mT6_P12ihipStream_tbENKUlT_T0_E_clISt17integral_constantIbLb1EESQ_EEDaSL_SM_EUlSL_E_NS1_11comp_targetILNS1_3genE5ELNS1_11target_archE942ELNS1_3gpuE9ELNS1_3repE0EEENS1_30default_config_static_selectorELNS0_4arch9wavefront6targetE1EEEvT1_
	.globl	_ZN7rocprim17ROCPRIM_400000_NS6detail17trampoline_kernelINS0_14default_configENS1_20scan_config_selectorIiEEZZNS1_9scan_implILNS1_25lookback_scan_determinismE0ELb0ELb0ES3_PiS8_iN6thrust23THRUST_200600_302600_NS4plusIvEEiEEDaPvRmT3_T4_T5_mT6_P12ihipStream_tbENKUlT_T0_E_clISt17integral_constantIbLb1EESQ_EEDaSL_SM_EUlSL_E_NS1_11comp_targetILNS1_3genE5ELNS1_11target_archE942ELNS1_3gpuE9ELNS1_3repE0EEENS1_30default_config_static_selectorELNS0_4arch9wavefront6targetE1EEEvT1_
	.p2align	8
	.type	_ZN7rocprim17ROCPRIM_400000_NS6detail17trampoline_kernelINS0_14default_configENS1_20scan_config_selectorIiEEZZNS1_9scan_implILNS1_25lookback_scan_determinismE0ELb0ELb0ES3_PiS8_iN6thrust23THRUST_200600_302600_NS4plusIvEEiEEDaPvRmT3_T4_T5_mT6_P12ihipStream_tbENKUlT_T0_E_clISt17integral_constantIbLb1EESQ_EEDaSL_SM_EUlSL_E_NS1_11comp_targetILNS1_3genE5ELNS1_11target_archE942ELNS1_3gpuE9ELNS1_3repE0EEENS1_30default_config_static_selectorELNS0_4arch9wavefront6targetE1EEEvT1_,@function
_ZN7rocprim17ROCPRIM_400000_NS6detail17trampoline_kernelINS0_14default_configENS1_20scan_config_selectorIiEEZZNS1_9scan_implILNS1_25lookback_scan_determinismE0ELb0ELb0ES3_PiS8_iN6thrust23THRUST_200600_302600_NS4plusIvEEiEEDaPvRmT3_T4_T5_mT6_P12ihipStream_tbENKUlT_T0_E_clISt17integral_constantIbLb1EESQ_EEDaSL_SM_EUlSL_E_NS1_11comp_targetILNS1_3genE5ELNS1_11target_archE942ELNS1_3gpuE9ELNS1_3repE0EEENS1_30default_config_static_selectorELNS0_4arch9wavefront6targetE1EEEvT1_: ; @_ZN7rocprim17ROCPRIM_400000_NS6detail17trampoline_kernelINS0_14default_configENS1_20scan_config_selectorIiEEZZNS1_9scan_implILNS1_25lookback_scan_determinismE0ELb0ELb0ES3_PiS8_iN6thrust23THRUST_200600_302600_NS4plusIvEEiEEDaPvRmT3_T4_T5_mT6_P12ihipStream_tbENKUlT_T0_E_clISt17integral_constantIbLb1EESQ_EEDaSL_SM_EUlSL_E_NS1_11comp_targetILNS1_3genE5ELNS1_11target_archE942ELNS1_3gpuE9ELNS1_3repE0EEENS1_30default_config_static_selectorELNS0_4arch9wavefront6targetE1EEEvT1_
; %bb.0:
	.section	.rodata,"a",@progbits
	.p2align	6, 0x0
	.amdhsa_kernel _ZN7rocprim17ROCPRIM_400000_NS6detail17trampoline_kernelINS0_14default_configENS1_20scan_config_selectorIiEEZZNS1_9scan_implILNS1_25lookback_scan_determinismE0ELb0ELb0ES3_PiS8_iN6thrust23THRUST_200600_302600_NS4plusIvEEiEEDaPvRmT3_T4_T5_mT6_P12ihipStream_tbENKUlT_T0_E_clISt17integral_constantIbLb1EESQ_EEDaSL_SM_EUlSL_E_NS1_11comp_targetILNS1_3genE5ELNS1_11target_archE942ELNS1_3gpuE9ELNS1_3repE0EEENS1_30default_config_static_selectorELNS0_4arch9wavefront6targetE1EEEvT1_
		.amdhsa_group_segment_fixed_size 0
		.amdhsa_private_segment_fixed_size 0
		.amdhsa_kernarg_size 96
		.amdhsa_user_sgpr_count 6
		.amdhsa_user_sgpr_private_segment_buffer 1
		.amdhsa_user_sgpr_dispatch_ptr 0
		.amdhsa_user_sgpr_queue_ptr 0
		.amdhsa_user_sgpr_kernarg_segment_ptr 1
		.amdhsa_user_sgpr_dispatch_id 0
		.amdhsa_user_sgpr_flat_scratch_init 0
		.amdhsa_user_sgpr_kernarg_preload_length 0
		.amdhsa_user_sgpr_kernarg_preload_offset 0
		.amdhsa_user_sgpr_private_segment_size 0
		.amdhsa_uses_dynamic_stack 0
		.amdhsa_system_sgpr_private_segment_wavefront_offset 0
		.amdhsa_system_sgpr_workgroup_id_x 1
		.amdhsa_system_sgpr_workgroup_id_y 0
		.amdhsa_system_sgpr_workgroup_id_z 0
		.amdhsa_system_sgpr_workgroup_info 0
		.amdhsa_system_vgpr_workitem_id 0
		.amdhsa_next_free_vgpr 1
		.amdhsa_next_free_sgpr 0
		.amdhsa_accum_offset 4
		.amdhsa_reserve_vcc 0
		.amdhsa_reserve_flat_scratch 0
		.amdhsa_float_round_mode_32 0
		.amdhsa_float_round_mode_16_64 0
		.amdhsa_float_denorm_mode_32 3
		.amdhsa_float_denorm_mode_16_64 3
		.amdhsa_dx10_clamp 1
		.amdhsa_ieee_mode 1
		.amdhsa_fp16_overflow 0
		.amdhsa_tg_split 0
		.amdhsa_exception_fp_ieee_invalid_op 0
		.amdhsa_exception_fp_denorm_src 0
		.amdhsa_exception_fp_ieee_div_zero 0
		.amdhsa_exception_fp_ieee_overflow 0
		.amdhsa_exception_fp_ieee_underflow 0
		.amdhsa_exception_fp_ieee_inexact 0
		.amdhsa_exception_int_div_zero 0
	.end_amdhsa_kernel
	.section	.text._ZN7rocprim17ROCPRIM_400000_NS6detail17trampoline_kernelINS0_14default_configENS1_20scan_config_selectorIiEEZZNS1_9scan_implILNS1_25lookback_scan_determinismE0ELb0ELb0ES3_PiS8_iN6thrust23THRUST_200600_302600_NS4plusIvEEiEEDaPvRmT3_T4_T5_mT6_P12ihipStream_tbENKUlT_T0_E_clISt17integral_constantIbLb1EESQ_EEDaSL_SM_EUlSL_E_NS1_11comp_targetILNS1_3genE5ELNS1_11target_archE942ELNS1_3gpuE9ELNS1_3repE0EEENS1_30default_config_static_selectorELNS0_4arch9wavefront6targetE1EEEvT1_,"axG",@progbits,_ZN7rocprim17ROCPRIM_400000_NS6detail17trampoline_kernelINS0_14default_configENS1_20scan_config_selectorIiEEZZNS1_9scan_implILNS1_25lookback_scan_determinismE0ELb0ELb0ES3_PiS8_iN6thrust23THRUST_200600_302600_NS4plusIvEEiEEDaPvRmT3_T4_T5_mT6_P12ihipStream_tbENKUlT_T0_E_clISt17integral_constantIbLb1EESQ_EEDaSL_SM_EUlSL_E_NS1_11comp_targetILNS1_3genE5ELNS1_11target_archE942ELNS1_3gpuE9ELNS1_3repE0EEENS1_30default_config_static_selectorELNS0_4arch9wavefront6targetE1EEEvT1_,comdat
.Lfunc_end48:
	.size	_ZN7rocprim17ROCPRIM_400000_NS6detail17trampoline_kernelINS0_14default_configENS1_20scan_config_selectorIiEEZZNS1_9scan_implILNS1_25lookback_scan_determinismE0ELb0ELb0ES3_PiS8_iN6thrust23THRUST_200600_302600_NS4plusIvEEiEEDaPvRmT3_T4_T5_mT6_P12ihipStream_tbENKUlT_T0_E_clISt17integral_constantIbLb1EESQ_EEDaSL_SM_EUlSL_E_NS1_11comp_targetILNS1_3genE5ELNS1_11target_archE942ELNS1_3gpuE9ELNS1_3repE0EEENS1_30default_config_static_selectorELNS0_4arch9wavefront6targetE1EEEvT1_, .Lfunc_end48-_ZN7rocprim17ROCPRIM_400000_NS6detail17trampoline_kernelINS0_14default_configENS1_20scan_config_selectorIiEEZZNS1_9scan_implILNS1_25lookback_scan_determinismE0ELb0ELb0ES3_PiS8_iN6thrust23THRUST_200600_302600_NS4plusIvEEiEEDaPvRmT3_T4_T5_mT6_P12ihipStream_tbENKUlT_T0_E_clISt17integral_constantIbLb1EESQ_EEDaSL_SM_EUlSL_E_NS1_11comp_targetILNS1_3genE5ELNS1_11target_archE942ELNS1_3gpuE9ELNS1_3repE0EEENS1_30default_config_static_selectorELNS0_4arch9wavefront6targetE1EEEvT1_
                                        ; -- End function
	.section	.AMDGPU.csdata,"",@progbits
; Kernel info:
; codeLenInByte = 0
; NumSgprs: 4
; NumVgprs: 0
; NumAgprs: 0
; TotalNumVgprs: 0
; ScratchSize: 0
; MemoryBound: 0
; FloatMode: 240
; IeeeMode: 1
; LDSByteSize: 0 bytes/workgroup (compile time only)
; SGPRBlocks: 0
; VGPRBlocks: 0
; NumSGPRsForWavesPerEU: 4
; NumVGPRsForWavesPerEU: 1
; AccumOffset: 4
; Occupancy: 8
; WaveLimiterHint : 0
; COMPUTE_PGM_RSRC2:SCRATCH_EN: 0
; COMPUTE_PGM_RSRC2:USER_SGPR: 6
; COMPUTE_PGM_RSRC2:TRAP_HANDLER: 0
; COMPUTE_PGM_RSRC2:TGID_X_EN: 1
; COMPUTE_PGM_RSRC2:TGID_Y_EN: 0
; COMPUTE_PGM_RSRC2:TGID_Z_EN: 0
; COMPUTE_PGM_RSRC2:TIDIG_COMP_CNT: 0
; COMPUTE_PGM_RSRC3_GFX90A:ACCUM_OFFSET: 0
; COMPUTE_PGM_RSRC3_GFX90A:TG_SPLIT: 0
	.section	.text._ZN7rocprim17ROCPRIM_400000_NS6detail17trampoline_kernelINS0_14default_configENS1_20scan_config_selectorIiEEZZNS1_9scan_implILNS1_25lookback_scan_determinismE0ELb0ELb0ES3_PiS8_iN6thrust23THRUST_200600_302600_NS4plusIvEEiEEDaPvRmT3_T4_T5_mT6_P12ihipStream_tbENKUlT_T0_E_clISt17integral_constantIbLb1EESQ_EEDaSL_SM_EUlSL_E_NS1_11comp_targetILNS1_3genE4ELNS1_11target_archE910ELNS1_3gpuE8ELNS1_3repE0EEENS1_30default_config_static_selectorELNS0_4arch9wavefront6targetE1EEEvT1_,"axG",@progbits,_ZN7rocprim17ROCPRIM_400000_NS6detail17trampoline_kernelINS0_14default_configENS1_20scan_config_selectorIiEEZZNS1_9scan_implILNS1_25lookback_scan_determinismE0ELb0ELb0ES3_PiS8_iN6thrust23THRUST_200600_302600_NS4plusIvEEiEEDaPvRmT3_T4_T5_mT6_P12ihipStream_tbENKUlT_T0_E_clISt17integral_constantIbLb1EESQ_EEDaSL_SM_EUlSL_E_NS1_11comp_targetILNS1_3genE4ELNS1_11target_archE910ELNS1_3gpuE8ELNS1_3repE0EEENS1_30default_config_static_selectorELNS0_4arch9wavefront6targetE1EEEvT1_,comdat
	.protected	_ZN7rocprim17ROCPRIM_400000_NS6detail17trampoline_kernelINS0_14default_configENS1_20scan_config_selectorIiEEZZNS1_9scan_implILNS1_25lookback_scan_determinismE0ELb0ELb0ES3_PiS8_iN6thrust23THRUST_200600_302600_NS4plusIvEEiEEDaPvRmT3_T4_T5_mT6_P12ihipStream_tbENKUlT_T0_E_clISt17integral_constantIbLb1EESQ_EEDaSL_SM_EUlSL_E_NS1_11comp_targetILNS1_3genE4ELNS1_11target_archE910ELNS1_3gpuE8ELNS1_3repE0EEENS1_30default_config_static_selectorELNS0_4arch9wavefront6targetE1EEEvT1_ ; -- Begin function _ZN7rocprim17ROCPRIM_400000_NS6detail17trampoline_kernelINS0_14default_configENS1_20scan_config_selectorIiEEZZNS1_9scan_implILNS1_25lookback_scan_determinismE0ELb0ELb0ES3_PiS8_iN6thrust23THRUST_200600_302600_NS4plusIvEEiEEDaPvRmT3_T4_T5_mT6_P12ihipStream_tbENKUlT_T0_E_clISt17integral_constantIbLb1EESQ_EEDaSL_SM_EUlSL_E_NS1_11comp_targetILNS1_3genE4ELNS1_11target_archE910ELNS1_3gpuE8ELNS1_3repE0EEENS1_30default_config_static_selectorELNS0_4arch9wavefront6targetE1EEEvT1_
	.globl	_ZN7rocprim17ROCPRIM_400000_NS6detail17trampoline_kernelINS0_14default_configENS1_20scan_config_selectorIiEEZZNS1_9scan_implILNS1_25lookback_scan_determinismE0ELb0ELb0ES3_PiS8_iN6thrust23THRUST_200600_302600_NS4plusIvEEiEEDaPvRmT3_T4_T5_mT6_P12ihipStream_tbENKUlT_T0_E_clISt17integral_constantIbLb1EESQ_EEDaSL_SM_EUlSL_E_NS1_11comp_targetILNS1_3genE4ELNS1_11target_archE910ELNS1_3gpuE8ELNS1_3repE0EEENS1_30default_config_static_selectorELNS0_4arch9wavefront6targetE1EEEvT1_
	.p2align	8
	.type	_ZN7rocprim17ROCPRIM_400000_NS6detail17trampoline_kernelINS0_14default_configENS1_20scan_config_selectorIiEEZZNS1_9scan_implILNS1_25lookback_scan_determinismE0ELb0ELb0ES3_PiS8_iN6thrust23THRUST_200600_302600_NS4plusIvEEiEEDaPvRmT3_T4_T5_mT6_P12ihipStream_tbENKUlT_T0_E_clISt17integral_constantIbLb1EESQ_EEDaSL_SM_EUlSL_E_NS1_11comp_targetILNS1_3genE4ELNS1_11target_archE910ELNS1_3gpuE8ELNS1_3repE0EEENS1_30default_config_static_selectorELNS0_4arch9wavefront6targetE1EEEvT1_,@function
_ZN7rocprim17ROCPRIM_400000_NS6detail17trampoline_kernelINS0_14default_configENS1_20scan_config_selectorIiEEZZNS1_9scan_implILNS1_25lookback_scan_determinismE0ELb0ELb0ES3_PiS8_iN6thrust23THRUST_200600_302600_NS4plusIvEEiEEDaPvRmT3_T4_T5_mT6_P12ihipStream_tbENKUlT_T0_E_clISt17integral_constantIbLb1EESQ_EEDaSL_SM_EUlSL_E_NS1_11comp_targetILNS1_3genE4ELNS1_11target_archE910ELNS1_3gpuE8ELNS1_3repE0EEENS1_30default_config_static_selectorELNS0_4arch9wavefront6targetE1EEEvT1_: ; @_ZN7rocprim17ROCPRIM_400000_NS6detail17trampoline_kernelINS0_14default_configENS1_20scan_config_selectorIiEEZZNS1_9scan_implILNS1_25lookback_scan_determinismE0ELb0ELb0ES3_PiS8_iN6thrust23THRUST_200600_302600_NS4plusIvEEiEEDaPvRmT3_T4_T5_mT6_P12ihipStream_tbENKUlT_T0_E_clISt17integral_constantIbLb1EESQ_EEDaSL_SM_EUlSL_E_NS1_11comp_targetILNS1_3genE4ELNS1_11target_archE910ELNS1_3gpuE8ELNS1_3repE0EEENS1_30default_config_static_selectorELNS0_4arch9wavefront6targetE1EEEvT1_
; %bb.0:
	s_load_dwordx2 s[6:7], s[4:5], 0x28
	v_cmp_ne_u32_e64 s[0:1], 0, v0
	v_cmp_eq_u32_e64 s[2:3], 0, v0
	s_and_saveexec_b64 s[8:9], s[2:3]
	s_cbranch_execz .LBB49_4
; %bb.1:
	s_mov_b64 s[12:13], exec
	v_mbcnt_lo_u32_b32 v1, s12, 0
	v_mbcnt_hi_u32_b32 v1, s13, v1
	v_cmp_eq_u32_e32 vcc, 0, v1
                                        ; implicit-def: $vgpr2
	s_and_saveexec_b64 s[10:11], vcc
	s_cbranch_execz .LBB49_3
; %bb.2:
	s_load_dwordx2 s[14:15], s[4:5], 0x58
	s_bcnt1_i32_b64 s12, s[12:13]
	v_mov_b32_e32 v2, 0
	v_mov_b32_e32 v3, s12
	s_waitcnt lgkmcnt(0)
	global_atomic_add v2, v2, v3, s[14:15] glc
.LBB49_3:
	s_or_b64 exec, exec, s[10:11]
	s_waitcnt vmcnt(0)
	v_readfirstlane_b32 s10, v2
	v_add_u32_e32 v1, s10, v1
	v_mov_b32_e32 v2, 0
	ds_write_b32 v2, v1
.LBB49_4:
	s_or_b64 exec, exec, s[8:9]
	s_load_dwordx8 s[16:23], s[4:5], 0x0
	s_load_dword s24, s[4:5], 0x30
	s_load_dwordx8 s[8:15], s[4:5], 0x38
	v_mov_b32_e32 v1, 0
	s_waitcnt lgkmcnt(0)
	s_barrier
	ds_read_b32 v1, v1
	s_lshl_b64 s[18:19], s[18:19], 2
	s_add_u32 s25, s16, s18
	s_addc_u32 s26, s17, s19
	s_add_i32 s16, s24, -1
	s_mul_i32 s17, s16, 0x500
	s_sub_u32 s30, s22, s17
	s_waitcnt lgkmcnt(0)
	v_readfirstlane_b32 s33, v1
	s_subb_u32 s31, s23, 0
	s_mul_i32 s4, s33, 0x500
	s_mov_b32 s5, 0
	s_cmp_lg_u32 s33, s16
	s_cselect_b64 s[16:17], -1, 0
	s_lshl_b64 s[22:23], s[4:5], 2
	s_add_u32 s24, s25, s22
	s_addc_u32 s25, s26, s23
	s_mov_b64 s[4:5], -1
	s_and_b64 vcc, exec, s[16:17]
	v_lshlrev_b32_e32 v22, 2, v0
	s_barrier
	s_cbranch_vccz .LBB49_6
; %bb.5:
	v_mov_b32_e32 v1, s25
	v_add_co_u32_e32 v2, vcc, s24, v22
	v_addc_co_u32_e32 v1, vcc, 0, v1, vcc
	v_add_co_u32_e32 v2, vcc, 0x1000, v2
	v_addc_co_u32_e32 v3, vcc, 0, v1, vcc
	global_load_dword v4, v22, s[24:25]
	global_load_dword v5, v22, s[24:25] offset:512
	global_load_dword v6, v22, s[24:25] offset:1024
	;; [unrolled: 1-line block ×7, first 2 shown]
	global_load_dword v1, v[2:3], off
	global_load_dword v12, v[2:3], off offset:512
	s_mov_b64 s[4:5], 0
	s_waitcnt vmcnt(8)
	ds_write2st64_b32 v22, v4, v5 offset1:2
	s_waitcnt vmcnt(6)
	ds_write2st64_b32 v22, v6, v7 offset0:4 offset1:6
	s_waitcnt vmcnt(4)
	ds_write2st64_b32 v22, v8, v9 offset0:8 offset1:10
	;; [unrolled: 2-line block ×4, first 2 shown]
	s_waitcnt lgkmcnt(0)
	s_barrier
.LBB49_6:
	s_andn2_b64 vcc, exec, s[4:5]
	v_cmp_gt_u32_e64 s[4:5], s30, v0
	s_cbranch_vccnz .LBB49_28
; %bb.7:
	v_mov_b32_e32 v1, 0
	global_load_dword v1, v1, s[24:25]
	s_waitcnt vmcnt(0)
	v_mov_b32_e32 v2, v1
	v_mov_b32_e32 v3, v1
	;; [unrolled: 1-line block ×9, first 2 shown]
	s_and_saveexec_b64 s[26:27], s[4:5]
	s_cbranch_execz .LBB49_9
; %bb.8:
	global_load_dword v10, v22, s[24:25]
.LBB49_9:
	s_or_b64 exec, exec, s[26:27]
	v_or_b32_e32 v11, 0x80, v0
	v_cmp_gt_u32_e32 vcc, s30, v11
	s_and_saveexec_b64 s[4:5], vcc
	s_cbranch_execz .LBB49_11
; %bb.10:
	global_load_dword v1, v22, s[24:25] offset:512
.LBB49_11:
	s_or_b64 exec, exec, s[4:5]
	v_or_b32_e32 v11, 0x100, v0
	v_cmp_gt_u32_e32 vcc, s30, v11
	s_and_saveexec_b64 s[4:5], vcc
	s_cbranch_execz .LBB49_13
; %bb.12:
	global_load_dword v2, v22, s[24:25] offset:1024
.LBB49_13:
	s_or_b64 exec, exec, s[4:5]
	v_or_b32_e32 v11, 0x180, v0
	v_cmp_gt_u32_e32 vcc, s30, v11
	s_and_saveexec_b64 s[4:5], vcc
	s_cbranch_execz .LBB49_15
; %bb.14:
	global_load_dword v3, v22, s[24:25] offset:1536
.LBB49_15:
	s_or_b64 exec, exec, s[4:5]
	v_or_b32_e32 v11, 0x200, v0
	v_cmp_gt_u32_e32 vcc, s30, v11
	s_and_saveexec_b64 s[4:5], vcc
	s_cbranch_execz .LBB49_17
; %bb.16:
	global_load_dword v4, v22, s[24:25] offset:2048
.LBB49_17:
	s_or_b64 exec, exec, s[4:5]
	v_or_b32_e32 v11, 0x280, v0
	v_cmp_gt_u32_e32 vcc, s30, v11
	s_and_saveexec_b64 s[4:5], vcc
	s_cbranch_execz .LBB49_19
; %bb.18:
	global_load_dword v5, v22, s[24:25] offset:2560
.LBB49_19:
	s_or_b64 exec, exec, s[4:5]
	v_or_b32_e32 v11, 0x300, v0
	v_cmp_gt_u32_e32 vcc, s30, v11
	s_and_saveexec_b64 s[4:5], vcc
	s_cbranch_execz .LBB49_21
; %bb.20:
	global_load_dword v6, v22, s[24:25] offset:3072
.LBB49_21:
	s_or_b64 exec, exec, s[4:5]
	v_or_b32_e32 v11, 0x380, v0
	v_cmp_gt_u32_e32 vcc, s30, v11
	s_and_saveexec_b64 s[4:5], vcc
	s_cbranch_execz .LBB49_23
; %bb.22:
	global_load_dword v7, v22, s[24:25] offset:3584
.LBB49_23:
	s_or_b64 exec, exec, s[4:5]
	v_or_b32_e32 v11, 0x400, v0
	v_cmp_gt_u32_e32 vcc, s30, v11
	s_and_saveexec_b64 s[4:5], vcc
	s_cbranch_execz .LBB49_25
; %bb.24:
	v_lshlrev_b32_e32 v8, 2, v11
	global_load_dword v8, v8, s[24:25]
.LBB49_25:
	s_or_b64 exec, exec, s[4:5]
	v_or_b32_e32 v11, 0x480, v0
	v_cmp_gt_u32_e32 vcc, s30, v11
	s_and_saveexec_b64 s[4:5], vcc
	s_cbranch_execz .LBB49_27
; %bb.26:
	v_lshlrev_b32_e32 v9, 2, v11
	global_load_dword v9, v9, s[24:25]
.LBB49_27:
	s_or_b64 exec, exec, s[4:5]
	s_waitcnt vmcnt(0)
	ds_write2st64_b32 v22, v10, v1 offset1:2
	ds_write2st64_b32 v22, v2, v3 offset0:4 offset1:6
	ds_write2st64_b32 v22, v4, v5 offset0:8 offset1:10
	;; [unrolled: 1-line block ×4, first 2 shown]
	s_waitcnt lgkmcnt(0)
	s_barrier
.LBB49_28:
	v_mul_u32_u24_e32 v23, 10, v0
	v_lshlrev_b32_e32 v1, 2, v23
	ds_read2_b64 v[2:5], v1 offset1:1
	ds_read2_b64 v[16:19], v1 offset0:2 offset1:3
	ds_read_b64 v[20:21], v1 offset:32
	s_cmp_lg_u32 s33, 0
	v_lshrrev_b32_e32 v24, 5, v0
	v_cmp_gt_u32_e32 vcc, 64, v0
	s_waitcnt lgkmcnt(0)
	s_barrier
	s_cbranch_scc0 .LBB49_57
; %bb.29:
	v_add_u32_e32 v6, v3, v2
	v_add3_u32 v6, v6, v4, v5
	v_add3_u32 v6, v6, v16, v17
	;; [unrolled: 1-line block ×4, first 2 shown]
	v_add_lshl_u32 v7, v24, v0, 2
	ds_write_b32 v7, v6
	s_waitcnt lgkmcnt(0)
	s_barrier
	s_and_saveexec_b64 s[24:25], vcc
	s_cbranch_execz .LBB49_31
; %bb.30:
	v_lshlrev_b32_e32 v7, 1, v0
	v_lshrrev_b32_e32 v8, 4, v0
	v_add_lshl_u32 v7, v8, v7, 2
	ds_read2_b32 v[8:9], v7 offset1:1
	v_mbcnt_lo_u32_b32 v10, -1, 0
	v_mbcnt_hi_u32_b32 v10, -1, v10
	v_and_b32_e32 v11, 15, v10
	v_cmp_ne_u32_e64 s[4:5], 0, v11
	s_waitcnt lgkmcnt(0)
	v_add_u32_e32 v9, v9, v8
	; wave barrier
	s_nop 1
	v_mov_b32_dpp v12, v9 row_shr:1 row_mask:0xf bank_mask:0xf
	v_cndmask_b32_e64 v12, 0, v12, s[4:5]
	v_add_u32_e32 v9, v12, v9
	v_cmp_lt_u32_e64 s[4:5], 1, v11
	s_nop 0
	v_mov_b32_dpp v12, v9 row_shr:2 row_mask:0xf bank_mask:0xf
	v_cndmask_b32_e64 v12, 0, v12, s[4:5]
	v_add_u32_e32 v9, v9, v12
	v_cmp_lt_u32_e64 s[4:5], 3, v11
	;; [unrolled: 5-line block ×3, first 2 shown]
	s_nop 0
	v_mov_b32_dpp v12, v9 row_shr:8 row_mask:0xf bank_mask:0xf
	v_cndmask_b32_e64 v11, 0, v12, s[4:5]
	v_add_u32_e32 v9, v9, v11
	v_bfe_i32 v12, v10, 4, 1
	v_cmp_lt_u32_e64 s[4:5], 31, v10
	v_mov_b32_dpp v11, v9 row_bcast:15 row_mask:0xf bank_mask:0xf
	v_and_b32_e32 v11, v12, v11
	v_add_u32_e32 v9, v9, v11
	v_and_b32_e32 v12, 64, v10
	s_nop 0
	v_mov_b32_dpp v11, v9 row_bcast:31 row_mask:0xf bank_mask:0xf
	v_cndmask_b32_e64 v11, 0, v11, s[4:5]
	v_add_u32_e32 v9, v9, v11
	v_add_u32_e32 v11, -1, v10
	v_cmp_lt_i32_e64 s[4:5], v11, v12
	v_cndmask_b32_e64 v10, v11, v10, s[4:5]
	v_lshlrev_b32_e32 v10, 2, v10
	ds_bpermute_b32 v9, v10, v9
	s_waitcnt lgkmcnt(0)
	v_add_u32_e32 v8, v9, v8
	v_cndmask_b32_e64 v6, v8, v6, s[2:3]
	ds_write_b32 v7, v6
	; wave barrier
	ds_read_b32 v8, v7 offset:4
	s_waitcnt lgkmcnt(0)
	v_add_u32_e32 v6, v8, v6
	ds_write_b32 v7, v6 offset:4
.LBB49_31:
	s_or_b64 exec, exec, s[24:25]
	v_mov_b32_e32 v25, 0
	s_waitcnt lgkmcnt(0)
	s_barrier
	s_and_saveexec_b64 s[4:5], s[0:1]
	s_cbranch_execz .LBB49_33
; %bb.32:
	v_add_u32_e32 v6, -1, v0
	v_lshrrev_b32_e32 v7, 5, v6
	v_add_lshl_u32 v6, v7, v6, 2
	ds_read_b32 v25, v6
.LBB49_33:
	s_or_b64 exec, exec, s[4:5]
	s_and_saveexec_b64 s[24:25], vcc
	s_cbranch_execz .LBB49_56
; %bb.34:
	v_mov_b32_e32 v15, 0
	ds_read_b32 v6, v15 offset:520
	v_mbcnt_lo_u32_b32 v7, -1, 0
	v_mbcnt_hi_u32_b32 v9, -1, v7
	s_mov_b32 s29, 0
	v_cmp_eq_u32_e64 s[4:5], 0, v9
	s_and_saveexec_b64 s[26:27], s[4:5]
	s_cbranch_execz .LBB49_36
; %bb.35:
	s_add_i32 s28, s33, 64
	s_lshl_b64 s[28:29], s[28:29], 3
	s_add_u32 s28, s6, s28
	v_mov_b32_e32 v7, 1
	s_addc_u32 s29, s7, s29
	s_waitcnt lgkmcnt(0)
	global_store_dwordx2 v15, v[6:7], s[28:29]
.LBB49_36:
	s_or_b64 exec, exec, s[26:27]
	v_xad_u32 v8, v9, -1, s33
	v_add_u32_e32 v14, 64, v8
	v_lshlrev_b64 v[10:11], 3, v[14:15]
	v_mov_b32_e32 v7, s7
	v_add_co_u32_e32 v10, vcc, s6, v10
	v_addc_co_u32_e32 v11, vcc, v7, v11, vcc
	global_load_dwordx2 v[12:13], v[10:11], off glc
	s_waitcnt vmcnt(0)
	v_cmp_eq_u16_sdwa s[28:29], v13, v15 src0_sel:BYTE_0 src1_sel:DWORD
	s_and_saveexec_b64 s[26:27], s[28:29]
	s_cbranch_execz .LBB49_42
; %bb.37:
	s_mov_b32 s34, 1
	s_mov_b64 s[28:29], 0
	v_mov_b32_e32 v7, 0
.LBB49_38:                              ; =>This Loop Header: Depth=1
                                        ;     Child Loop BB49_39 Depth 2
	s_max_u32 s35, s34, 1
.LBB49_39:                              ;   Parent Loop BB49_38 Depth=1
                                        ; =>  This Inner Loop Header: Depth=2
	s_add_i32 s35, s35, -1
	s_cmp_eq_u32 s35, 0
	s_sleep 1
	s_cbranch_scc0 .LBB49_39
; %bb.40:                               ;   in Loop: Header=BB49_38 Depth=1
	global_load_dwordx2 v[12:13], v[10:11], off glc
	s_cmp_lt_u32 s34, 32
	s_cselect_b64 s[36:37], -1, 0
	s_cmp_lg_u64 s[36:37], 0
	s_addc_u32 s34, s34, 0
	s_waitcnt vmcnt(0)
	v_cmp_ne_u16_sdwa s[36:37], v13, v7 src0_sel:BYTE_0 src1_sel:DWORD
	s_or_b64 s[28:29], s[36:37], s[28:29]
	s_andn2_b64 exec, exec, s[28:29]
	s_cbranch_execnz .LBB49_38
; %bb.41:
	s_or_b64 exec, exec, s[28:29]
.LBB49_42:
	s_or_b64 exec, exec, s[26:27]
	v_and_b32_e32 v26, 63, v9
	v_mov_b32_e32 v7, 2
	v_cmp_ne_u32_e32 vcc, 63, v26
	v_cmp_eq_u16_sdwa s[26:27], v13, v7 src0_sel:BYTE_0 src1_sel:DWORD
	v_lshlrev_b64 v[10:11], v9, -1
	v_addc_co_u32_e32 v27, vcc, 0, v9, vcc
	v_and_b32_e32 v14, s27, v11
	v_lshlrev_b32_e32 v27, 2, v27
	v_or_b32_e32 v14, 0x80000000, v14
	ds_bpermute_b32 v28, v27, v12
	v_and_b32_e32 v15, s26, v10
	v_ffbl_b32_e32 v14, v14
	v_add_u32_e32 v14, 32, v14
	v_ffbl_b32_e32 v15, v15
	v_min_u32_e32 v14, v15, v14
	v_cmp_lt_u32_e32 vcc, v26, v14
	s_waitcnt lgkmcnt(0)
	v_cndmask_b32_e32 v15, 0, v28, vcc
	v_cmp_gt_u32_e32 vcc, 62, v26
	v_add_u32_e32 v12, v15, v12
	v_cndmask_b32_e64 v15, 0, 1, vcc
	v_lshlrev_b32_e32 v15, 1, v15
	v_add_lshl_u32 v28, v15, v9, 2
	ds_bpermute_b32 v15, v28, v12
	v_add_u32_e32 v29, 2, v26
	v_cmp_le_u32_e32 vcc, v29, v14
	v_add_u32_e32 v31, 4, v26
	v_add_u32_e32 v33, 8, v26
	s_waitcnt lgkmcnt(0)
	v_cndmask_b32_e32 v15, 0, v15, vcc
	v_cmp_gt_u32_e32 vcc, 60, v26
	v_add_u32_e32 v12, v12, v15
	v_cndmask_b32_e64 v15, 0, 1, vcc
	v_lshlrev_b32_e32 v15, 2, v15
	v_add_lshl_u32 v30, v15, v9, 2
	ds_bpermute_b32 v15, v30, v12
	v_cmp_le_u32_e32 vcc, v31, v14
	v_add_u32_e32 v36, 16, v26
	v_add_u32_e32 v38, 32, v26
	s_waitcnt lgkmcnt(0)
	v_cndmask_b32_e32 v15, 0, v15, vcc
	v_cmp_gt_u32_e32 vcc, 56, v26
	v_add_u32_e32 v12, v12, v15
	v_cndmask_b32_e64 v15, 0, 1, vcc
	v_lshlrev_b32_e32 v15, 3, v15
	v_add_lshl_u32 v32, v15, v9, 2
	ds_bpermute_b32 v15, v32, v12
	v_cmp_le_u32_e32 vcc, v33, v14
	s_waitcnt lgkmcnt(0)
	v_cndmask_b32_e32 v15, 0, v15, vcc
	v_cmp_gt_u32_e32 vcc, 48, v26
	v_add_u32_e32 v12, v12, v15
	v_cndmask_b32_e64 v15, 0, 1, vcc
	v_lshlrev_b32_e32 v15, 4, v15
	v_add_lshl_u32 v35, v15, v9, 2
	ds_bpermute_b32 v15, v35, v12
	v_cmp_le_u32_e32 vcc, v36, v14
	;; [unrolled: 9-line block ×3, first 2 shown]
	s_waitcnt lgkmcnt(0)
	v_cndmask_b32_e32 v9, 0, v9, vcc
	v_add_u32_e32 v12, v12, v9
	v_mov_b32_e32 v9, 0
	s_branch .LBB49_44
.LBB49_43:                              ;   in Loop: Header=BB49_44 Depth=1
	s_or_b64 exec, exec, s[26:27]
	v_cmp_eq_u16_sdwa s[26:27], v13, v7 src0_sel:BYTE_0 src1_sel:DWORD
	v_and_b32_e32 v14, s27, v11
	v_or_b32_e32 v14, 0x80000000, v14
	ds_bpermute_b32 v39, v27, v12
	v_and_b32_e32 v15, s26, v10
	v_ffbl_b32_e32 v14, v14
	v_add_u32_e32 v14, 32, v14
	v_ffbl_b32_e32 v15, v15
	v_min_u32_e32 v14, v15, v14
	v_cmp_lt_u32_e32 vcc, v26, v14
	s_waitcnt lgkmcnt(0)
	v_cndmask_b32_e32 v15, 0, v39, vcc
	v_add_u32_e32 v12, v15, v12
	ds_bpermute_b32 v15, v28, v12
	v_cmp_le_u32_e32 vcc, v29, v14
	v_subrev_u32_e32 v8, 64, v8
	s_waitcnt lgkmcnt(0)
	v_cndmask_b32_e32 v15, 0, v15, vcc
	v_add_u32_e32 v12, v12, v15
	ds_bpermute_b32 v15, v30, v12
	v_cmp_le_u32_e32 vcc, v31, v14
	s_waitcnt lgkmcnt(0)
	v_cndmask_b32_e32 v15, 0, v15, vcc
	v_add_u32_e32 v12, v12, v15
	ds_bpermute_b32 v15, v32, v12
	v_cmp_le_u32_e32 vcc, v33, v14
	;; [unrolled: 5-line block ×4, first 2 shown]
	s_waitcnt lgkmcnt(0)
	v_cndmask_b32_e32 v14, 0, v15, vcc
	v_add3_u32 v12, v14, v34, v12
.LBB49_44:                              ; =>This Loop Header: Depth=1
                                        ;     Child Loop BB49_47 Depth 2
                                        ;       Child Loop BB49_48 Depth 3
	v_cmp_ne_u16_sdwa s[26:27], v13, v7 src0_sel:BYTE_0 src1_sel:DWORD
	v_cndmask_b32_e64 v13, 0, 1, s[26:27]
	;;#ASMSTART
	;;#ASMEND
	v_cmp_ne_u32_e32 vcc, 0, v13
	s_cmp_lg_u64 vcc, exec
	v_mov_b32_e32 v34, v12
	s_cbranch_scc1 .LBB49_51
; %bb.45:                               ;   in Loop: Header=BB49_44 Depth=1
	v_lshlrev_b64 v[12:13], 3, v[8:9]
	v_mov_b32_e32 v15, s7
	v_add_co_u32_e32 v14, vcc, s6, v12
	v_addc_co_u32_e32 v15, vcc, v15, v13, vcc
	global_load_dwordx2 v[12:13], v[14:15], off glc
	s_waitcnt vmcnt(0)
	v_cmp_eq_u16_sdwa s[28:29], v13, v9 src0_sel:BYTE_0 src1_sel:DWORD
	s_and_saveexec_b64 s[26:27], s[28:29]
	s_cbranch_execz .LBB49_43
; %bb.46:                               ;   in Loop: Header=BB49_44 Depth=1
	s_mov_b32 s34, 1
	s_mov_b64 s[28:29], 0
.LBB49_47:                              ;   Parent Loop BB49_44 Depth=1
                                        ; =>  This Loop Header: Depth=2
                                        ;       Child Loop BB49_48 Depth 3
	s_max_u32 s35, s34, 1
.LBB49_48:                              ;   Parent Loop BB49_44 Depth=1
                                        ;     Parent Loop BB49_47 Depth=2
                                        ; =>    This Inner Loop Header: Depth=3
	s_add_i32 s35, s35, -1
	s_cmp_eq_u32 s35, 0
	s_sleep 1
	s_cbranch_scc0 .LBB49_48
; %bb.49:                               ;   in Loop: Header=BB49_47 Depth=2
	global_load_dwordx2 v[12:13], v[14:15], off glc
	s_cmp_lt_u32 s34, 32
	s_cselect_b64 s[36:37], -1, 0
	s_cmp_lg_u64 s[36:37], 0
	s_addc_u32 s34, s34, 0
	s_waitcnt vmcnt(0)
	v_cmp_ne_u16_sdwa s[36:37], v13, v9 src0_sel:BYTE_0 src1_sel:DWORD
	s_or_b64 s[28:29], s[36:37], s[28:29]
	s_andn2_b64 exec, exec, s[28:29]
	s_cbranch_execnz .LBB49_47
; %bb.50:                               ;   in Loop: Header=BB49_44 Depth=1
	s_or_b64 exec, exec, s[28:29]
	s_branch .LBB49_43
.LBB49_51:                              ;   in Loop: Header=BB49_44 Depth=1
                                        ; implicit-def: $vgpr12
                                        ; implicit-def: $vgpr13
	s_cbranch_execz .LBB49_44
; %bb.52:
	s_and_saveexec_b64 s[26:27], s[4:5]
	s_cbranch_execz .LBB49_54
; %bb.53:
	s_add_i32 s4, s33, 64
	s_mov_b32 s5, 0
	s_lshl_b64 s[4:5], s[4:5], 3
	s_add_u32 s4, s6, s4
	v_add_u32_e32 v6, v34, v6
	v_mov_b32_e32 v7, 2
	s_addc_u32 s5, s7, s5
	v_mov_b32_e32 v8, 0
	global_store_dwordx2 v8, v[6:7], s[4:5]
.LBB49_54:
	s_or_b64 exec, exec, s[26:27]
	s_and_b64 exec, exec, s[2:3]
	s_cbranch_execz .LBB49_56
; %bb.55:
	v_mov_b32_e32 v6, 0
	ds_write_b32 v6, v34
.LBB49_56:
	s_or_b64 exec, exec, s[24:25]
	v_mov_b32_e32 v6, 0
	s_waitcnt lgkmcnt(0)
	s_barrier
	ds_read_b32 v6, v6
	s_waitcnt lgkmcnt(0)
	v_add3_u32 v6, v25, v2, v6
	v_add_u32_e32 v7, v6, v3
	v_add_u32_e32 v8, v7, v4
	;; [unrolled: 1-line block ×9, first 2 shown]
	s_branch .LBB49_69
.LBB49_57:
                                        ; implicit-def: $vgpr6_vgpr7_vgpr8_vgpr9_vgpr10_vgpr11_vgpr12_vgpr13_vgpr14_vgpr15
	s_cbranch_execz .LBB49_69
; %bb.58:
	s_cmp_lg_u64 s[12:13], 0
	s_cselect_b64 s[4:5], -1, 0
	s_and_b64 s[12:13], s[2:3], s[4:5]
	v_mov_b32_e32 v12, v3
	v_mov_b32_e32 v13, v4
	;; [unrolled: 1-line block ×3, first 2 shown]
	s_and_saveexec_b64 s[4:5], s[12:13]
	s_cbranch_execz .LBB49_60
; %bb.59:
	v_mov_b32_e32 v6, 0
	global_load_dword v6, v6, s[8:9]
	v_mov_b32_e32 v12, v3
	v_mov_b32_e32 v13, v4
	;; [unrolled: 1-line block ×3, first 2 shown]
	s_waitcnt vmcnt(0)
	v_add_u32_e32 v2, v6, v2
.LBB49_60:
	s_or_b64 exec, exec, s[4:5]
	v_add_u32_e32 v3, v12, v2
	v_add_u32_e32 v4, v3, v13
	;; [unrolled: 1-line block ×9, first 2 shown]
	v_add_lshl_u32 v15, v24, v0, 2
	v_cmp_gt_u32_e32 vcc, 64, v0
	ds_write_b32 v15, v11
	s_waitcnt lgkmcnt(0)
	s_barrier
	s_and_saveexec_b64 s[4:5], vcc
	s_cbranch_execz .LBB49_62
; %bb.61:
	v_lshlrev_b32_e32 v15, 1, v0
	v_lshrrev_b32_e32 v24, 4, v0
	v_add_lshl_u32 v15, v24, v15, 2
	ds_read2_b32 v[24:25], v15 offset1:1
	v_mbcnt_lo_u32_b32 v26, -1, 0
	v_mbcnt_hi_u32_b32 v26, -1, v26
	v_and_b32_e32 v27, 15, v26
	v_cmp_ne_u32_e32 vcc, 0, v27
	s_waitcnt lgkmcnt(0)
	v_add_u32_e32 v25, v25, v24
	; wave barrier
	s_nop 1
	v_mov_b32_dpp v28, v25 row_shr:1 row_mask:0xf bank_mask:0xf
	v_cndmask_b32_e32 v28, 0, v28, vcc
	v_add_u32_e32 v25, v28, v25
	v_cmp_lt_u32_e32 vcc, 1, v27
	s_nop 0
	v_mov_b32_dpp v28, v25 row_shr:2 row_mask:0xf bank_mask:0xf
	v_cndmask_b32_e32 v28, 0, v28, vcc
	v_add_u32_e32 v25, v25, v28
	v_cmp_lt_u32_e32 vcc, 3, v27
	;; [unrolled: 5-line block ×3, first 2 shown]
	s_nop 0
	v_mov_b32_dpp v28, v25 row_shr:8 row_mask:0xf bank_mask:0xf
	v_cndmask_b32_e32 v27, 0, v28, vcc
	v_add_u32_e32 v25, v25, v27
	v_bfe_i32 v28, v26, 4, 1
	v_cmp_lt_u32_e32 vcc, 31, v26
	v_mov_b32_dpp v27, v25 row_bcast:15 row_mask:0xf bank_mask:0xf
	v_and_b32_e32 v27, v28, v27
	v_add_u32_e32 v25, v25, v27
	v_and_b32_e32 v28, 64, v26
	s_nop 0
	v_mov_b32_dpp v27, v25 row_bcast:31 row_mask:0xf bank_mask:0xf
	v_cndmask_b32_e32 v27, 0, v27, vcc
	v_add_u32_e32 v25, v25, v27
	v_add_u32_e32 v27, -1, v26
	v_cmp_lt_i32_e32 vcc, v27, v28
	v_cndmask_b32_e32 v26, v27, v26, vcc
	v_lshlrev_b32_e32 v26, 2, v26
	ds_bpermute_b32 v25, v26, v25
	s_waitcnt lgkmcnt(0)
	v_add_u32_e32 v24, v25, v24
	v_cndmask_b32_e64 v24, v24, v11, s[2:3]
	ds_write_b32 v15, v24
	; wave barrier
	ds_read_b32 v25, v15 offset:4
	s_waitcnt lgkmcnt(0)
	v_add_u32_e32 v24, v25, v24
	ds_write_b32 v15, v24 offset:4
.LBB49_62:
	s_or_b64 exec, exec, s[4:5]
	v_mov_b32_e32 v15, v11
	s_waitcnt lgkmcnt(0)
	s_barrier
	s_and_saveexec_b64 s[2:3], s[0:1]
	s_cbranch_execz .LBB49_64
; %bb.63:
	v_add_u32_e32 v15, -1, v0
	v_lshrrev_b32_e32 v24, 5, v15
	v_add_lshl_u32 v15, v24, v15, 2
	ds_read_b32 v15, v15
.LBB49_64:
	s_or_b64 exec, exec, s[2:3]
	s_and_saveexec_b64 s[2:3], s[0:1]
	s_cbranch_execz .LBB49_66
; %bb.65:
	s_waitcnt lgkmcnt(0)
	v_add_u32_e32 v2, v15, v2
	v_add_u32_e32 v3, v2, v12
	;; [unrolled: 1-line block ×10, first 2 shown]
	;;#ASMSTART
	;;#ASMEND
.LBB49_66:
	s_or_b64 exec, exec, s[2:3]
	s_movk_i32 s0, 0x7f
	v_cmp_eq_u32_e32 vcc, s0, v0
	s_and_saveexec_b64 s[0:1], vcc
	s_cbranch_execz .LBB49_68
; %bb.67:
	v_mov_b32_e32 v14, 0
	v_mov_b32_e32 v13, 2
	;; [unrolled: 1-line block ×3, first 2 shown]
	global_store_dwordx2 v14, v[12:13], s[6:7] offset:512
.LBB49_68:
	s_or_b64 exec, exec, s[0:1]
	s_waitcnt lgkmcnt(0)
	v_pk_mov_b32 v[14:15], v[10:11], v[10:11] op_sel:[0,1]
	v_pk_mov_b32 v[12:13], v[8:9], v[8:9] op_sel:[0,1]
	;; [unrolled: 1-line block ×5, first 2 shown]
.LBB49_69:
	s_add_u32 s0, s20, s18
	s_addc_u32 s1, s21, s19
	s_add_u32 s0, s0, s22
	s_addc_u32 s1, s1, s23
	s_mov_b64 s[2:3], -1
	s_and_b64 vcc, exec, s[16:17]
	s_barrier
	s_cbranch_vccz .LBB49_71
; %bb.70:
	ds_write2_b64 v1, v[6:7], v[8:9] offset1:1
	ds_write2_b64 v1, v[10:11], v[12:13] offset0:2 offset1:3
	ds_write_b64 v1, v[14:15] offset:32
	s_waitcnt lgkmcnt(0)
	s_barrier
	ds_read2st64_b32 v[2:3], v22 offset1:2
	ds_read2st64_b32 v[4:5], v22 offset0:4 offset1:6
	ds_read2st64_b32 v[16:17], v22 offset0:8 offset1:10
	;; [unrolled: 1-line block ×4, first 2 shown]
	v_mov_b32_e32 v24, s1
	v_add_co_u32_e32 v25, vcc, s0, v22
	v_addc_co_u32_e32 v24, vcc, 0, v24, vcc
	s_waitcnt lgkmcnt(4)
	global_store_dword v22, v2, s[0:1]
	global_store_dword v22, v3, s[0:1] offset:512
	s_waitcnt lgkmcnt(3)
	global_store_dword v22, v4, s[0:1] offset:1024
	global_store_dword v22, v5, s[0:1] offset:1536
	s_waitcnt lgkmcnt(2)
	global_store_dword v22, v16, s[0:1] offset:2048
	;; [unrolled: 3-line block ×3, first 2 shown]
	global_store_dword v22, v19, s[0:1] offset:3584
	v_add_co_u32_e32 v2, vcc, 0x1000, v25
	v_addc_co_u32_e32 v3, vcc, 0, v24, vcc
	s_waitcnt lgkmcnt(0)
	global_store_dword v[2:3], v20, off
	global_store_dword v[2:3], v21, off offset:512
	s_mov_b64 s[2:3], 0
.LBB49_71:
	s_andn2_b64 vcc, exec, s[2:3]
	s_cbranch_vccnz .LBB49_127
; %bb.72:
	ds_write2_b64 v1, v[6:7], v[8:9] offset1:1
	ds_write2_b64 v1, v[10:11], v[12:13] offset0:2 offset1:3
	ds_write_b64 v1, v[14:15] offset:32
	s_waitcnt lgkmcnt(0)
	s_barrier
	ds_read2st64_b32 v[2:3], v22 offset1:2
	ds_read2st64_b32 v[6:7], v22 offset0:4 offset1:6
	ds_read2st64_b32 v[4:5], v22 offset0:8 offset1:10
	;; [unrolled: 1-line block ×4, first 2 shown]
	v_mov_b32_e32 v13, s1
	v_add_co_u32_e32 v12, vcc, s0, v22
	v_addc_co_u32_e32 v13, vcc, 0, v13, vcc
	v_mov_b32_e32 v1, 0
	v_cmp_gt_u32_e32 vcc, s30, v0
	s_and_saveexec_b64 s[0:1], vcc
	s_cbranch_execz .LBB49_74
; %bb.73:
	s_waitcnt lgkmcnt(4)
	global_store_dword v[12:13], v2, off
.LBB49_74:
	s_or_b64 exec, exec, s[0:1]
	v_or_b32_e32 v14, 0x80, v0
	v_cmp_gt_u32_e32 vcc, s30, v14
	s_and_saveexec_b64 s[0:1], vcc
	s_cbranch_execz .LBB49_76
; %bb.75:
	s_waitcnt lgkmcnt(4)
	global_store_dword v[12:13], v3, off offset:512
.LBB49_76:
	s_or_b64 exec, exec, s[0:1]
	v_or_b32_e32 v14, 0x100, v0
	v_cmp_gt_u32_e32 vcc, s30, v14
	s_and_saveexec_b64 s[0:1], vcc
	s_cbranch_execz .LBB49_78
; %bb.77:
	s_waitcnt lgkmcnt(3)
	global_store_dword v[12:13], v6, off offset:1024
.LBB49_78:
	;; [unrolled: 9-line block ×7, first 2 shown]
	s_or_b64 exec, exec, s[0:1]
	v_or_b32_e32 v14, 0x400, v0
	v_cmp_gt_u32_e32 vcc, s30, v14
	s_and_saveexec_b64 s[0:1], vcc
	s_cbranch_execz .LBB49_90
; %bb.89:
	v_add_co_u32_e32 v14, vcc, 0x1000, v12
	v_addc_co_u32_e32 v15, vcc, 0, v13, vcc
	s_waitcnt lgkmcnt(0)
	global_store_dword v[14:15], v10, off
.LBB49_90:
	s_or_b64 exec, exec, s[0:1]
	v_or_b32_e32 v14, 0x480, v0
	v_cmp_gt_u32_e32 vcc, s30, v14
	s_and_saveexec_b64 s[0:1], vcc
	s_cbranch_execz .LBB49_92
; %bb.91:
	v_add_co_u32_e32 v12, vcc, 0x1000, v12
	v_addc_co_u32_e32 v13, vcc, 0, v13, vcc
	s_waitcnt lgkmcnt(0)
	global_store_dword v[12:13], v11, off offset:512
.LBB49_92:
	s_or_b64 exec, exec, s[0:1]
	v_cmp_lt_u64_e64 s[0:1], s[14:15], 2
	s_and_b64 vcc, exec, s[0:1]
	s_cbranch_vccnz .LBB49_127
; %bb.93:
	s_add_u32 s0, s30, -1
	s_addc_u32 s1, s31, -1
	s_add_u32 s2, 0, 0x99986000
	s_addc_u32 s3, 0, 0x59
	s_add_i32 s3, s3, 0x19999940
	s_mul_hi_u32 s7, s2, -10
	s_sub_i32 s7, s7, s2
	s_mul_i32 s8, s3, -10
	s_mul_i32 s4, s2, -10
	s_add_i32 s7, s7, s8
	s_mul_hi_u32 s5, s3, s4
	s_mul_i32 s6, s3, s4
	s_mul_i32 s9, s2, s7
	s_mul_hi_u32 s4, s2, s4
	s_mul_hi_u32 s8, s2, s7
	s_add_u32 s4, s4, s9
	s_addc_u32 s8, 0, s8
	s_add_u32 s4, s4, s6
	s_mul_hi_u32 s9, s3, s7
	s_addc_u32 s4, s8, s5
	s_addc_u32 s5, s9, 0
	s_mul_i32 s6, s3, s7
	s_add_u32 s4, s4, s6
	v_mov_b32_e32 v12, s4
	s_addc_u32 s5, 0, s5
	v_add_co_u32_e32 v12, vcc, s2, v12
	s_cmp_lg_u64 vcc, 0
	s_addc_u32 s2, s3, s5
	v_readfirstlane_b32 s5, v12
	s_mul_i32 s4, s0, s2
	s_mul_hi_u32 s6, s0, s5
	s_mul_hi_u32 s3, s0, s2
	s_add_u32 s4, s6, s4
	s_addc_u32 s3, 0, s3
	s_mul_hi_u32 s7, s1, s5
	s_mul_i32 s5, s1, s5
	s_add_u32 s4, s4, s5
	s_mul_hi_u32 s6, s1, s2
	s_addc_u32 s3, s3, s7
	s_addc_u32 s4, s6, 0
	s_mul_i32 s2, s1, s2
	s_add_u32 s2, s3, s2
	s_addc_u32 s3, 0, s4
	s_add_u32 s4, s2, 1
	s_addc_u32 s5, s3, 0
	s_add_u32 s6, s2, 2
	s_mul_i32 s8, s3, 10
	s_mul_hi_u32 s9, s2, 10
	s_addc_u32 s7, s3, 0
	s_add_i32 s9, s9, s8
	s_mul_i32 s8, s2, 10
	v_mov_b32_e32 v12, s8
	v_sub_co_u32_e32 v12, vcc, s0, v12
	s_cmp_lg_u64 vcc, 0
	s_subb_u32 s8, s1, s9
	v_subrev_co_u32_e32 v13, vcc, 10, v12
	s_cmp_lg_u64 vcc, 0
	s_subb_u32 s9, s8, 0
	v_readfirstlane_b32 s12, v13
	s_cmp_gt_u32 s12, 9
	s_cselect_b32 s12, -1, 0
	s_cmp_eq_u32 s9, 0
	s_cselect_b32 s9, s12, -1
	s_cmp_lg_u32 s9, 0
	s_cselect_b32 s4, s6, s4
	v_readfirstlane_b32 s6, v12
	s_cselect_b32 s5, s7, s5
	s_cmp_gt_u32 s6, 9
	s_cselect_b32 s6, -1, 0
	s_cmp_eq_u32 s8, 0
	s_cselect_b32 s6, s6, -1
	s_cmp_lg_u32 s6, 0
	s_cselect_b32 s3, s5, s3
	s_cselect_b32 s2, s4, s2
	v_cmp_eq_u64_e32 vcc, s[2:3], v[0:1]
	s_and_saveexec_b64 s[2:3], vcc
	s_cbranch_execz .LBB49_127
; %bb.94:
	v_mul_hi_u32_u24_e32 v1, 10, v0
	v_mov_b32_e32 v12, s1
	v_sub_co_u32_e32 v0, vcc, s0, v23
	v_subb_co_u32_e32 v1, vcc, v12, v1, vcc
	v_cmp_lt_i64_e32 vcc, 4, v[0:1]
	s_and_saveexec_b64 s[0:1], vcc
	s_xor_b64 s[0:1], exec, s[0:1]
	s_cbranch_execz .LBB49_112
; %bb.95:
	v_cmp_lt_i64_e32 vcc, 6, v[0:1]
	s_and_saveexec_b64 s[2:3], vcc
	s_xor_b64 s[2:3], exec, s[2:3]
	s_cbranch_execz .LBB49_105
; %bb.96:
	;; [unrolled: 5-line block ×4, first 2 shown]
	v_mov_b32_e32 v0, 0
	s_waitcnt lgkmcnt(0)
	global_store_dword v0, v11, s[10:11]
                                        ; implicit-def: $vgpr10_vgpr11
.LBB49_99:
	s_andn2_saveexec_b64 s[6:7], s[6:7]
	s_cbranch_execz .LBB49_101
; %bb.100:
	v_mov_b32_e32 v0, 0
	s_waitcnt lgkmcnt(0)
	global_store_dword v0, v10, s[10:11]
.LBB49_101:
	s_or_b64 exec, exec, s[6:7]
                                        ; implicit-def: $vgpr8_vgpr9
.LBB49_102:
	s_andn2_saveexec_b64 s[4:5], s[4:5]
	s_cbranch_execz .LBB49_104
; %bb.103:
	v_mov_b32_e32 v0, 0
	s_waitcnt lgkmcnt(1)
	global_store_dword v0, v9, s[10:11]
.LBB49_104:
	s_or_b64 exec, exec, s[4:5]
                                        ; implicit-def: $vgpr4_vgpr5
                                        ; implicit-def: $vgpr0_vgpr1
                                        ; implicit-def: $vgpr8_vgpr9
.LBB49_105:
	s_andn2_saveexec_b64 s[2:3], s[2:3]
	s_cbranch_execz .LBB49_111
; %bb.106:
	v_cmp_lt_i64_e32 vcc, 5, v[0:1]
	s_and_saveexec_b64 s[4:5], vcc
	s_xor_b64 s[4:5], exec, s[4:5]
	s_cbranch_execz .LBB49_108
; %bb.107:
	v_mov_b32_e32 v0, 0
	s_waitcnt lgkmcnt(1)
	global_store_dword v0, v8, s[10:11]
                                        ; implicit-def: $vgpr4_vgpr5
.LBB49_108:
	s_andn2_saveexec_b64 s[4:5], s[4:5]
	s_cbranch_execz .LBB49_110
; %bb.109:
	v_mov_b32_e32 v0, 0
	s_waitcnt lgkmcnt(2)
	global_store_dword v0, v5, s[10:11]
.LBB49_110:
	s_or_b64 exec, exec, s[4:5]
.LBB49_111:
	s_or_b64 exec, exec, s[2:3]
                                        ; implicit-def: $vgpr0_vgpr1
                                        ; implicit-def: $vgpr6_vgpr7
                                        ; implicit-def: $vgpr2_vgpr3
                                        ; implicit-def: $vgpr4_vgpr5
.LBB49_112:
	s_andn2_saveexec_b64 s[0:1], s[0:1]
	s_cbranch_execz .LBB49_127
; %bb.113:
	v_cmp_lt_i64_e32 vcc, 2, v[0:1]
	s_and_saveexec_b64 s[0:1], vcc
	s_xor_b64 s[0:1], exec, s[0:1]
	s_cbranch_execz .LBB49_119
; %bb.114:
	v_cmp_lt_i64_e32 vcc, 3, v[0:1]
	s_and_saveexec_b64 s[2:3], vcc
	s_xor_b64 s[2:3], exec, s[2:3]
	s_cbranch_execz .LBB49_116
; %bb.115:
	v_mov_b32_e32 v0, 0
	s_waitcnt lgkmcnt(2)
	global_store_dword v0, v4, s[10:11]
                                        ; implicit-def: $vgpr6_vgpr7
.LBB49_116:
	s_andn2_saveexec_b64 s[2:3], s[2:3]
	s_cbranch_execz .LBB49_118
; %bb.117:
	v_mov_b32_e32 v0, 0
	s_waitcnt lgkmcnt(3)
	global_store_dword v0, v7, s[10:11]
.LBB49_118:
	s_or_b64 exec, exec, s[2:3]
                                        ; implicit-def: $vgpr0_vgpr1
                                        ; implicit-def: $vgpr6_vgpr7
                                        ; implicit-def: $vgpr2_vgpr3
.LBB49_119:
	s_andn2_saveexec_b64 s[0:1], s[0:1]
	s_cbranch_execz .LBB49_127
; %bb.120:
	v_cmp_lt_i64_e32 vcc, 1, v[0:1]
	s_and_saveexec_b64 s[0:1], vcc
	s_xor_b64 s[0:1], exec, s[0:1]
	s_cbranch_execz .LBB49_122
; %bb.121:
	v_mov_b32_e32 v0, 0
	s_waitcnt lgkmcnt(3)
	global_store_dword v0, v6, s[10:11]
                                        ; implicit-def: $vgpr2_vgpr3
                                        ; implicit-def: $vgpr0_vgpr1
.LBB49_122:
	s_andn2_saveexec_b64 s[0:1], s[0:1]
	s_cbranch_execz .LBB49_127
; %bb.123:
	v_cmp_ne_u64_e32 vcc, 1, v[0:1]
	s_and_saveexec_b64 s[0:1], vcc
	s_xor_b64 s[0:1], exec, s[0:1]
	s_cbranch_execz .LBB49_125
; %bb.124:
	v_mov_b32_e32 v0, 0
	s_waitcnt lgkmcnt(4)
	global_store_dword v0, v2, s[10:11]
                                        ; implicit-def: $vgpr2_vgpr3
.LBB49_125:
	s_andn2_saveexec_b64 s[0:1], s[0:1]
	s_cbranch_execz .LBB49_127
; %bb.126:
	v_mov_b32_e32 v0, 0
	s_waitcnt lgkmcnt(4)
	global_store_dword v0, v3, s[10:11]
.LBB49_127:
	s_endpgm
	.section	.rodata,"a",@progbits
	.p2align	6, 0x0
	.amdhsa_kernel _ZN7rocprim17ROCPRIM_400000_NS6detail17trampoline_kernelINS0_14default_configENS1_20scan_config_selectorIiEEZZNS1_9scan_implILNS1_25lookback_scan_determinismE0ELb0ELb0ES3_PiS8_iN6thrust23THRUST_200600_302600_NS4plusIvEEiEEDaPvRmT3_T4_T5_mT6_P12ihipStream_tbENKUlT_T0_E_clISt17integral_constantIbLb1EESQ_EEDaSL_SM_EUlSL_E_NS1_11comp_targetILNS1_3genE4ELNS1_11target_archE910ELNS1_3gpuE8ELNS1_3repE0EEENS1_30default_config_static_selectorELNS0_4arch9wavefront6targetE1EEEvT1_
		.amdhsa_group_segment_fixed_size 5120
		.amdhsa_private_segment_fixed_size 0
		.amdhsa_kernarg_size 96
		.amdhsa_user_sgpr_count 6
		.amdhsa_user_sgpr_private_segment_buffer 1
		.amdhsa_user_sgpr_dispatch_ptr 0
		.amdhsa_user_sgpr_queue_ptr 0
		.amdhsa_user_sgpr_kernarg_segment_ptr 1
		.amdhsa_user_sgpr_dispatch_id 0
		.amdhsa_user_sgpr_flat_scratch_init 0
		.amdhsa_user_sgpr_kernarg_preload_length 0
		.amdhsa_user_sgpr_kernarg_preload_offset 0
		.amdhsa_user_sgpr_private_segment_size 0
		.amdhsa_uses_dynamic_stack 0
		.amdhsa_system_sgpr_private_segment_wavefront_offset 0
		.amdhsa_system_sgpr_workgroup_id_x 1
		.amdhsa_system_sgpr_workgroup_id_y 0
		.amdhsa_system_sgpr_workgroup_id_z 0
		.amdhsa_system_sgpr_workgroup_info 0
		.amdhsa_system_vgpr_workitem_id 0
		.amdhsa_next_free_vgpr 40
		.amdhsa_next_free_sgpr 38
		.amdhsa_accum_offset 40
		.amdhsa_reserve_vcc 1
		.amdhsa_reserve_flat_scratch 0
		.amdhsa_float_round_mode_32 0
		.amdhsa_float_round_mode_16_64 0
		.amdhsa_float_denorm_mode_32 3
		.amdhsa_float_denorm_mode_16_64 3
		.amdhsa_dx10_clamp 1
		.amdhsa_ieee_mode 1
		.amdhsa_fp16_overflow 0
		.amdhsa_tg_split 0
		.amdhsa_exception_fp_ieee_invalid_op 0
		.amdhsa_exception_fp_denorm_src 0
		.amdhsa_exception_fp_ieee_div_zero 0
		.amdhsa_exception_fp_ieee_overflow 0
		.amdhsa_exception_fp_ieee_underflow 0
		.amdhsa_exception_fp_ieee_inexact 0
		.amdhsa_exception_int_div_zero 0
	.end_amdhsa_kernel
	.section	.text._ZN7rocprim17ROCPRIM_400000_NS6detail17trampoline_kernelINS0_14default_configENS1_20scan_config_selectorIiEEZZNS1_9scan_implILNS1_25lookback_scan_determinismE0ELb0ELb0ES3_PiS8_iN6thrust23THRUST_200600_302600_NS4plusIvEEiEEDaPvRmT3_T4_T5_mT6_P12ihipStream_tbENKUlT_T0_E_clISt17integral_constantIbLb1EESQ_EEDaSL_SM_EUlSL_E_NS1_11comp_targetILNS1_3genE4ELNS1_11target_archE910ELNS1_3gpuE8ELNS1_3repE0EEENS1_30default_config_static_selectorELNS0_4arch9wavefront6targetE1EEEvT1_,"axG",@progbits,_ZN7rocprim17ROCPRIM_400000_NS6detail17trampoline_kernelINS0_14default_configENS1_20scan_config_selectorIiEEZZNS1_9scan_implILNS1_25lookback_scan_determinismE0ELb0ELb0ES3_PiS8_iN6thrust23THRUST_200600_302600_NS4plusIvEEiEEDaPvRmT3_T4_T5_mT6_P12ihipStream_tbENKUlT_T0_E_clISt17integral_constantIbLb1EESQ_EEDaSL_SM_EUlSL_E_NS1_11comp_targetILNS1_3genE4ELNS1_11target_archE910ELNS1_3gpuE8ELNS1_3repE0EEENS1_30default_config_static_selectorELNS0_4arch9wavefront6targetE1EEEvT1_,comdat
.Lfunc_end49:
	.size	_ZN7rocprim17ROCPRIM_400000_NS6detail17trampoline_kernelINS0_14default_configENS1_20scan_config_selectorIiEEZZNS1_9scan_implILNS1_25lookback_scan_determinismE0ELb0ELb0ES3_PiS8_iN6thrust23THRUST_200600_302600_NS4plusIvEEiEEDaPvRmT3_T4_T5_mT6_P12ihipStream_tbENKUlT_T0_E_clISt17integral_constantIbLb1EESQ_EEDaSL_SM_EUlSL_E_NS1_11comp_targetILNS1_3genE4ELNS1_11target_archE910ELNS1_3gpuE8ELNS1_3repE0EEENS1_30default_config_static_selectorELNS0_4arch9wavefront6targetE1EEEvT1_, .Lfunc_end49-_ZN7rocprim17ROCPRIM_400000_NS6detail17trampoline_kernelINS0_14default_configENS1_20scan_config_selectorIiEEZZNS1_9scan_implILNS1_25lookback_scan_determinismE0ELb0ELb0ES3_PiS8_iN6thrust23THRUST_200600_302600_NS4plusIvEEiEEDaPvRmT3_T4_T5_mT6_P12ihipStream_tbENKUlT_T0_E_clISt17integral_constantIbLb1EESQ_EEDaSL_SM_EUlSL_E_NS1_11comp_targetILNS1_3genE4ELNS1_11target_archE910ELNS1_3gpuE8ELNS1_3repE0EEENS1_30default_config_static_selectorELNS0_4arch9wavefront6targetE1EEEvT1_
                                        ; -- End function
	.section	.AMDGPU.csdata,"",@progbits
; Kernel info:
; codeLenInByte = 4548
; NumSgprs: 42
; NumVgprs: 40
; NumAgprs: 0
; TotalNumVgprs: 40
; ScratchSize: 0
; MemoryBound: 0
; FloatMode: 240
; IeeeMode: 1
; LDSByteSize: 5120 bytes/workgroup (compile time only)
; SGPRBlocks: 5
; VGPRBlocks: 4
; NumSGPRsForWavesPerEU: 42
; NumVGPRsForWavesPerEU: 40
; AccumOffset: 40
; Occupancy: 6
; WaveLimiterHint : 1
; COMPUTE_PGM_RSRC2:SCRATCH_EN: 0
; COMPUTE_PGM_RSRC2:USER_SGPR: 6
; COMPUTE_PGM_RSRC2:TRAP_HANDLER: 0
; COMPUTE_PGM_RSRC2:TGID_X_EN: 1
; COMPUTE_PGM_RSRC2:TGID_Y_EN: 0
; COMPUTE_PGM_RSRC2:TGID_Z_EN: 0
; COMPUTE_PGM_RSRC2:TIDIG_COMP_CNT: 0
; COMPUTE_PGM_RSRC3_GFX90A:ACCUM_OFFSET: 9
; COMPUTE_PGM_RSRC3_GFX90A:TG_SPLIT: 0
	.section	.text._ZN7rocprim17ROCPRIM_400000_NS6detail17trampoline_kernelINS0_14default_configENS1_20scan_config_selectorIiEEZZNS1_9scan_implILNS1_25lookback_scan_determinismE0ELb0ELb0ES3_PiS8_iN6thrust23THRUST_200600_302600_NS4plusIvEEiEEDaPvRmT3_T4_T5_mT6_P12ihipStream_tbENKUlT_T0_E_clISt17integral_constantIbLb1EESQ_EEDaSL_SM_EUlSL_E_NS1_11comp_targetILNS1_3genE3ELNS1_11target_archE908ELNS1_3gpuE7ELNS1_3repE0EEENS1_30default_config_static_selectorELNS0_4arch9wavefront6targetE1EEEvT1_,"axG",@progbits,_ZN7rocprim17ROCPRIM_400000_NS6detail17trampoline_kernelINS0_14default_configENS1_20scan_config_selectorIiEEZZNS1_9scan_implILNS1_25lookback_scan_determinismE0ELb0ELb0ES3_PiS8_iN6thrust23THRUST_200600_302600_NS4plusIvEEiEEDaPvRmT3_T4_T5_mT6_P12ihipStream_tbENKUlT_T0_E_clISt17integral_constantIbLb1EESQ_EEDaSL_SM_EUlSL_E_NS1_11comp_targetILNS1_3genE3ELNS1_11target_archE908ELNS1_3gpuE7ELNS1_3repE0EEENS1_30default_config_static_selectorELNS0_4arch9wavefront6targetE1EEEvT1_,comdat
	.protected	_ZN7rocprim17ROCPRIM_400000_NS6detail17trampoline_kernelINS0_14default_configENS1_20scan_config_selectorIiEEZZNS1_9scan_implILNS1_25lookback_scan_determinismE0ELb0ELb0ES3_PiS8_iN6thrust23THRUST_200600_302600_NS4plusIvEEiEEDaPvRmT3_T4_T5_mT6_P12ihipStream_tbENKUlT_T0_E_clISt17integral_constantIbLb1EESQ_EEDaSL_SM_EUlSL_E_NS1_11comp_targetILNS1_3genE3ELNS1_11target_archE908ELNS1_3gpuE7ELNS1_3repE0EEENS1_30default_config_static_selectorELNS0_4arch9wavefront6targetE1EEEvT1_ ; -- Begin function _ZN7rocprim17ROCPRIM_400000_NS6detail17trampoline_kernelINS0_14default_configENS1_20scan_config_selectorIiEEZZNS1_9scan_implILNS1_25lookback_scan_determinismE0ELb0ELb0ES3_PiS8_iN6thrust23THRUST_200600_302600_NS4plusIvEEiEEDaPvRmT3_T4_T5_mT6_P12ihipStream_tbENKUlT_T0_E_clISt17integral_constantIbLb1EESQ_EEDaSL_SM_EUlSL_E_NS1_11comp_targetILNS1_3genE3ELNS1_11target_archE908ELNS1_3gpuE7ELNS1_3repE0EEENS1_30default_config_static_selectorELNS0_4arch9wavefront6targetE1EEEvT1_
	.globl	_ZN7rocprim17ROCPRIM_400000_NS6detail17trampoline_kernelINS0_14default_configENS1_20scan_config_selectorIiEEZZNS1_9scan_implILNS1_25lookback_scan_determinismE0ELb0ELb0ES3_PiS8_iN6thrust23THRUST_200600_302600_NS4plusIvEEiEEDaPvRmT3_T4_T5_mT6_P12ihipStream_tbENKUlT_T0_E_clISt17integral_constantIbLb1EESQ_EEDaSL_SM_EUlSL_E_NS1_11comp_targetILNS1_3genE3ELNS1_11target_archE908ELNS1_3gpuE7ELNS1_3repE0EEENS1_30default_config_static_selectorELNS0_4arch9wavefront6targetE1EEEvT1_
	.p2align	8
	.type	_ZN7rocprim17ROCPRIM_400000_NS6detail17trampoline_kernelINS0_14default_configENS1_20scan_config_selectorIiEEZZNS1_9scan_implILNS1_25lookback_scan_determinismE0ELb0ELb0ES3_PiS8_iN6thrust23THRUST_200600_302600_NS4plusIvEEiEEDaPvRmT3_T4_T5_mT6_P12ihipStream_tbENKUlT_T0_E_clISt17integral_constantIbLb1EESQ_EEDaSL_SM_EUlSL_E_NS1_11comp_targetILNS1_3genE3ELNS1_11target_archE908ELNS1_3gpuE7ELNS1_3repE0EEENS1_30default_config_static_selectorELNS0_4arch9wavefront6targetE1EEEvT1_,@function
_ZN7rocprim17ROCPRIM_400000_NS6detail17trampoline_kernelINS0_14default_configENS1_20scan_config_selectorIiEEZZNS1_9scan_implILNS1_25lookback_scan_determinismE0ELb0ELb0ES3_PiS8_iN6thrust23THRUST_200600_302600_NS4plusIvEEiEEDaPvRmT3_T4_T5_mT6_P12ihipStream_tbENKUlT_T0_E_clISt17integral_constantIbLb1EESQ_EEDaSL_SM_EUlSL_E_NS1_11comp_targetILNS1_3genE3ELNS1_11target_archE908ELNS1_3gpuE7ELNS1_3repE0EEENS1_30default_config_static_selectorELNS0_4arch9wavefront6targetE1EEEvT1_: ; @_ZN7rocprim17ROCPRIM_400000_NS6detail17trampoline_kernelINS0_14default_configENS1_20scan_config_selectorIiEEZZNS1_9scan_implILNS1_25lookback_scan_determinismE0ELb0ELb0ES3_PiS8_iN6thrust23THRUST_200600_302600_NS4plusIvEEiEEDaPvRmT3_T4_T5_mT6_P12ihipStream_tbENKUlT_T0_E_clISt17integral_constantIbLb1EESQ_EEDaSL_SM_EUlSL_E_NS1_11comp_targetILNS1_3genE3ELNS1_11target_archE908ELNS1_3gpuE7ELNS1_3repE0EEENS1_30default_config_static_selectorELNS0_4arch9wavefront6targetE1EEEvT1_
; %bb.0:
	.section	.rodata,"a",@progbits
	.p2align	6, 0x0
	.amdhsa_kernel _ZN7rocprim17ROCPRIM_400000_NS6detail17trampoline_kernelINS0_14default_configENS1_20scan_config_selectorIiEEZZNS1_9scan_implILNS1_25lookback_scan_determinismE0ELb0ELb0ES3_PiS8_iN6thrust23THRUST_200600_302600_NS4plusIvEEiEEDaPvRmT3_T4_T5_mT6_P12ihipStream_tbENKUlT_T0_E_clISt17integral_constantIbLb1EESQ_EEDaSL_SM_EUlSL_E_NS1_11comp_targetILNS1_3genE3ELNS1_11target_archE908ELNS1_3gpuE7ELNS1_3repE0EEENS1_30default_config_static_selectorELNS0_4arch9wavefront6targetE1EEEvT1_
		.amdhsa_group_segment_fixed_size 0
		.amdhsa_private_segment_fixed_size 0
		.amdhsa_kernarg_size 96
		.amdhsa_user_sgpr_count 6
		.amdhsa_user_sgpr_private_segment_buffer 1
		.amdhsa_user_sgpr_dispatch_ptr 0
		.amdhsa_user_sgpr_queue_ptr 0
		.amdhsa_user_sgpr_kernarg_segment_ptr 1
		.amdhsa_user_sgpr_dispatch_id 0
		.amdhsa_user_sgpr_flat_scratch_init 0
		.amdhsa_user_sgpr_kernarg_preload_length 0
		.amdhsa_user_sgpr_kernarg_preload_offset 0
		.amdhsa_user_sgpr_private_segment_size 0
		.amdhsa_uses_dynamic_stack 0
		.amdhsa_system_sgpr_private_segment_wavefront_offset 0
		.amdhsa_system_sgpr_workgroup_id_x 1
		.amdhsa_system_sgpr_workgroup_id_y 0
		.amdhsa_system_sgpr_workgroup_id_z 0
		.amdhsa_system_sgpr_workgroup_info 0
		.amdhsa_system_vgpr_workitem_id 0
		.amdhsa_next_free_vgpr 1
		.amdhsa_next_free_sgpr 0
		.amdhsa_accum_offset 4
		.amdhsa_reserve_vcc 0
		.amdhsa_reserve_flat_scratch 0
		.amdhsa_float_round_mode_32 0
		.amdhsa_float_round_mode_16_64 0
		.amdhsa_float_denorm_mode_32 3
		.amdhsa_float_denorm_mode_16_64 3
		.amdhsa_dx10_clamp 1
		.amdhsa_ieee_mode 1
		.amdhsa_fp16_overflow 0
		.amdhsa_tg_split 0
		.amdhsa_exception_fp_ieee_invalid_op 0
		.amdhsa_exception_fp_denorm_src 0
		.amdhsa_exception_fp_ieee_div_zero 0
		.amdhsa_exception_fp_ieee_overflow 0
		.amdhsa_exception_fp_ieee_underflow 0
		.amdhsa_exception_fp_ieee_inexact 0
		.amdhsa_exception_int_div_zero 0
	.end_amdhsa_kernel
	.section	.text._ZN7rocprim17ROCPRIM_400000_NS6detail17trampoline_kernelINS0_14default_configENS1_20scan_config_selectorIiEEZZNS1_9scan_implILNS1_25lookback_scan_determinismE0ELb0ELb0ES3_PiS8_iN6thrust23THRUST_200600_302600_NS4plusIvEEiEEDaPvRmT3_T4_T5_mT6_P12ihipStream_tbENKUlT_T0_E_clISt17integral_constantIbLb1EESQ_EEDaSL_SM_EUlSL_E_NS1_11comp_targetILNS1_3genE3ELNS1_11target_archE908ELNS1_3gpuE7ELNS1_3repE0EEENS1_30default_config_static_selectorELNS0_4arch9wavefront6targetE1EEEvT1_,"axG",@progbits,_ZN7rocprim17ROCPRIM_400000_NS6detail17trampoline_kernelINS0_14default_configENS1_20scan_config_selectorIiEEZZNS1_9scan_implILNS1_25lookback_scan_determinismE0ELb0ELb0ES3_PiS8_iN6thrust23THRUST_200600_302600_NS4plusIvEEiEEDaPvRmT3_T4_T5_mT6_P12ihipStream_tbENKUlT_T0_E_clISt17integral_constantIbLb1EESQ_EEDaSL_SM_EUlSL_E_NS1_11comp_targetILNS1_3genE3ELNS1_11target_archE908ELNS1_3gpuE7ELNS1_3repE0EEENS1_30default_config_static_selectorELNS0_4arch9wavefront6targetE1EEEvT1_,comdat
.Lfunc_end50:
	.size	_ZN7rocprim17ROCPRIM_400000_NS6detail17trampoline_kernelINS0_14default_configENS1_20scan_config_selectorIiEEZZNS1_9scan_implILNS1_25lookback_scan_determinismE0ELb0ELb0ES3_PiS8_iN6thrust23THRUST_200600_302600_NS4plusIvEEiEEDaPvRmT3_T4_T5_mT6_P12ihipStream_tbENKUlT_T0_E_clISt17integral_constantIbLb1EESQ_EEDaSL_SM_EUlSL_E_NS1_11comp_targetILNS1_3genE3ELNS1_11target_archE908ELNS1_3gpuE7ELNS1_3repE0EEENS1_30default_config_static_selectorELNS0_4arch9wavefront6targetE1EEEvT1_, .Lfunc_end50-_ZN7rocprim17ROCPRIM_400000_NS6detail17trampoline_kernelINS0_14default_configENS1_20scan_config_selectorIiEEZZNS1_9scan_implILNS1_25lookback_scan_determinismE0ELb0ELb0ES3_PiS8_iN6thrust23THRUST_200600_302600_NS4plusIvEEiEEDaPvRmT3_T4_T5_mT6_P12ihipStream_tbENKUlT_T0_E_clISt17integral_constantIbLb1EESQ_EEDaSL_SM_EUlSL_E_NS1_11comp_targetILNS1_3genE3ELNS1_11target_archE908ELNS1_3gpuE7ELNS1_3repE0EEENS1_30default_config_static_selectorELNS0_4arch9wavefront6targetE1EEEvT1_
                                        ; -- End function
	.section	.AMDGPU.csdata,"",@progbits
; Kernel info:
; codeLenInByte = 0
; NumSgprs: 4
; NumVgprs: 0
; NumAgprs: 0
; TotalNumVgprs: 0
; ScratchSize: 0
; MemoryBound: 0
; FloatMode: 240
; IeeeMode: 1
; LDSByteSize: 0 bytes/workgroup (compile time only)
; SGPRBlocks: 0
; VGPRBlocks: 0
; NumSGPRsForWavesPerEU: 4
; NumVGPRsForWavesPerEU: 1
; AccumOffset: 4
; Occupancy: 8
; WaveLimiterHint : 0
; COMPUTE_PGM_RSRC2:SCRATCH_EN: 0
; COMPUTE_PGM_RSRC2:USER_SGPR: 6
; COMPUTE_PGM_RSRC2:TRAP_HANDLER: 0
; COMPUTE_PGM_RSRC2:TGID_X_EN: 1
; COMPUTE_PGM_RSRC2:TGID_Y_EN: 0
; COMPUTE_PGM_RSRC2:TGID_Z_EN: 0
; COMPUTE_PGM_RSRC2:TIDIG_COMP_CNT: 0
; COMPUTE_PGM_RSRC3_GFX90A:ACCUM_OFFSET: 0
; COMPUTE_PGM_RSRC3_GFX90A:TG_SPLIT: 0
	.section	.text._ZN7rocprim17ROCPRIM_400000_NS6detail17trampoline_kernelINS0_14default_configENS1_20scan_config_selectorIiEEZZNS1_9scan_implILNS1_25lookback_scan_determinismE0ELb0ELb0ES3_PiS8_iN6thrust23THRUST_200600_302600_NS4plusIvEEiEEDaPvRmT3_T4_T5_mT6_P12ihipStream_tbENKUlT_T0_E_clISt17integral_constantIbLb1EESQ_EEDaSL_SM_EUlSL_E_NS1_11comp_targetILNS1_3genE2ELNS1_11target_archE906ELNS1_3gpuE6ELNS1_3repE0EEENS1_30default_config_static_selectorELNS0_4arch9wavefront6targetE1EEEvT1_,"axG",@progbits,_ZN7rocprim17ROCPRIM_400000_NS6detail17trampoline_kernelINS0_14default_configENS1_20scan_config_selectorIiEEZZNS1_9scan_implILNS1_25lookback_scan_determinismE0ELb0ELb0ES3_PiS8_iN6thrust23THRUST_200600_302600_NS4plusIvEEiEEDaPvRmT3_T4_T5_mT6_P12ihipStream_tbENKUlT_T0_E_clISt17integral_constantIbLb1EESQ_EEDaSL_SM_EUlSL_E_NS1_11comp_targetILNS1_3genE2ELNS1_11target_archE906ELNS1_3gpuE6ELNS1_3repE0EEENS1_30default_config_static_selectorELNS0_4arch9wavefront6targetE1EEEvT1_,comdat
	.protected	_ZN7rocprim17ROCPRIM_400000_NS6detail17trampoline_kernelINS0_14default_configENS1_20scan_config_selectorIiEEZZNS1_9scan_implILNS1_25lookback_scan_determinismE0ELb0ELb0ES3_PiS8_iN6thrust23THRUST_200600_302600_NS4plusIvEEiEEDaPvRmT3_T4_T5_mT6_P12ihipStream_tbENKUlT_T0_E_clISt17integral_constantIbLb1EESQ_EEDaSL_SM_EUlSL_E_NS1_11comp_targetILNS1_3genE2ELNS1_11target_archE906ELNS1_3gpuE6ELNS1_3repE0EEENS1_30default_config_static_selectorELNS0_4arch9wavefront6targetE1EEEvT1_ ; -- Begin function _ZN7rocprim17ROCPRIM_400000_NS6detail17trampoline_kernelINS0_14default_configENS1_20scan_config_selectorIiEEZZNS1_9scan_implILNS1_25lookback_scan_determinismE0ELb0ELb0ES3_PiS8_iN6thrust23THRUST_200600_302600_NS4plusIvEEiEEDaPvRmT3_T4_T5_mT6_P12ihipStream_tbENKUlT_T0_E_clISt17integral_constantIbLb1EESQ_EEDaSL_SM_EUlSL_E_NS1_11comp_targetILNS1_3genE2ELNS1_11target_archE906ELNS1_3gpuE6ELNS1_3repE0EEENS1_30default_config_static_selectorELNS0_4arch9wavefront6targetE1EEEvT1_
	.globl	_ZN7rocprim17ROCPRIM_400000_NS6detail17trampoline_kernelINS0_14default_configENS1_20scan_config_selectorIiEEZZNS1_9scan_implILNS1_25lookback_scan_determinismE0ELb0ELb0ES3_PiS8_iN6thrust23THRUST_200600_302600_NS4plusIvEEiEEDaPvRmT3_T4_T5_mT6_P12ihipStream_tbENKUlT_T0_E_clISt17integral_constantIbLb1EESQ_EEDaSL_SM_EUlSL_E_NS1_11comp_targetILNS1_3genE2ELNS1_11target_archE906ELNS1_3gpuE6ELNS1_3repE0EEENS1_30default_config_static_selectorELNS0_4arch9wavefront6targetE1EEEvT1_
	.p2align	8
	.type	_ZN7rocprim17ROCPRIM_400000_NS6detail17trampoline_kernelINS0_14default_configENS1_20scan_config_selectorIiEEZZNS1_9scan_implILNS1_25lookback_scan_determinismE0ELb0ELb0ES3_PiS8_iN6thrust23THRUST_200600_302600_NS4plusIvEEiEEDaPvRmT3_T4_T5_mT6_P12ihipStream_tbENKUlT_T0_E_clISt17integral_constantIbLb1EESQ_EEDaSL_SM_EUlSL_E_NS1_11comp_targetILNS1_3genE2ELNS1_11target_archE906ELNS1_3gpuE6ELNS1_3repE0EEENS1_30default_config_static_selectorELNS0_4arch9wavefront6targetE1EEEvT1_,@function
_ZN7rocprim17ROCPRIM_400000_NS6detail17trampoline_kernelINS0_14default_configENS1_20scan_config_selectorIiEEZZNS1_9scan_implILNS1_25lookback_scan_determinismE0ELb0ELb0ES3_PiS8_iN6thrust23THRUST_200600_302600_NS4plusIvEEiEEDaPvRmT3_T4_T5_mT6_P12ihipStream_tbENKUlT_T0_E_clISt17integral_constantIbLb1EESQ_EEDaSL_SM_EUlSL_E_NS1_11comp_targetILNS1_3genE2ELNS1_11target_archE906ELNS1_3gpuE6ELNS1_3repE0EEENS1_30default_config_static_selectorELNS0_4arch9wavefront6targetE1EEEvT1_: ; @_ZN7rocprim17ROCPRIM_400000_NS6detail17trampoline_kernelINS0_14default_configENS1_20scan_config_selectorIiEEZZNS1_9scan_implILNS1_25lookback_scan_determinismE0ELb0ELb0ES3_PiS8_iN6thrust23THRUST_200600_302600_NS4plusIvEEiEEDaPvRmT3_T4_T5_mT6_P12ihipStream_tbENKUlT_T0_E_clISt17integral_constantIbLb1EESQ_EEDaSL_SM_EUlSL_E_NS1_11comp_targetILNS1_3genE2ELNS1_11target_archE906ELNS1_3gpuE6ELNS1_3repE0EEENS1_30default_config_static_selectorELNS0_4arch9wavefront6targetE1EEEvT1_
; %bb.0:
	.section	.rodata,"a",@progbits
	.p2align	6, 0x0
	.amdhsa_kernel _ZN7rocprim17ROCPRIM_400000_NS6detail17trampoline_kernelINS0_14default_configENS1_20scan_config_selectorIiEEZZNS1_9scan_implILNS1_25lookback_scan_determinismE0ELb0ELb0ES3_PiS8_iN6thrust23THRUST_200600_302600_NS4plusIvEEiEEDaPvRmT3_T4_T5_mT6_P12ihipStream_tbENKUlT_T0_E_clISt17integral_constantIbLb1EESQ_EEDaSL_SM_EUlSL_E_NS1_11comp_targetILNS1_3genE2ELNS1_11target_archE906ELNS1_3gpuE6ELNS1_3repE0EEENS1_30default_config_static_selectorELNS0_4arch9wavefront6targetE1EEEvT1_
		.amdhsa_group_segment_fixed_size 0
		.amdhsa_private_segment_fixed_size 0
		.amdhsa_kernarg_size 96
		.amdhsa_user_sgpr_count 6
		.amdhsa_user_sgpr_private_segment_buffer 1
		.amdhsa_user_sgpr_dispatch_ptr 0
		.amdhsa_user_sgpr_queue_ptr 0
		.amdhsa_user_sgpr_kernarg_segment_ptr 1
		.amdhsa_user_sgpr_dispatch_id 0
		.amdhsa_user_sgpr_flat_scratch_init 0
		.amdhsa_user_sgpr_kernarg_preload_length 0
		.amdhsa_user_sgpr_kernarg_preload_offset 0
		.amdhsa_user_sgpr_private_segment_size 0
		.amdhsa_uses_dynamic_stack 0
		.amdhsa_system_sgpr_private_segment_wavefront_offset 0
		.amdhsa_system_sgpr_workgroup_id_x 1
		.amdhsa_system_sgpr_workgroup_id_y 0
		.amdhsa_system_sgpr_workgroup_id_z 0
		.amdhsa_system_sgpr_workgroup_info 0
		.amdhsa_system_vgpr_workitem_id 0
		.amdhsa_next_free_vgpr 1
		.amdhsa_next_free_sgpr 0
		.amdhsa_accum_offset 4
		.amdhsa_reserve_vcc 0
		.amdhsa_reserve_flat_scratch 0
		.amdhsa_float_round_mode_32 0
		.amdhsa_float_round_mode_16_64 0
		.amdhsa_float_denorm_mode_32 3
		.amdhsa_float_denorm_mode_16_64 3
		.amdhsa_dx10_clamp 1
		.amdhsa_ieee_mode 1
		.amdhsa_fp16_overflow 0
		.amdhsa_tg_split 0
		.amdhsa_exception_fp_ieee_invalid_op 0
		.amdhsa_exception_fp_denorm_src 0
		.amdhsa_exception_fp_ieee_div_zero 0
		.amdhsa_exception_fp_ieee_overflow 0
		.amdhsa_exception_fp_ieee_underflow 0
		.amdhsa_exception_fp_ieee_inexact 0
		.amdhsa_exception_int_div_zero 0
	.end_amdhsa_kernel
	.section	.text._ZN7rocprim17ROCPRIM_400000_NS6detail17trampoline_kernelINS0_14default_configENS1_20scan_config_selectorIiEEZZNS1_9scan_implILNS1_25lookback_scan_determinismE0ELb0ELb0ES3_PiS8_iN6thrust23THRUST_200600_302600_NS4plusIvEEiEEDaPvRmT3_T4_T5_mT6_P12ihipStream_tbENKUlT_T0_E_clISt17integral_constantIbLb1EESQ_EEDaSL_SM_EUlSL_E_NS1_11comp_targetILNS1_3genE2ELNS1_11target_archE906ELNS1_3gpuE6ELNS1_3repE0EEENS1_30default_config_static_selectorELNS0_4arch9wavefront6targetE1EEEvT1_,"axG",@progbits,_ZN7rocprim17ROCPRIM_400000_NS6detail17trampoline_kernelINS0_14default_configENS1_20scan_config_selectorIiEEZZNS1_9scan_implILNS1_25lookback_scan_determinismE0ELb0ELb0ES3_PiS8_iN6thrust23THRUST_200600_302600_NS4plusIvEEiEEDaPvRmT3_T4_T5_mT6_P12ihipStream_tbENKUlT_T0_E_clISt17integral_constantIbLb1EESQ_EEDaSL_SM_EUlSL_E_NS1_11comp_targetILNS1_3genE2ELNS1_11target_archE906ELNS1_3gpuE6ELNS1_3repE0EEENS1_30default_config_static_selectorELNS0_4arch9wavefront6targetE1EEEvT1_,comdat
.Lfunc_end51:
	.size	_ZN7rocprim17ROCPRIM_400000_NS6detail17trampoline_kernelINS0_14default_configENS1_20scan_config_selectorIiEEZZNS1_9scan_implILNS1_25lookback_scan_determinismE0ELb0ELb0ES3_PiS8_iN6thrust23THRUST_200600_302600_NS4plusIvEEiEEDaPvRmT3_T4_T5_mT6_P12ihipStream_tbENKUlT_T0_E_clISt17integral_constantIbLb1EESQ_EEDaSL_SM_EUlSL_E_NS1_11comp_targetILNS1_3genE2ELNS1_11target_archE906ELNS1_3gpuE6ELNS1_3repE0EEENS1_30default_config_static_selectorELNS0_4arch9wavefront6targetE1EEEvT1_, .Lfunc_end51-_ZN7rocprim17ROCPRIM_400000_NS6detail17trampoline_kernelINS0_14default_configENS1_20scan_config_selectorIiEEZZNS1_9scan_implILNS1_25lookback_scan_determinismE0ELb0ELb0ES3_PiS8_iN6thrust23THRUST_200600_302600_NS4plusIvEEiEEDaPvRmT3_T4_T5_mT6_P12ihipStream_tbENKUlT_T0_E_clISt17integral_constantIbLb1EESQ_EEDaSL_SM_EUlSL_E_NS1_11comp_targetILNS1_3genE2ELNS1_11target_archE906ELNS1_3gpuE6ELNS1_3repE0EEENS1_30default_config_static_selectorELNS0_4arch9wavefront6targetE1EEEvT1_
                                        ; -- End function
	.section	.AMDGPU.csdata,"",@progbits
; Kernel info:
; codeLenInByte = 0
; NumSgprs: 4
; NumVgprs: 0
; NumAgprs: 0
; TotalNumVgprs: 0
; ScratchSize: 0
; MemoryBound: 0
; FloatMode: 240
; IeeeMode: 1
; LDSByteSize: 0 bytes/workgroup (compile time only)
; SGPRBlocks: 0
; VGPRBlocks: 0
; NumSGPRsForWavesPerEU: 4
; NumVGPRsForWavesPerEU: 1
; AccumOffset: 4
; Occupancy: 8
; WaveLimiterHint : 0
; COMPUTE_PGM_RSRC2:SCRATCH_EN: 0
; COMPUTE_PGM_RSRC2:USER_SGPR: 6
; COMPUTE_PGM_RSRC2:TRAP_HANDLER: 0
; COMPUTE_PGM_RSRC2:TGID_X_EN: 1
; COMPUTE_PGM_RSRC2:TGID_Y_EN: 0
; COMPUTE_PGM_RSRC2:TGID_Z_EN: 0
; COMPUTE_PGM_RSRC2:TIDIG_COMP_CNT: 0
; COMPUTE_PGM_RSRC3_GFX90A:ACCUM_OFFSET: 0
; COMPUTE_PGM_RSRC3_GFX90A:TG_SPLIT: 0
	.section	.text._ZN7rocprim17ROCPRIM_400000_NS6detail17trampoline_kernelINS0_14default_configENS1_20scan_config_selectorIiEEZZNS1_9scan_implILNS1_25lookback_scan_determinismE0ELb0ELb0ES3_PiS8_iN6thrust23THRUST_200600_302600_NS4plusIvEEiEEDaPvRmT3_T4_T5_mT6_P12ihipStream_tbENKUlT_T0_E_clISt17integral_constantIbLb1EESQ_EEDaSL_SM_EUlSL_E_NS1_11comp_targetILNS1_3genE10ELNS1_11target_archE1201ELNS1_3gpuE5ELNS1_3repE0EEENS1_30default_config_static_selectorELNS0_4arch9wavefront6targetE1EEEvT1_,"axG",@progbits,_ZN7rocprim17ROCPRIM_400000_NS6detail17trampoline_kernelINS0_14default_configENS1_20scan_config_selectorIiEEZZNS1_9scan_implILNS1_25lookback_scan_determinismE0ELb0ELb0ES3_PiS8_iN6thrust23THRUST_200600_302600_NS4plusIvEEiEEDaPvRmT3_T4_T5_mT6_P12ihipStream_tbENKUlT_T0_E_clISt17integral_constantIbLb1EESQ_EEDaSL_SM_EUlSL_E_NS1_11comp_targetILNS1_3genE10ELNS1_11target_archE1201ELNS1_3gpuE5ELNS1_3repE0EEENS1_30default_config_static_selectorELNS0_4arch9wavefront6targetE1EEEvT1_,comdat
	.protected	_ZN7rocprim17ROCPRIM_400000_NS6detail17trampoline_kernelINS0_14default_configENS1_20scan_config_selectorIiEEZZNS1_9scan_implILNS1_25lookback_scan_determinismE0ELb0ELb0ES3_PiS8_iN6thrust23THRUST_200600_302600_NS4plusIvEEiEEDaPvRmT3_T4_T5_mT6_P12ihipStream_tbENKUlT_T0_E_clISt17integral_constantIbLb1EESQ_EEDaSL_SM_EUlSL_E_NS1_11comp_targetILNS1_3genE10ELNS1_11target_archE1201ELNS1_3gpuE5ELNS1_3repE0EEENS1_30default_config_static_selectorELNS0_4arch9wavefront6targetE1EEEvT1_ ; -- Begin function _ZN7rocprim17ROCPRIM_400000_NS6detail17trampoline_kernelINS0_14default_configENS1_20scan_config_selectorIiEEZZNS1_9scan_implILNS1_25lookback_scan_determinismE0ELb0ELb0ES3_PiS8_iN6thrust23THRUST_200600_302600_NS4plusIvEEiEEDaPvRmT3_T4_T5_mT6_P12ihipStream_tbENKUlT_T0_E_clISt17integral_constantIbLb1EESQ_EEDaSL_SM_EUlSL_E_NS1_11comp_targetILNS1_3genE10ELNS1_11target_archE1201ELNS1_3gpuE5ELNS1_3repE0EEENS1_30default_config_static_selectorELNS0_4arch9wavefront6targetE1EEEvT1_
	.globl	_ZN7rocprim17ROCPRIM_400000_NS6detail17trampoline_kernelINS0_14default_configENS1_20scan_config_selectorIiEEZZNS1_9scan_implILNS1_25lookback_scan_determinismE0ELb0ELb0ES3_PiS8_iN6thrust23THRUST_200600_302600_NS4plusIvEEiEEDaPvRmT3_T4_T5_mT6_P12ihipStream_tbENKUlT_T0_E_clISt17integral_constantIbLb1EESQ_EEDaSL_SM_EUlSL_E_NS1_11comp_targetILNS1_3genE10ELNS1_11target_archE1201ELNS1_3gpuE5ELNS1_3repE0EEENS1_30default_config_static_selectorELNS0_4arch9wavefront6targetE1EEEvT1_
	.p2align	8
	.type	_ZN7rocprim17ROCPRIM_400000_NS6detail17trampoline_kernelINS0_14default_configENS1_20scan_config_selectorIiEEZZNS1_9scan_implILNS1_25lookback_scan_determinismE0ELb0ELb0ES3_PiS8_iN6thrust23THRUST_200600_302600_NS4plusIvEEiEEDaPvRmT3_T4_T5_mT6_P12ihipStream_tbENKUlT_T0_E_clISt17integral_constantIbLb1EESQ_EEDaSL_SM_EUlSL_E_NS1_11comp_targetILNS1_3genE10ELNS1_11target_archE1201ELNS1_3gpuE5ELNS1_3repE0EEENS1_30default_config_static_selectorELNS0_4arch9wavefront6targetE1EEEvT1_,@function
_ZN7rocprim17ROCPRIM_400000_NS6detail17trampoline_kernelINS0_14default_configENS1_20scan_config_selectorIiEEZZNS1_9scan_implILNS1_25lookback_scan_determinismE0ELb0ELb0ES3_PiS8_iN6thrust23THRUST_200600_302600_NS4plusIvEEiEEDaPvRmT3_T4_T5_mT6_P12ihipStream_tbENKUlT_T0_E_clISt17integral_constantIbLb1EESQ_EEDaSL_SM_EUlSL_E_NS1_11comp_targetILNS1_3genE10ELNS1_11target_archE1201ELNS1_3gpuE5ELNS1_3repE0EEENS1_30default_config_static_selectorELNS0_4arch9wavefront6targetE1EEEvT1_: ; @_ZN7rocprim17ROCPRIM_400000_NS6detail17trampoline_kernelINS0_14default_configENS1_20scan_config_selectorIiEEZZNS1_9scan_implILNS1_25lookback_scan_determinismE0ELb0ELb0ES3_PiS8_iN6thrust23THRUST_200600_302600_NS4plusIvEEiEEDaPvRmT3_T4_T5_mT6_P12ihipStream_tbENKUlT_T0_E_clISt17integral_constantIbLb1EESQ_EEDaSL_SM_EUlSL_E_NS1_11comp_targetILNS1_3genE10ELNS1_11target_archE1201ELNS1_3gpuE5ELNS1_3repE0EEENS1_30default_config_static_selectorELNS0_4arch9wavefront6targetE1EEEvT1_
; %bb.0:
	.section	.rodata,"a",@progbits
	.p2align	6, 0x0
	.amdhsa_kernel _ZN7rocprim17ROCPRIM_400000_NS6detail17trampoline_kernelINS0_14default_configENS1_20scan_config_selectorIiEEZZNS1_9scan_implILNS1_25lookback_scan_determinismE0ELb0ELb0ES3_PiS8_iN6thrust23THRUST_200600_302600_NS4plusIvEEiEEDaPvRmT3_T4_T5_mT6_P12ihipStream_tbENKUlT_T0_E_clISt17integral_constantIbLb1EESQ_EEDaSL_SM_EUlSL_E_NS1_11comp_targetILNS1_3genE10ELNS1_11target_archE1201ELNS1_3gpuE5ELNS1_3repE0EEENS1_30default_config_static_selectorELNS0_4arch9wavefront6targetE1EEEvT1_
		.amdhsa_group_segment_fixed_size 0
		.amdhsa_private_segment_fixed_size 0
		.amdhsa_kernarg_size 96
		.amdhsa_user_sgpr_count 6
		.amdhsa_user_sgpr_private_segment_buffer 1
		.amdhsa_user_sgpr_dispatch_ptr 0
		.amdhsa_user_sgpr_queue_ptr 0
		.amdhsa_user_sgpr_kernarg_segment_ptr 1
		.amdhsa_user_sgpr_dispatch_id 0
		.amdhsa_user_sgpr_flat_scratch_init 0
		.amdhsa_user_sgpr_kernarg_preload_length 0
		.amdhsa_user_sgpr_kernarg_preload_offset 0
		.amdhsa_user_sgpr_private_segment_size 0
		.amdhsa_uses_dynamic_stack 0
		.amdhsa_system_sgpr_private_segment_wavefront_offset 0
		.amdhsa_system_sgpr_workgroup_id_x 1
		.amdhsa_system_sgpr_workgroup_id_y 0
		.amdhsa_system_sgpr_workgroup_id_z 0
		.amdhsa_system_sgpr_workgroup_info 0
		.amdhsa_system_vgpr_workitem_id 0
		.amdhsa_next_free_vgpr 1
		.amdhsa_next_free_sgpr 0
		.amdhsa_accum_offset 4
		.amdhsa_reserve_vcc 0
		.amdhsa_reserve_flat_scratch 0
		.amdhsa_float_round_mode_32 0
		.amdhsa_float_round_mode_16_64 0
		.amdhsa_float_denorm_mode_32 3
		.amdhsa_float_denorm_mode_16_64 3
		.amdhsa_dx10_clamp 1
		.amdhsa_ieee_mode 1
		.amdhsa_fp16_overflow 0
		.amdhsa_tg_split 0
		.amdhsa_exception_fp_ieee_invalid_op 0
		.amdhsa_exception_fp_denorm_src 0
		.amdhsa_exception_fp_ieee_div_zero 0
		.amdhsa_exception_fp_ieee_overflow 0
		.amdhsa_exception_fp_ieee_underflow 0
		.amdhsa_exception_fp_ieee_inexact 0
		.amdhsa_exception_int_div_zero 0
	.end_amdhsa_kernel
	.section	.text._ZN7rocprim17ROCPRIM_400000_NS6detail17trampoline_kernelINS0_14default_configENS1_20scan_config_selectorIiEEZZNS1_9scan_implILNS1_25lookback_scan_determinismE0ELb0ELb0ES3_PiS8_iN6thrust23THRUST_200600_302600_NS4plusIvEEiEEDaPvRmT3_T4_T5_mT6_P12ihipStream_tbENKUlT_T0_E_clISt17integral_constantIbLb1EESQ_EEDaSL_SM_EUlSL_E_NS1_11comp_targetILNS1_3genE10ELNS1_11target_archE1201ELNS1_3gpuE5ELNS1_3repE0EEENS1_30default_config_static_selectorELNS0_4arch9wavefront6targetE1EEEvT1_,"axG",@progbits,_ZN7rocprim17ROCPRIM_400000_NS6detail17trampoline_kernelINS0_14default_configENS1_20scan_config_selectorIiEEZZNS1_9scan_implILNS1_25lookback_scan_determinismE0ELb0ELb0ES3_PiS8_iN6thrust23THRUST_200600_302600_NS4plusIvEEiEEDaPvRmT3_T4_T5_mT6_P12ihipStream_tbENKUlT_T0_E_clISt17integral_constantIbLb1EESQ_EEDaSL_SM_EUlSL_E_NS1_11comp_targetILNS1_3genE10ELNS1_11target_archE1201ELNS1_3gpuE5ELNS1_3repE0EEENS1_30default_config_static_selectorELNS0_4arch9wavefront6targetE1EEEvT1_,comdat
.Lfunc_end52:
	.size	_ZN7rocprim17ROCPRIM_400000_NS6detail17trampoline_kernelINS0_14default_configENS1_20scan_config_selectorIiEEZZNS1_9scan_implILNS1_25lookback_scan_determinismE0ELb0ELb0ES3_PiS8_iN6thrust23THRUST_200600_302600_NS4plusIvEEiEEDaPvRmT3_T4_T5_mT6_P12ihipStream_tbENKUlT_T0_E_clISt17integral_constantIbLb1EESQ_EEDaSL_SM_EUlSL_E_NS1_11comp_targetILNS1_3genE10ELNS1_11target_archE1201ELNS1_3gpuE5ELNS1_3repE0EEENS1_30default_config_static_selectorELNS0_4arch9wavefront6targetE1EEEvT1_, .Lfunc_end52-_ZN7rocprim17ROCPRIM_400000_NS6detail17trampoline_kernelINS0_14default_configENS1_20scan_config_selectorIiEEZZNS1_9scan_implILNS1_25lookback_scan_determinismE0ELb0ELb0ES3_PiS8_iN6thrust23THRUST_200600_302600_NS4plusIvEEiEEDaPvRmT3_T4_T5_mT6_P12ihipStream_tbENKUlT_T0_E_clISt17integral_constantIbLb1EESQ_EEDaSL_SM_EUlSL_E_NS1_11comp_targetILNS1_3genE10ELNS1_11target_archE1201ELNS1_3gpuE5ELNS1_3repE0EEENS1_30default_config_static_selectorELNS0_4arch9wavefront6targetE1EEEvT1_
                                        ; -- End function
	.section	.AMDGPU.csdata,"",@progbits
; Kernel info:
; codeLenInByte = 0
; NumSgprs: 4
; NumVgprs: 0
; NumAgprs: 0
; TotalNumVgprs: 0
; ScratchSize: 0
; MemoryBound: 0
; FloatMode: 240
; IeeeMode: 1
; LDSByteSize: 0 bytes/workgroup (compile time only)
; SGPRBlocks: 0
; VGPRBlocks: 0
; NumSGPRsForWavesPerEU: 4
; NumVGPRsForWavesPerEU: 1
; AccumOffset: 4
; Occupancy: 8
; WaveLimiterHint : 0
; COMPUTE_PGM_RSRC2:SCRATCH_EN: 0
; COMPUTE_PGM_RSRC2:USER_SGPR: 6
; COMPUTE_PGM_RSRC2:TRAP_HANDLER: 0
; COMPUTE_PGM_RSRC2:TGID_X_EN: 1
; COMPUTE_PGM_RSRC2:TGID_Y_EN: 0
; COMPUTE_PGM_RSRC2:TGID_Z_EN: 0
; COMPUTE_PGM_RSRC2:TIDIG_COMP_CNT: 0
; COMPUTE_PGM_RSRC3_GFX90A:ACCUM_OFFSET: 0
; COMPUTE_PGM_RSRC3_GFX90A:TG_SPLIT: 0
	.section	.text._ZN7rocprim17ROCPRIM_400000_NS6detail17trampoline_kernelINS0_14default_configENS1_20scan_config_selectorIiEEZZNS1_9scan_implILNS1_25lookback_scan_determinismE0ELb0ELb0ES3_PiS8_iN6thrust23THRUST_200600_302600_NS4plusIvEEiEEDaPvRmT3_T4_T5_mT6_P12ihipStream_tbENKUlT_T0_E_clISt17integral_constantIbLb1EESQ_EEDaSL_SM_EUlSL_E_NS1_11comp_targetILNS1_3genE10ELNS1_11target_archE1200ELNS1_3gpuE4ELNS1_3repE0EEENS1_30default_config_static_selectorELNS0_4arch9wavefront6targetE1EEEvT1_,"axG",@progbits,_ZN7rocprim17ROCPRIM_400000_NS6detail17trampoline_kernelINS0_14default_configENS1_20scan_config_selectorIiEEZZNS1_9scan_implILNS1_25lookback_scan_determinismE0ELb0ELb0ES3_PiS8_iN6thrust23THRUST_200600_302600_NS4plusIvEEiEEDaPvRmT3_T4_T5_mT6_P12ihipStream_tbENKUlT_T0_E_clISt17integral_constantIbLb1EESQ_EEDaSL_SM_EUlSL_E_NS1_11comp_targetILNS1_3genE10ELNS1_11target_archE1200ELNS1_3gpuE4ELNS1_3repE0EEENS1_30default_config_static_selectorELNS0_4arch9wavefront6targetE1EEEvT1_,comdat
	.protected	_ZN7rocprim17ROCPRIM_400000_NS6detail17trampoline_kernelINS0_14default_configENS1_20scan_config_selectorIiEEZZNS1_9scan_implILNS1_25lookback_scan_determinismE0ELb0ELb0ES3_PiS8_iN6thrust23THRUST_200600_302600_NS4plusIvEEiEEDaPvRmT3_T4_T5_mT6_P12ihipStream_tbENKUlT_T0_E_clISt17integral_constantIbLb1EESQ_EEDaSL_SM_EUlSL_E_NS1_11comp_targetILNS1_3genE10ELNS1_11target_archE1200ELNS1_3gpuE4ELNS1_3repE0EEENS1_30default_config_static_selectorELNS0_4arch9wavefront6targetE1EEEvT1_ ; -- Begin function _ZN7rocprim17ROCPRIM_400000_NS6detail17trampoline_kernelINS0_14default_configENS1_20scan_config_selectorIiEEZZNS1_9scan_implILNS1_25lookback_scan_determinismE0ELb0ELb0ES3_PiS8_iN6thrust23THRUST_200600_302600_NS4plusIvEEiEEDaPvRmT3_T4_T5_mT6_P12ihipStream_tbENKUlT_T0_E_clISt17integral_constantIbLb1EESQ_EEDaSL_SM_EUlSL_E_NS1_11comp_targetILNS1_3genE10ELNS1_11target_archE1200ELNS1_3gpuE4ELNS1_3repE0EEENS1_30default_config_static_selectorELNS0_4arch9wavefront6targetE1EEEvT1_
	.globl	_ZN7rocprim17ROCPRIM_400000_NS6detail17trampoline_kernelINS0_14default_configENS1_20scan_config_selectorIiEEZZNS1_9scan_implILNS1_25lookback_scan_determinismE0ELb0ELb0ES3_PiS8_iN6thrust23THRUST_200600_302600_NS4plusIvEEiEEDaPvRmT3_T4_T5_mT6_P12ihipStream_tbENKUlT_T0_E_clISt17integral_constantIbLb1EESQ_EEDaSL_SM_EUlSL_E_NS1_11comp_targetILNS1_3genE10ELNS1_11target_archE1200ELNS1_3gpuE4ELNS1_3repE0EEENS1_30default_config_static_selectorELNS0_4arch9wavefront6targetE1EEEvT1_
	.p2align	8
	.type	_ZN7rocprim17ROCPRIM_400000_NS6detail17trampoline_kernelINS0_14default_configENS1_20scan_config_selectorIiEEZZNS1_9scan_implILNS1_25lookback_scan_determinismE0ELb0ELb0ES3_PiS8_iN6thrust23THRUST_200600_302600_NS4plusIvEEiEEDaPvRmT3_T4_T5_mT6_P12ihipStream_tbENKUlT_T0_E_clISt17integral_constantIbLb1EESQ_EEDaSL_SM_EUlSL_E_NS1_11comp_targetILNS1_3genE10ELNS1_11target_archE1200ELNS1_3gpuE4ELNS1_3repE0EEENS1_30default_config_static_selectorELNS0_4arch9wavefront6targetE1EEEvT1_,@function
_ZN7rocprim17ROCPRIM_400000_NS6detail17trampoline_kernelINS0_14default_configENS1_20scan_config_selectorIiEEZZNS1_9scan_implILNS1_25lookback_scan_determinismE0ELb0ELb0ES3_PiS8_iN6thrust23THRUST_200600_302600_NS4plusIvEEiEEDaPvRmT3_T4_T5_mT6_P12ihipStream_tbENKUlT_T0_E_clISt17integral_constantIbLb1EESQ_EEDaSL_SM_EUlSL_E_NS1_11comp_targetILNS1_3genE10ELNS1_11target_archE1200ELNS1_3gpuE4ELNS1_3repE0EEENS1_30default_config_static_selectorELNS0_4arch9wavefront6targetE1EEEvT1_: ; @_ZN7rocprim17ROCPRIM_400000_NS6detail17trampoline_kernelINS0_14default_configENS1_20scan_config_selectorIiEEZZNS1_9scan_implILNS1_25lookback_scan_determinismE0ELb0ELb0ES3_PiS8_iN6thrust23THRUST_200600_302600_NS4plusIvEEiEEDaPvRmT3_T4_T5_mT6_P12ihipStream_tbENKUlT_T0_E_clISt17integral_constantIbLb1EESQ_EEDaSL_SM_EUlSL_E_NS1_11comp_targetILNS1_3genE10ELNS1_11target_archE1200ELNS1_3gpuE4ELNS1_3repE0EEENS1_30default_config_static_selectorELNS0_4arch9wavefront6targetE1EEEvT1_
; %bb.0:
	.section	.rodata,"a",@progbits
	.p2align	6, 0x0
	.amdhsa_kernel _ZN7rocprim17ROCPRIM_400000_NS6detail17trampoline_kernelINS0_14default_configENS1_20scan_config_selectorIiEEZZNS1_9scan_implILNS1_25lookback_scan_determinismE0ELb0ELb0ES3_PiS8_iN6thrust23THRUST_200600_302600_NS4plusIvEEiEEDaPvRmT3_T4_T5_mT6_P12ihipStream_tbENKUlT_T0_E_clISt17integral_constantIbLb1EESQ_EEDaSL_SM_EUlSL_E_NS1_11comp_targetILNS1_3genE10ELNS1_11target_archE1200ELNS1_3gpuE4ELNS1_3repE0EEENS1_30default_config_static_selectorELNS0_4arch9wavefront6targetE1EEEvT1_
		.amdhsa_group_segment_fixed_size 0
		.amdhsa_private_segment_fixed_size 0
		.amdhsa_kernarg_size 96
		.amdhsa_user_sgpr_count 6
		.amdhsa_user_sgpr_private_segment_buffer 1
		.amdhsa_user_sgpr_dispatch_ptr 0
		.amdhsa_user_sgpr_queue_ptr 0
		.amdhsa_user_sgpr_kernarg_segment_ptr 1
		.amdhsa_user_sgpr_dispatch_id 0
		.amdhsa_user_sgpr_flat_scratch_init 0
		.amdhsa_user_sgpr_kernarg_preload_length 0
		.amdhsa_user_sgpr_kernarg_preload_offset 0
		.amdhsa_user_sgpr_private_segment_size 0
		.amdhsa_uses_dynamic_stack 0
		.amdhsa_system_sgpr_private_segment_wavefront_offset 0
		.amdhsa_system_sgpr_workgroup_id_x 1
		.amdhsa_system_sgpr_workgroup_id_y 0
		.amdhsa_system_sgpr_workgroup_id_z 0
		.amdhsa_system_sgpr_workgroup_info 0
		.amdhsa_system_vgpr_workitem_id 0
		.amdhsa_next_free_vgpr 1
		.amdhsa_next_free_sgpr 0
		.amdhsa_accum_offset 4
		.amdhsa_reserve_vcc 0
		.amdhsa_reserve_flat_scratch 0
		.amdhsa_float_round_mode_32 0
		.amdhsa_float_round_mode_16_64 0
		.amdhsa_float_denorm_mode_32 3
		.amdhsa_float_denorm_mode_16_64 3
		.amdhsa_dx10_clamp 1
		.amdhsa_ieee_mode 1
		.amdhsa_fp16_overflow 0
		.amdhsa_tg_split 0
		.amdhsa_exception_fp_ieee_invalid_op 0
		.amdhsa_exception_fp_denorm_src 0
		.amdhsa_exception_fp_ieee_div_zero 0
		.amdhsa_exception_fp_ieee_overflow 0
		.amdhsa_exception_fp_ieee_underflow 0
		.amdhsa_exception_fp_ieee_inexact 0
		.amdhsa_exception_int_div_zero 0
	.end_amdhsa_kernel
	.section	.text._ZN7rocprim17ROCPRIM_400000_NS6detail17trampoline_kernelINS0_14default_configENS1_20scan_config_selectorIiEEZZNS1_9scan_implILNS1_25lookback_scan_determinismE0ELb0ELb0ES3_PiS8_iN6thrust23THRUST_200600_302600_NS4plusIvEEiEEDaPvRmT3_T4_T5_mT6_P12ihipStream_tbENKUlT_T0_E_clISt17integral_constantIbLb1EESQ_EEDaSL_SM_EUlSL_E_NS1_11comp_targetILNS1_3genE10ELNS1_11target_archE1200ELNS1_3gpuE4ELNS1_3repE0EEENS1_30default_config_static_selectorELNS0_4arch9wavefront6targetE1EEEvT1_,"axG",@progbits,_ZN7rocprim17ROCPRIM_400000_NS6detail17trampoline_kernelINS0_14default_configENS1_20scan_config_selectorIiEEZZNS1_9scan_implILNS1_25lookback_scan_determinismE0ELb0ELb0ES3_PiS8_iN6thrust23THRUST_200600_302600_NS4plusIvEEiEEDaPvRmT3_T4_T5_mT6_P12ihipStream_tbENKUlT_T0_E_clISt17integral_constantIbLb1EESQ_EEDaSL_SM_EUlSL_E_NS1_11comp_targetILNS1_3genE10ELNS1_11target_archE1200ELNS1_3gpuE4ELNS1_3repE0EEENS1_30default_config_static_selectorELNS0_4arch9wavefront6targetE1EEEvT1_,comdat
.Lfunc_end53:
	.size	_ZN7rocprim17ROCPRIM_400000_NS6detail17trampoline_kernelINS0_14default_configENS1_20scan_config_selectorIiEEZZNS1_9scan_implILNS1_25lookback_scan_determinismE0ELb0ELb0ES3_PiS8_iN6thrust23THRUST_200600_302600_NS4plusIvEEiEEDaPvRmT3_T4_T5_mT6_P12ihipStream_tbENKUlT_T0_E_clISt17integral_constantIbLb1EESQ_EEDaSL_SM_EUlSL_E_NS1_11comp_targetILNS1_3genE10ELNS1_11target_archE1200ELNS1_3gpuE4ELNS1_3repE0EEENS1_30default_config_static_selectorELNS0_4arch9wavefront6targetE1EEEvT1_, .Lfunc_end53-_ZN7rocprim17ROCPRIM_400000_NS6detail17trampoline_kernelINS0_14default_configENS1_20scan_config_selectorIiEEZZNS1_9scan_implILNS1_25lookback_scan_determinismE0ELb0ELb0ES3_PiS8_iN6thrust23THRUST_200600_302600_NS4plusIvEEiEEDaPvRmT3_T4_T5_mT6_P12ihipStream_tbENKUlT_T0_E_clISt17integral_constantIbLb1EESQ_EEDaSL_SM_EUlSL_E_NS1_11comp_targetILNS1_3genE10ELNS1_11target_archE1200ELNS1_3gpuE4ELNS1_3repE0EEENS1_30default_config_static_selectorELNS0_4arch9wavefront6targetE1EEEvT1_
                                        ; -- End function
	.section	.AMDGPU.csdata,"",@progbits
; Kernel info:
; codeLenInByte = 0
; NumSgprs: 4
; NumVgprs: 0
; NumAgprs: 0
; TotalNumVgprs: 0
; ScratchSize: 0
; MemoryBound: 0
; FloatMode: 240
; IeeeMode: 1
; LDSByteSize: 0 bytes/workgroup (compile time only)
; SGPRBlocks: 0
; VGPRBlocks: 0
; NumSGPRsForWavesPerEU: 4
; NumVGPRsForWavesPerEU: 1
; AccumOffset: 4
; Occupancy: 8
; WaveLimiterHint : 0
; COMPUTE_PGM_RSRC2:SCRATCH_EN: 0
; COMPUTE_PGM_RSRC2:USER_SGPR: 6
; COMPUTE_PGM_RSRC2:TRAP_HANDLER: 0
; COMPUTE_PGM_RSRC2:TGID_X_EN: 1
; COMPUTE_PGM_RSRC2:TGID_Y_EN: 0
; COMPUTE_PGM_RSRC2:TGID_Z_EN: 0
; COMPUTE_PGM_RSRC2:TIDIG_COMP_CNT: 0
; COMPUTE_PGM_RSRC3_GFX90A:ACCUM_OFFSET: 0
; COMPUTE_PGM_RSRC3_GFX90A:TG_SPLIT: 0
	.section	.text._ZN7rocprim17ROCPRIM_400000_NS6detail17trampoline_kernelINS0_14default_configENS1_20scan_config_selectorIiEEZZNS1_9scan_implILNS1_25lookback_scan_determinismE0ELb0ELb0ES3_PiS8_iN6thrust23THRUST_200600_302600_NS4plusIvEEiEEDaPvRmT3_T4_T5_mT6_P12ihipStream_tbENKUlT_T0_E_clISt17integral_constantIbLb1EESQ_EEDaSL_SM_EUlSL_E_NS1_11comp_targetILNS1_3genE9ELNS1_11target_archE1100ELNS1_3gpuE3ELNS1_3repE0EEENS1_30default_config_static_selectorELNS0_4arch9wavefront6targetE1EEEvT1_,"axG",@progbits,_ZN7rocprim17ROCPRIM_400000_NS6detail17trampoline_kernelINS0_14default_configENS1_20scan_config_selectorIiEEZZNS1_9scan_implILNS1_25lookback_scan_determinismE0ELb0ELb0ES3_PiS8_iN6thrust23THRUST_200600_302600_NS4plusIvEEiEEDaPvRmT3_T4_T5_mT6_P12ihipStream_tbENKUlT_T0_E_clISt17integral_constantIbLb1EESQ_EEDaSL_SM_EUlSL_E_NS1_11comp_targetILNS1_3genE9ELNS1_11target_archE1100ELNS1_3gpuE3ELNS1_3repE0EEENS1_30default_config_static_selectorELNS0_4arch9wavefront6targetE1EEEvT1_,comdat
	.protected	_ZN7rocprim17ROCPRIM_400000_NS6detail17trampoline_kernelINS0_14default_configENS1_20scan_config_selectorIiEEZZNS1_9scan_implILNS1_25lookback_scan_determinismE0ELb0ELb0ES3_PiS8_iN6thrust23THRUST_200600_302600_NS4plusIvEEiEEDaPvRmT3_T4_T5_mT6_P12ihipStream_tbENKUlT_T0_E_clISt17integral_constantIbLb1EESQ_EEDaSL_SM_EUlSL_E_NS1_11comp_targetILNS1_3genE9ELNS1_11target_archE1100ELNS1_3gpuE3ELNS1_3repE0EEENS1_30default_config_static_selectorELNS0_4arch9wavefront6targetE1EEEvT1_ ; -- Begin function _ZN7rocprim17ROCPRIM_400000_NS6detail17trampoline_kernelINS0_14default_configENS1_20scan_config_selectorIiEEZZNS1_9scan_implILNS1_25lookback_scan_determinismE0ELb0ELb0ES3_PiS8_iN6thrust23THRUST_200600_302600_NS4plusIvEEiEEDaPvRmT3_T4_T5_mT6_P12ihipStream_tbENKUlT_T0_E_clISt17integral_constantIbLb1EESQ_EEDaSL_SM_EUlSL_E_NS1_11comp_targetILNS1_3genE9ELNS1_11target_archE1100ELNS1_3gpuE3ELNS1_3repE0EEENS1_30default_config_static_selectorELNS0_4arch9wavefront6targetE1EEEvT1_
	.globl	_ZN7rocprim17ROCPRIM_400000_NS6detail17trampoline_kernelINS0_14default_configENS1_20scan_config_selectorIiEEZZNS1_9scan_implILNS1_25lookback_scan_determinismE0ELb0ELb0ES3_PiS8_iN6thrust23THRUST_200600_302600_NS4plusIvEEiEEDaPvRmT3_T4_T5_mT6_P12ihipStream_tbENKUlT_T0_E_clISt17integral_constantIbLb1EESQ_EEDaSL_SM_EUlSL_E_NS1_11comp_targetILNS1_3genE9ELNS1_11target_archE1100ELNS1_3gpuE3ELNS1_3repE0EEENS1_30default_config_static_selectorELNS0_4arch9wavefront6targetE1EEEvT1_
	.p2align	8
	.type	_ZN7rocprim17ROCPRIM_400000_NS6detail17trampoline_kernelINS0_14default_configENS1_20scan_config_selectorIiEEZZNS1_9scan_implILNS1_25lookback_scan_determinismE0ELb0ELb0ES3_PiS8_iN6thrust23THRUST_200600_302600_NS4plusIvEEiEEDaPvRmT3_T4_T5_mT6_P12ihipStream_tbENKUlT_T0_E_clISt17integral_constantIbLb1EESQ_EEDaSL_SM_EUlSL_E_NS1_11comp_targetILNS1_3genE9ELNS1_11target_archE1100ELNS1_3gpuE3ELNS1_3repE0EEENS1_30default_config_static_selectorELNS0_4arch9wavefront6targetE1EEEvT1_,@function
_ZN7rocprim17ROCPRIM_400000_NS6detail17trampoline_kernelINS0_14default_configENS1_20scan_config_selectorIiEEZZNS1_9scan_implILNS1_25lookback_scan_determinismE0ELb0ELb0ES3_PiS8_iN6thrust23THRUST_200600_302600_NS4plusIvEEiEEDaPvRmT3_T4_T5_mT6_P12ihipStream_tbENKUlT_T0_E_clISt17integral_constantIbLb1EESQ_EEDaSL_SM_EUlSL_E_NS1_11comp_targetILNS1_3genE9ELNS1_11target_archE1100ELNS1_3gpuE3ELNS1_3repE0EEENS1_30default_config_static_selectorELNS0_4arch9wavefront6targetE1EEEvT1_: ; @_ZN7rocprim17ROCPRIM_400000_NS6detail17trampoline_kernelINS0_14default_configENS1_20scan_config_selectorIiEEZZNS1_9scan_implILNS1_25lookback_scan_determinismE0ELb0ELb0ES3_PiS8_iN6thrust23THRUST_200600_302600_NS4plusIvEEiEEDaPvRmT3_T4_T5_mT6_P12ihipStream_tbENKUlT_T0_E_clISt17integral_constantIbLb1EESQ_EEDaSL_SM_EUlSL_E_NS1_11comp_targetILNS1_3genE9ELNS1_11target_archE1100ELNS1_3gpuE3ELNS1_3repE0EEENS1_30default_config_static_selectorELNS0_4arch9wavefront6targetE1EEEvT1_
; %bb.0:
	.section	.rodata,"a",@progbits
	.p2align	6, 0x0
	.amdhsa_kernel _ZN7rocprim17ROCPRIM_400000_NS6detail17trampoline_kernelINS0_14default_configENS1_20scan_config_selectorIiEEZZNS1_9scan_implILNS1_25lookback_scan_determinismE0ELb0ELb0ES3_PiS8_iN6thrust23THRUST_200600_302600_NS4plusIvEEiEEDaPvRmT3_T4_T5_mT6_P12ihipStream_tbENKUlT_T0_E_clISt17integral_constantIbLb1EESQ_EEDaSL_SM_EUlSL_E_NS1_11comp_targetILNS1_3genE9ELNS1_11target_archE1100ELNS1_3gpuE3ELNS1_3repE0EEENS1_30default_config_static_selectorELNS0_4arch9wavefront6targetE1EEEvT1_
		.amdhsa_group_segment_fixed_size 0
		.amdhsa_private_segment_fixed_size 0
		.amdhsa_kernarg_size 96
		.amdhsa_user_sgpr_count 6
		.amdhsa_user_sgpr_private_segment_buffer 1
		.amdhsa_user_sgpr_dispatch_ptr 0
		.amdhsa_user_sgpr_queue_ptr 0
		.amdhsa_user_sgpr_kernarg_segment_ptr 1
		.amdhsa_user_sgpr_dispatch_id 0
		.amdhsa_user_sgpr_flat_scratch_init 0
		.amdhsa_user_sgpr_kernarg_preload_length 0
		.amdhsa_user_sgpr_kernarg_preload_offset 0
		.amdhsa_user_sgpr_private_segment_size 0
		.amdhsa_uses_dynamic_stack 0
		.amdhsa_system_sgpr_private_segment_wavefront_offset 0
		.amdhsa_system_sgpr_workgroup_id_x 1
		.amdhsa_system_sgpr_workgroup_id_y 0
		.amdhsa_system_sgpr_workgroup_id_z 0
		.amdhsa_system_sgpr_workgroup_info 0
		.amdhsa_system_vgpr_workitem_id 0
		.amdhsa_next_free_vgpr 1
		.amdhsa_next_free_sgpr 0
		.amdhsa_accum_offset 4
		.amdhsa_reserve_vcc 0
		.amdhsa_reserve_flat_scratch 0
		.amdhsa_float_round_mode_32 0
		.amdhsa_float_round_mode_16_64 0
		.amdhsa_float_denorm_mode_32 3
		.amdhsa_float_denorm_mode_16_64 3
		.amdhsa_dx10_clamp 1
		.amdhsa_ieee_mode 1
		.amdhsa_fp16_overflow 0
		.amdhsa_tg_split 0
		.amdhsa_exception_fp_ieee_invalid_op 0
		.amdhsa_exception_fp_denorm_src 0
		.amdhsa_exception_fp_ieee_div_zero 0
		.amdhsa_exception_fp_ieee_overflow 0
		.amdhsa_exception_fp_ieee_underflow 0
		.amdhsa_exception_fp_ieee_inexact 0
		.amdhsa_exception_int_div_zero 0
	.end_amdhsa_kernel
	.section	.text._ZN7rocprim17ROCPRIM_400000_NS6detail17trampoline_kernelINS0_14default_configENS1_20scan_config_selectorIiEEZZNS1_9scan_implILNS1_25lookback_scan_determinismE0ELb0ELb0ES3_PiS8_iN6thrust23THRUST_200600_302600_NS4plusIvEEiEEDaPvRmT3_T4_T5_mT6_P12ihipStream_tbENKUlT_T0_E_clISt17integral_constantIbLb1EESQ_EEDaSL_SM_EUlSL_E_NS1_11comp_targetILNS1_3genE9ELNS1_11target_archE1100ELNS1_3gpuE3ELNS1_3repE0EEENS1_30default_config_static_selectorELNS0_4arch9wavefront6targetE1EEEvT1_,"axG",@progbits,_ZN7rocprim17ROCPRIM_400000_NS6detail17trampoline_kernelINS0_14default_configENS1_20scan_config_selectorIiEEZZNS1_9scan_implILNS1_25lookback_scan_determinismE0ELb0ELb0ES3_PiS8_iN6thrust23THRUST_200600_302600_NS4plusIvEEiEEDaPvRmT3_T4_T5_mT6_P12ihipStream_tbENKUlT_T0_E_clISt17integral_constantIbLb1EESQ_EEDaSL_SM_EUlSL_E_NS1_11comp_targetILNS1_3genE9ELNS1_11target_archE1100ELNS1_3gpuE3ELNS1_3repE0EEENS1_30default_config_static_selectorELNS0_4arch9wavefront6targetE1EEEvT1_,comdat
.Lfunc_end54:
	.size	_ZN7rocprim17ROCPRIM_400000_NS6detail17trampoline_kernelINS0_14default_configENS1_20scan_config_selectorIiEEZZNS1_9scan_implILNS1_25lookback_scan_determinismE0ELb0ELb0ES3_PiS8_iN6thrust23THRUST_200600_302600_NS4plusIvEEiEEDaPvRmT3_T4_T5_mT6_P12ihipStream_tbENKUlT_T0_E_clISt17integral_constantIbLb1EESQ_EEDaSL_SM_EUlSL_E_NS1_11comp_targetILNS1_3genE9ELNS1_11target_archE1100ELNS1_3gpuE3ELNS1_3repE0EEENS1_30default_config_static_selectorELNS0_4arch9wavefront6targetE1EEEvT1_, .Lfunc_end54-_ZN7rocprim17ROCPRIM_400000_NS6detail17trampoline_kernelINS0_14default_configENS1_20scan_config_selectorIiEEZZNS1_9scan_implILNS1_25lookback_scan_determinismE0ELb0ELb0ES3_PiS8_iN6thrust23THRUST_200600_302600_NS4plusIvEEiEEDaPvRmT3_T4_T5_mT6_P12ihipStream_tbENKUlT_T0_E_clISt17integral_constantIbLb1EESQ_EEDaSL_SM_EUlSL_E_NS1_11comp_targetILNS1_3genE9ELNS1_11target_archE1100ELNS1_3gpuE3ELNS1_3repE0EEENS1_30default_config_static_selectorELNS0_4arch9wavefront6targetE1EEEvT1_
                                        ; -- End function
	.section	.AMDGPU.csdata,"",@progbits
; Kernel info:
; codeLenInByte = 0
; NumSgprs: 4
; NumVgprs: 0
; NumAgprs: 0
; TotalNumVgprs: 0
; ScratchSize: 0
; MemoryBound: 0
; FloatMode: 240
; IeeeMode: 1
; LDSByteSize: 0 bytes/workgroup (compile time only)
; SGPRBlocks: 0
; VGPRBlocks: 0
; NumSGPRsForWavesPerEU: 4
; NumVGPRsForWavesPerEU: 1
; AccumOffset: 4
; Occupancy: 8
; WaveLimiterHint : 0
; COMPUTE_PGM_RSRC2:SCRATCH_EN: 0
; COMPUTE_PGM_RSRC2:USER_SGPR: 6
; COMPUTE_PGM_RSRC2:TRAP_HANDLER: 0
; COMPUTE_PGM_RSRC2:TGID_X_EN: 1
; COMPUTE_PGM_RSRC2:TGID_Y_EN: 0
; COMPUTE_PGM_RSRC2:TGID_Z_EN: 0
; COMPUTE_PGM_RSRC2:TIDIG_COMP_CNT: 0
; COMPUTE_PGM_RSRC3_GFX90A:ACCUM_OFFSET: 0
; COMPUTE_PGM_RSRC3_GFX90A:TG_SPLIT: 0
	.section	.text._ZN7rocprim17ROCPRIM_400000_NS6detail17trampoline_kernelINS0_14default_configENS1_20scan_config_selectorIiEEZZNS1_9scan_implILNS1_25lookback_scan_determinismE0ELb0ELb0ES3_PiS8_iN6thrust23THRUST_200600_302600_NS4plusIvEEiEEDaPvRmT3_T4_T5_mT6_P12ihipStream_tbENKUlT_T0_E_clISt17integral_constantIbLb1EESQ_EEDaSL_SM_EUlSL_E_NS1_11comp_targetILNS1_3genE8ELNS1_11target_archE1030ELNS1_3gpuE2ELNS1_3repE0EEENS1_30default_config_static_selectorELNS0_4arch9wavefront6targetE1EEEvT1_,"axG",@progbits,_ZN7rocprim17ROCPRIM_400000_NS6detail17trampoline_kernelINS0_14default_configENS1_20scan_config_selectorIiEEZZNS1_9scan_implILNS1_25lookback_scan_determinismE0ELb0ELb0ES3_PiS8_iN6thrust23THRUST_200600_302600_NS4plusIvEEiEEDaPvRmT3_T4_T5_mT6_P12ihipStream_tbENKUlT_T0_E_clISt17integral_constantIbLb1EESQ_EEDaSL_SM_EUlSL_E_NS1_11comp_targetILNS1_3genE8ELNS1_11target_archE1030ELNS1_3gpuE2ELNS1_3repE0EEENS1_30default_config_static_selectorELNS0_4arch9wavefront6targetE1EEEvT1_,comdat
	.protected	_ZN7rocprim17ROCPRIM_400000_NS6detail17trampoline_kernelINS0_14default_configENS1_20scan_config_selectorIiEEZZNS1_9scan_implILNS1_25lookback_scan_determinismE0ELb0ELb0ES3_PiS8_iN6thrust23THRUST_200600_302600_NS4plusIvEEiEEDaPvRmT3_T4_T5_mT6_P12ihipStream_tbENKUlT_T0_E_clISt17integral_constantIbLb1EESQ_EEDaSL_SM_EUlSL_E_NS1_11comp_targetILNS1_3genE8ELNS1_11target_archE1030ELNS1_3gpuE2ELNS1_3repE0EEENS1_30default_config_static_selectorELNS0_4arch9wavefront6targetE1EEEvT1_ ; -- Begin function _ZN7rocprim17ROCPRIM_400000_NS6detail17trampoline_kernelINS0_14default_configENS1_20scan_config_selectorIiEEZZNS1_9scan_implILNS1_25lookback_scan_determinismE0ELb0ELb0ES3_PiS8_iN6thrust23THRUST_200600_302600_NS4plusIvEEiEEDaPvRmT3_T4_T5_mT6_P12ihipStream_tbENKUlT_T0_E_clISt17integral_constantIbLb1EESQ_EEDaSL_SM_EUlSL_E_NS1_11comp_targetILNS1_3genE8ELNS1_11target_archE1030ELNS1_3gpuE2ELNS1_3repE0EEENS1_30default_config_static_selectorELNS0_4arch9wavefront6targetE1EEEvT1_
	.globl	_ZN7rocprim17ROCPRIM_400000_NS6detail17trampoline_kernelINS0_14default_configENS1_20scan_config_selectorIiEEZZNS1_9scan_implILNS1_25lookback_scan_determinismE0ELb0ELb0ES3_PiS8_iN6thrust23THRUST_200600_302600_NS4plusIvEEiEEDaPvRmT3_T4_T5_mT6_P12ihipStream_tbENKUlT_T0_E_clISt17integral_constantIbLb1EESQ_EEDaSL_SM_EUlSL_E_NS1_11comp_targetILNS1_3genE8ELNS1_11target_archE1030ELNS1_3gpuE2ELNS1_3repE0EEENS1_30default_config_static_selectorELNS0_4arch9wavefront6targetE1EEEvT1_
	.p2align	8
	.type	_ZN7rocprim17ROCPRIM_400000_NS6detail17trampoline_kernelINS0_14default_configENS1_20scan_config_selectorIiEEZZNS1_9scan_implILNS1_25lookback_scan_determinismE0ELb0ELb0ES3_PiS8_iN6thrust23THRUST_200600_302600_NS4plusIvEEiEEDaPvRmT3_T4_T5_mT6_P12ihipStream_tbENKUlT_T0_E_clISt17integral_constantIbLb1EESQ_EEDaSL_SM_EUlSL_E_NS1_11comp_targetILNS1_3genE8ELNS1_11target_archE1030ELNS1_3gpuE2ELNS1_3repE0EEENS1_30default_config_static_selectorELNS0_4arch9wavefront6targetE1EEEvT1_,@function
_ZN7rocprim17ROCPRIM_400000_NS6detail17trampoline_kernelINS0_14default_configENS1_20scan_config_selectorIiEEZZNS1_9scan_implILNS1_25lookback_scan_determinismE0ELb0ELb0ES3_PiS8_iN6thrust23THRUST_200600_302600_NS4plusIvEEiEEDaPvRmT3_T4_T5_mT6_P12ihipStream_tbENKUlT_T0_E_clISt17integral_constantIbLb1EESQ_EEDaSL_SM_EUlSL_E_NS1_11comp_targetILNS1_3genE8ELNS1_11target_archE1030ELNS1_3gpuE2ELNS1_3repE0EEENS1_30default_config_static_selectorELNS0_4arch9wavefront6targetE1EEEvT1_: ; @_ZN7rocprim17ROCPRIM_400000_NS6detail17trampoline_kernelINS0_14default_configENS1_20scan_config_selectorIiEEZZNS1_9scan_implILNS1_25lookback_scan_determinismE0ELb0ELb0ES3_PiS8_iN6thrust23THRUST_200600_302600_NS4plusIvEEiEEDaPvRmT3_T4_T5_mT6_P12ihipStream_tbENKUlT_T0_E_clISt17integral_constantIbLb1EESQ_EEDaSL_SM_EUlSL_E_NS1_11comp_targetILNS1_3genE8ELNS1_11target_archE1030ELNS1_3gpuE2ELNS1_3repE0EEENS1_30default_config_static_selectorELNS0_4arch9wavefront6targetE1EEEvT1_
; %bb.0:
	.section	.rodata,"a",@progbits
	.p2align	6, 0x0
	.amdhsa_kernel _ZN7rocprim17ROCPRIM_400000_NS6detail17trampoline_kernelINS0_14default_configENS1_20scan_config_selectorIiEEZZNS1_9scan_implILNS1_25lookback_scan_determinismE0ELb0ELb0ES3_PiS8_iN6thrust23THRUST_200600_302600_NS4plusIvEEiEEDaPvRmT3_T4_T5_mT6_P12ihipStream_tbENKUlT_T0_E_clISt17integral_constantIbLb1EESQ_EEDaSL_SM_EUlSL_E_NS1_11comp_targetILNS1_3genE8ELNS1_11target_archE1030ELNS1_3gpuE2ELNS1_3repE0EEENS1_30default_config_static_selectorELNS0_4arch9wavefront6targetE1EEEvT1_
		.amdhsa_group_segment_fixed_size 0
		.amdhsa_private_segment_fixed_size 0
		.amdhsa_kernarg_size 96
		.amdhsa_user_sgpr_count 6
		.amdhsa_user_sgpr_private_segment_buffer 1
		.amdhsa_user_sgpr_dispatch_ptr 0
		.amdhsa_user_sgpr_queue_ptr 0
		.amdhsa_user_sgpr_kernarg_segment_ptr 1
		.amdhsa_user_sgpr_dispatch_id 0
		.amdhsa_user_sgpr_flat_scratch_init 0
		.amdhsa_user_sgpr_kernarg_preload_length 0
		.amdhsa_user_sgpr_kernarg_preload_offset 0
		.amdhsa_user_sgpr_private_segment_size 0
		.amdhsa_uses_dynamic_stack 0
		.amdhsa_system_sgpr_private_segment_wavefront_offset 0
		.amdhsa_system_sgpr_workgroup_id_x 1
		.amdhsa_system_sgpr_workgroup_id_y 0
		.amdhsa_system_sgpr_workgroup_id_z 0
		.amdhsa_system_sgpr_workgroup_info 0
		.amdhsa_system_vgpr_workitem_id 0
		.amdhsa_next_free_vgpr 1
		.amdhsa_next_free_sgpr 0
		.amdhsa_accum_offset 4
		.amdhsa_reserve_vcc 0
		.amdhsa_reserve_flat_scratch 0
		.amdhsa_float_round_mode_32 0
		.amdhsa_float_round_mode_16_64 0
		.amdhsa_float_denorm_mode_32 3
		.amdhsa_float_denorm_mode_16_64 3
		.amdhsa_dx10_clamp 1
		.amdhsa_ieee_mode 1
		.amdhsa_fp16_overflow 0
		.amdhsa_tg_split 0
		.amdhsa_exception_fp_ieee_invalid_op 0
		.amdhsa_exception_fp_denorm_src 0
		.amdhsa_exception_fp_ieee_div_zero 0
		.amdhsa_exception_fp_ieee_overflow 0
		.amdhsa_exception_fp_ieee_underflow 0
		.amdhsa_exception_fp_ieee_inexact 0
		.amdhsa_exception_int_div_zero 0
	.end_amdhsa_kernel
	.section	.text._ZN7rocprim17ROCPRIM_400000_NS6detail17trampoline_kernelINS0_14default_configENS1_20scan_config_selectorIiEEZZNS1_9scan_implILNS1_25lookback_scan_determinismE0ELb0ELb0ES3_PiS8_iN6thrust23THRUST_200600_302600_NS4plusIvEEiEEDaPvRmT3_T4_T5_mT6_P12ihipStream_tbENKUlT_T0_E_clISt17integral_constantIbLb1EESQ_EEDaSL_SM_EUlSL_E_NS1_11comp_targetILNS1_3genE8ELNS1_11target_archE1030ELNS1_3gpuE2ELNS1_3repE0EEENS1_30default_config_static_selectorELNS0_4arch9wavefront6targetE1EEEvT1_,"axG",@progbits,_ZN7rocprim17ROCPRIM_400000_NS6detail17trampoline_kernelINS0_14default_configENS1_20scan_config_selectorIiEEZZNS1_9scan_implILNS1_25lookback_scan_determinismE0ELb0ELb0ES3_PiS8_iN6thrust23THRUST_200600_302600_NS4plusIvEEiEEDaPvRmT3_T4_T5_mT6_P12ihipStream_tbENKUlT_T0_E_clISt17integral_constantIbLb1EESQ_EEDaSL_SM_EUlSL_E_NS1_11comp_targetILNS1_3genE8ELNS1_11target_archE1030ELNS1_3gpuE2ELNS1_3repE0EEENS1_30default_config_static_selectorELNS0_4arch9wavefront6targetE1EEEvT1_,comdat
.Lfunc_end55:
	.size	_ZN7rocprim17ROCPRIM_400000_NS6detail17trampoline_kernelINS0_14default_configENS1_20scan_config_selectorIiEEZZNS1_9scan_implILNS1_25lookback_scan_determinismE0ELb0ELb0ES3_PiS8_iN6thrust23THRUST_200600_302600_NS4plusIvEEiEEDaPvRmT3_T4_T5_mT6_P12ihipStream_tbENKUlT_T0_E_clISt17integral_constantIbLb1EESQ_EEDaSL_SM_EUlSL_E_NS1_11comp_targetILNS1_3genE8ELNS1_11target_archE1030ELNS1_3gpuE2ELNS1_3repE0EEENS1_30default_config_static_selectorELNS0_4arch9wavefront6targetE1EEEvT1_, .Lfunc_end55-_ZN7rocprim17ROCPRIM_400000_NS6detail17trampoline_kernelINS0_14default_configENS1_20scan_config_selectorIiEEZZNS1_9scan_implILNS1_25lookback_scan_determinismE0ELb0ELb0ES3_PiS8_iN6thrust23THRUST_200600_302600_NS4plusIvEEiEEDaPvRmT3_T4_T5_mT6_P12ihipStream_tbENKUlT_T0_E_clISt17integral_constantIbLb1EESQ_EEDaSL_SM_EUlSL_E_NS1_11comp_targetILNS1_3genE8ELNS1_11target_archE1030ELNS1_3gpuE2ELNS1_3repE0EEENS1_30default_config_static_selectorELNS0_4arch9wavefront6targetE1EEEvT1_
                                        ; -- End function
	.section	.AMDGPU.csdata,"",@progbits
; Kernel info:
; codeLenInByte = 0
; NumSgprs: 4
; NumVgprs: 0
; NumAgprs: 0
; TotalNumVgprs: 0
; ScratchSize: 0
; MemoryBound: 0
; FloatMode: 240
; IeeeMode: 1
; LDSByteSize: 0 bytes/workgroup (compile time only)
; SGPRBlocks: 0
; VGPRBlocks: 0
; NumSGPRsForWavesPerEU: 4
; NumVGPRsForWavesPerEU: 1
; AccumOffset: 4
; Occupancy: 8
; WaveLimiterHint : 0
; COMPUTE_PGM_RSRC2:SCRATCH_EN: 0
; COMPUTE_PGM_RSRC2:USER_SGPR: 6
; COMPUTE_PGM_RSRC2:TRAP_HANDLER: 0
; COMPUTE_PGM_RSRC2:TGID_X_EN: 1
; COMPUTE_PGM_RSRC2:TGID_Y_EN: 0
; COMPUTE_PGM_RSRC2:TGID_Z_EN: 0
; COMPUTE_PGM_RSRC2:TIDIG_COMP_CNT: 0
; COMPUTE_PGM_RSRC3_GFX90A:ACCUM_OFFSET: 0
; COMPUTE_PGM_RSRC3_GFX90A:TG_SPLIT: 0
	.section	.text._ZN7rocprim17ROCPRIM_400000_NS6detail17trampoline_kernelINS0_14default_configENS1_20scan_config_selectorIiEEZZNS1_9scan_implILNS1_25lookback_scan_determinismE0ELb0ELb0ES3_PiS8_iN6thrust23THRUST_200600_302600_NS4plusIvEEiEEDaPvRmT3_T4_T5_mT6_P12ihipStream_tbENKUlT_T0_E_clISt17integral_constantIbLb1EESQ_EEDaSL_SM_EUlSL_E0_NS1_11comp_targetILNS1_3genE0ELNS1_11target_archE4294967295ELNS1_3gpuE0ELNS1_3repE0EEENS1_30default_config_static_selectorELNS0_4arch9wavefront6targetE1EEEvT1_,"axG",@progbits,_ZN7rocprim17ROCPRIM_400000_NS6detail17trampoline_kernelINS0_14default_configENS1_20scan_config_selectorIiEEZZNS1_9scan_implILNS1_25lookback_scan_determinismE0ELb0ELb0ES3_PiS8_iN6thrust23THRUST_200600_302600_NS4plusIvEEiEEDaPvRmT3_T4_T5_mT6_P12ihipStream_tbENKUlT_T0_E_clISt17integral_constantIbLb1EESQ_EEDaSL_SM_EUlSL_E0_NS1_11comp_targetILNS1_3genE0ELNS1_11target_archE4294967295ELNS1_3gpuE0ELNS1_3repE0EEENS1_30default_config_static_selectorELNS0_4arch9wavefront6targetE1EEEvT1_,comdat
	.protected	_ZN7rocprim17ROCPRIM_400000_NS6detail17trampoline_kernelINS0_14default_configENS1_20scan_config_selectorIiEEZZNS1_9scan_implILNS1_25lookback_scan_determinismE0ELb0ELb0ES3_PiS8_iN6thrust23THRUST_200600_302600_NS4plusIvEEiEEDaPvRmT3_T4_T5_mT6_P12ihipStream_tbENKUlT_T0_E_clISt17integral_constantIbLb1EESQ_EEDaSL_SM_EUlSL_E0_NS1_11comp_targetILNS1_3genE0ELNS1_11target_archE4294967295ELNS1_3gpuE0ELNS1_3repE0EEENS1_30default_config_static_selectorELNS0_4arch9wavefront6targetE1EEEvT1_ ; -- Begin function _ZN7rocprim17ROCPRIM_400000_NS6detail17trampoline_kernelINS0_14default_configENS1_20scan_config_selectorIiEEZZNS1_9scan_implILNS1_25lookback_scan_determinismE0ELb0ELb0ES3_PiS8_iN6thrust23THRUST_200600_302600_NS4plusIvEEiEEDaPvRmT3_T4_T5_mT6_P12ihipStream_tbENKUlT_T0_E_clISt17integral_constantIbLb1EESQ_EEDaSL_SM_EUlSL_E0_NS1_11comp_targetILNS1_3genE0ELNS1_11target_archE4294967295ELNS1_3gpuE0ELNS1_3repE0EEENS1_30default_config_static_selectorELNS0_4arch9wavefront6targetE1EEEvT1_
	.globl	_ZN7rocprim17ROCPRIM_400000_NS6detail17trampoline_kernelINS0_14default_configENS1_20scan_config_selectorIiEEZZNS1_9scan_implILNS1_25lookback_scan_determinismE0ELb0ELb0ES3_PiS8_iN6thrust23THRUST_200600_302600_NS4plusIvEEiEEDaPvRmT3_T4_T5_mT6_P12ihipStream_tbENKUlT_T0_E_clISt17integral_constantIbLb1EESQ_EEDaSL_SM_EUlSL_E0_NS1_11comp_targetILNS1_3genE0ELNS1_11target_archE4294967295ELNS1_3gpuE0ELNS1_3repE0EEENS1_30default_config_static_selectorELNS0_4arch9wavefront6targetE1EEEvT1_
	.p2align	8
	.type	_ZN7rocprim17ROCPRIM_400000_NS6detail17trampoline_kernelINS0_14default_configENS1_20scan_config_selectorIiEEZZNS1_9scan_implILNS1_25lookback_scan_determinismE0ELb0ELb0ES3_PiS8_iN6thrust23THRUST_200600_302600_NS4plusIvEEiEEDaPvRmT3_T4_T5_mT6_P12ihipStream_tbENKUlT_T0_E_clISt17integral_constantIbLb1EESQ_EEDaSL_SM_EUlSL_E0_NS1_11comp_targetILNS1_3genE0ELNS1_11target_archE4294967295ELNS1_3gpuE0ELNS1_3repE0EEENS1_30default_config_static_selectorELNS0_4arch9wavefront6targetE1EEEvT1_,@function
_ZN7rocprim17ROCPRIM_400000_NS6detail17trampoline_kernelINS0_14default_configENS1_20scan_config_selectorIiEEZZNS1_9scan_implILNS1_25lookback_scan_determinismE0ELb0ELb0ES3_PiS8_iN6thrust23THRUST_200600_302600_NS4plusIvEEiEEDaPvRmT3_T4_T5_mT6_P12ihipStream_tbENKUlT_T0_E_clISt17integral_constantIbLb1EESQ_EEDaSL_SM_EUlSL_E0_NS1_11comp_targetILNS1_3genE0ELNS1_11target_archE4294967295ELNS1_3gpuE0ELNS1_3repE0EEENS1_30default_config_static_selectorELNS0_4arch9wavefront6targetE1EEEvT1_: ; @_ZN7rocprim17ROCPRIM_400000_NS6detail17trampoline_kernelINS0_14default_configENS1_20scan_config_selectorIiEEZZNS1_9scan_implILNS1_25lookback_scan_determinismE0ELb0ELb0ES3_PiS8_iN6thrust23THRUST_200600_302600_NS4plusIvEEiEEDaPvRmT3_T4_T5_mT6_P12ihipStream_tbENKUlT_T0_E_clISt17integral_constantIbLb1EESQ_EEDaSL_SM_EUlSL_E0_NS1_11comp_targetILNS1_3genE0ELNS1_11target_archE4294967295ELNS1_3gpuE0ELNS1_3repE0EEENS1_30default_config_static_selectorELNS0_4arch9wavefront6targetE1EEEvT1_
; %bb.0:
	.section	.rodata,"a",@progbits
	.p2align	6, 0x0
	.amdhsa_kernel _ZN7rocprim17ROCPRIM_400000_NS6detail17trampoline_kernelINS0_14default_configENS1_20scan_config_selectorIiEEZZNS1_9scan_implILNS1_25lookback_scan_determinismE0ELb0ELb0ES3_PiS8_iN6thrust23THRUST_200600_302600_NS4plusIvEEiEEDaPvRmT3_T4_T5_mT6_P12ihipStream_tbENKUlT_T0_E_clISt17integral_constantIbLb1EESQ_EEDaSL_SM_EUlSL_E0_NS1_11comp_targetILNS1_3genE0ELNS1_11target_archE4294967295ELNS1_3gpuE0ELNS1_3repE0EEENS1_30default_config_static_selectorELNS0_4arch9wavefront6targetE1EEEvT1_
		.amdhsa_group_segment_fixed_size 0
		.amdhsa_private_segment_fixed_size 0
		.amdhsa_kernarg_size 32
		.amdhsa_user_sgpr_count 6
		.amdhsa_user_sgpr_private_segment_buffer 1
		.amdhsa_user_sgpr_dispatch_ptr 0
		.amdhsa_user_sgpr_queue_ptr 0
		.amdhsa_user_sgpr_kernarg_segment_ptr 1
		.amdhsa_user_sgpr_dispatch_id 0
		.amdhsa_user_sgpr_flat_scratch_init 0
		.amdhsa_user_sgpr_kernarg_preload_length 0
		.amdhsa_user_sgpr_kernarg_preload_offset 0
		.amdhsa_user_sgpr_private_segment_size 0
		.amdhsa_uses_dynamic_stack 0
		.amdhsa_system_sgpr_private_segment_wavefront_offset 0
		.amdhsa_system_sgpr_workgroup_id_x 1
		.amdhsa_system_sgpr_workgroup_id_y 0
		.amdhsa_system_sgpr_workgroup_id_z 0
		.amdhsa_system_sgpr_workgroup_info 0
		.amdhsa_system_vgpr_workitem_id 0
		.amdhsa_next_free_vgpr 1
		.amdhsa_next_free_sgpr 0
		.amdhsa_accum_offset 4
		.amdhsa_reserve_vcc 0
		.amdhsa_reserve_flat_scratch 0
		.amdhsa_float_round_mode_32 0
		.amdhsa_float_round_mode_16_64 0
		.amdhsa_float_denorm_mode_32 3
		.amdhsa_float_denorm_mode_16_64 3
		.amdhsa_dx10_clamp 1
		.amdhsa_ieee_mode 1
		.amdhsa_fp16_overflow 0
		.amdhsa_tg_split 0
		.amdhsa_exception_fp_ieee_invalid_op 0
		.amdhsa_exception_fp_denorm_src 0
		.amdhsa_exception_fp_ieee_div_zero 0
		.amdhsa_exception_fp_ieee_overflow 0
		.amdhsa_exception_fp_ieee_underflow 0
		.amdhsa_exception_fp_ieee_inexact 0
		.amdhsa_exception_int_div_zero 0
	.end_amdhsa_kernel
	.section	.text._ZN7rocprim17ROCPRIM_400000_NS6detail17trampoline_kernelINS0_14default_configENS1_20scan_config_selectorIiEEZZNS1_9scan_implILNS1_25lookback_scan_determinismE0ELb0ELb0ES3_PiS8_iN6thrust23THRUST_200600_302600_NS4plusIvEEiEEDaPvRmT3_T4_T5_mT6_P12ihipStream_tbENKUlT_T0_E_clISt17integral_constantIbLb1EESQ_EEDaSL_SM_EUlSL_E0_NS1_11comp_targetILNS1_3genE0ELNS1_11target_archE4294967295ELNS1_3gpuE0ELNS1_3repE0EEENS1_30default_config_static_selectorELNS0_4arch9wavefront6targetE1EEEvT1_,"axG",@progbits,_ZN7rocprim17ROCPRIM_400000_NS6detail17trampoline_kernelINS0_14default_configENS1_20scan_config_selectorIiEEZZNS1_9scan_implILNS1_25lookback_scan_determinismE0ELb0ELb0ES3_PiS8_iN6thrust23THRUST_200600_302600_NS4plusIvEEiEEDaPvRmT3_T4_T5_mT6_P12ihipStream_tbENKUlT_T0_E_clISt17integral_constantIbLb1EESQ_EEDaSL_SM_EUlSL_E0_NS1_11comp_targetILNS1_3genE0ELNS1_11target_archE4294967295ELNS1_3gpuE0ELNS1_3repE0EEENS1_30default_config_static_selectorELNS0_4arch9wavefront6targetE1EEEvT1_,comdat
.Lfunc_end56:
	.size	_ZN7rocprim17ROCPRIM_400000_NS6detail17trampoline_kernelINS0_14default_configENS1_20scan_config_selectorIiEEZZNS1_9scan_implILNS1_25lookback_scan_determinismE0ELb0ELb0ES3_PiS8_iN6thrust23THRUST_200600_302600_NS4plusIvEEiEEDaPvRmT3_T4_T5_mT6_P12ihipStream_tbENKUlT_T0_E_clISt17integral_constantIbLb1EESQ_EEDaSL_SM_EUlSL_E0_NS1_11comp_targetILNS1_3genE0ELNS1_11target_archE4294967295ELNS1_3gpuE0ELNS1_3repE0EEENS1_30default_config_static_selectorELNS0_4arch9wavefront6targetE1EEEvT1_, .Lfunc_end56-_ZN7rocprim17ROCPRIM_400000_NS6detail17trampoline_kernelINS0_14default_configENS1_20scan_config_selectorIiEEZZNS1_9scan_implILNS1_25lookback_scan_determinismE0ELb0ELb0ES3_PiS8_iN6thrust23THRUST_200600_302600_NS4plusIvEEiEEDaPvRmT3_T4_T5_mT6_P12ihipStream_tbENKUlT_T0_E_clISt17integral_constantIbLb1EESQ_EEDaSL_SM_EUlSL_E0_NS1_11comp_targetILNS1_3genE0ELNS1_11target_archE4294967295ELNS1_3gpuE0ELNS1_3repE0EEENS1_30default_config_static_selectorELNS0_4arch9wavefront6targetE1EEEvT1_
                                        ; -- End function
	.section	.AMDGPU.csdata,"",@progbits
; Kernel info:
; codeLenInByte = 0
; NumSgprs: 4
; NumVgprs: 0
; NumAgprs: 0
; TotalNumVgprs: 0
; ScratchSize: 0
; MemoryBound: 0
; FloatMode: 240
; IeeeMode: 1
; LDSByteSize: 0 bytes/workgroup (compile time only)
; SGPRBlocks: 0
; VGPRBlocks: 0
; NumSGPRsForWavesPerEU: 4
; NumVGPRsForWavesPerEU: 1
; AccumOffset: 4
; Occupancy: 8
; WaveLimiterHint : 0
; COMPUTE_PGM_RSRC2:SCRATCH_EN: 0
; COMPUTE_PGM_RSRC2:USER_SGPR: 6
; COMPUTE_PGM_RSRC2:TRAP_HANDLER: 0
; COMPUTE_PGM_RSRC2:TGID_X_EN: 1
; COMPUTE_PGM_RSRC2:TGID_Y_EN: 0
; COMPUTE_PGM_RSRC2:TGID_Z_EN: 0
; COMPUTE_PGM_RSRC2:TIDIG_COMP_CNT: 0
; COMPUTE_PGM_RSRC3_GFX90A:ACCUM_OFFSET: 0
; COMPUTE_PGM_RSRC3_GFX90A:TG_SPLIT: 0
	.section	.text._ZN7rocprim17ROCPRIM_400000_NS6detail17trampoline_kernelINS0_14default_configENS1_20scan_config_selectorIiEEZZNS1_9scan_implILNS1_25lookback_scan_determinismE0ELb0ELb0ES3_PiS8_iN6thrust23THRUST_200600_302600_NS4plusIvEEiEEDaPvRmT3_T4_T5_mT6_P12ihipStream_tbENKUlT_T0_E_clISt17integral_constantIbLb1EESQ_EEDaSL_SM_EUlSL_E0_NS1_11comp_targetILNS1_3genE5ELNS1_11target_archE942ELNS1_3gpuE9ELNS1_3repE0EEENS1_30default_config_static_selectorELNS0_4arch9wavefront6targetE1EEEvT1_,"axG",@progbits,_ZN7rocprim17ROCPRIM_400000_NS6detail17trampoline_kernelINS0_14default_configENS1_20scan_config_selectorIiEEZZNS1_9scan_implILNS1_25lookback_scan_determinismE0ELb0ELb0ES3_PiS8_iN6thrust23THRUST_200600_302600_NS4plusIvEEiEEDaPvRmT3_T4_T5_mT6_P12ihipStream_tbENKUlT_T0_E_clISt17integral_constantIbLb1EESQ_EEDaSL_SM_EUlSL_E0_NS1_11comp_targetILNS1_3genE5ELNS1_11target_archE942ELNS1_3gpuE9ELNS1_3repE0EEENS1_30default_config_static_selectorELNS0_4arch9wavefront6targetE1EEEvT1_,comdat
	.protected	_ZN7rocprim17ROCPRIM_400000_NS6detail17trampoline_kernelINS0_14default_configENS1_20scan_config_selectorIiEEZZNS1_9scan_implILNS1_25lookback_scan_determinismE0ELb0ELb0ES3_PiS8_iN6thrust23THRUST_200600_302600_NS4plusIvEEiEEDaPvRmT3_T4_T5_mT6_P12ihipStream_tbENKUlT_T0_E_clISt17integral_constantIbLb1EESQ_EEDaSL_SM_EUlSL_E0_NS1_11comp_targetILNS1_3genE5ELNS1_11target_archE942ELNS1_3gpuE9ELNS1_3repE0EEENS1_30default_config_static_selectorELNS0_4arch9wavefront6targetE1EEEvT1_ ; -- Begin function _ZN7rocprim17ROCPRIM_400000_NS6detail17trampoline_kernelINS0_14default_configENS1_20scan_config_selectorIiEEZZNS1_9scan_implILNS1_25lookback_scan_determinismE0ELb0ELb0ES3_PiS8_iN6thrust23THRUST_200600_302600_NS4plusIvEEiEEDaPvRmT3_T4_T5_mT6_P12ihipStream_tbENKUlT_T0_E_clISt17integral_constantIbLb1EESQ_EEDaSL_SM_EUlSL_E0_NS1_11comp_targetILNS1_3genE5ELNS1_11target_archE942ELNS1_3gpuE9ELNS1_3repE0EEENS1_30default_config_static_selectorELNS0_4arch9wavefront6targetE1EEEvT1_
	.globl	_ZN7rocprim17ROCPRIM_400000_NS6detail17trampoline_kernelINS0_14default_configENS1_20scan_config_selectorIiEEZZNS1_9scan_implILNS1_25lookback_scan_determinismE0ELb0ELb0ES3_PiS8_iN6thrust23THRUST_200600_302600_NS4plusIvEEiEEDaPvRmT3_T4_T5_mT6_P12ihipStream_tbENKUlT_T0_E_clISt17integral_constantIbLb1EESQ_EEDaSL_SM_EUlSL_E0_NS1_11comp_targetILNS1_3genE5ELNS1_11target_archE942ELNS1_3gpuE9ELNS1_3repE0EEENS1_30default_config_static_selectorELNS0_4arch9wavefront6targetE1EEEvT1_
	.p2align	8
	.type	_ZN7rocprim17ROCPRIM_400000_NS6detail17trampoline_kernelINS0_14default_configENS1_20scan_config_selectorIiEEZZNS1_9scan_implILNS1_25lookback_scan_determinismE0ELb0ELb0ES3_PiS8_iN6thrust23THRUST_200600_302600_NS4plusIvEEiEEDaPvRmT3_T4_T5_mT6_P12ihipStream_tbENKUlT_T0_E_clISt17integral_constantIbLb1EESQ_EEDaSL_SM_EUlSL_E0_NS1_11comp_targetILNS1_3genE5ELNS1_11target_archE942ELNS1_3gpuE9ELNS1_3repE0EEENS1_30default_config_static_selectorELNS0_4arch9wavefront6targetE1EEEvT1_,@function
_ZN7rocprim17ROCPRIM_400000_NS6detail17trampoline_kernelINS0_14default_configENS1_20scan_config_selectorIiEEZZNS1_9scan_implILNS1_25lookback_scan_determinismE0ELb0ELb0ES3_PiS8_iN6thrust23THRUST_200600_302600_NS4plusIvEEiEEDaPvRmT3_T4_T5_mT6_P12ihipStream_tbENKUlT_T0_E_clISt17integral_constantIbLb1EESQ_EEDaSL_SM_EUlSL_E0_NS1_11comp_targetILNS1_3genE5ELNS1_11target_archE942ELNS1_3gpuE9ELNS1_3repE0EEENS1_30default_config_static_selectorELNS0_4arch9wavefront6targetE1EEEvT1_: ; @_ZN7rocprim17ROCPRIM_400000_NS6detail17trampoline_kernelINS0_14default_configENS1_20scan_config_selectorIiEEZZNS1_9scan_implILNS1_25lookback_scan_determinismE0ELb0ELb0ES3_PiS8_iN6thrust23THRUST_200600_302600_NS4plusIvEEiEEDaPvRmT3_T4_T5_mT6_P12ihipStream_tbENKUlT_T0_E_clISt17integral_constantIbLb1EESQ_EEDaSL_SM_EUlSL_E0_NS1_11comp_targetILNS1_3genE5ELNS1_11target_archE942ELNS1_3gpuE9ELNS1_3repE0EEENS1_30default_config_static_selectorELNS0_4arch9wavefront6targetE1EEEvT1_
; %bb.0:
	.section	.rodata,"a",@progbits
	.p2align	6, 0x0
	.amdhsa_kernel _ZN7rocprim17ROCPRIM_400000_NS6detail17trampoline_kernelINS0_14default_configENS1_20scan_config_selectorIiEEZZNS1_9scan_implILNS1_25lookback_scan_determinismE0ELb0ELb0ES3_PiS8_iN6thrust23THRUST_200600_302600_NS4plusIvEEiEEDaPvRmT3_T4_T5_mT6_P12ihipStream_tbENKUlT_T0_E_clISt17integral_constantIbLb1EESQ_EEDaSL_SM_EUlSL_E0_NS1_11comp_targetILNS1_3genE5ELNS1_11target_archE942ELNS1_3gpuE9ELNS1_3repE0EEENS1_30default_config_static_selectorELNS0_4arch9wavefront6targetE1EEEvT1_
		.amdhsa_group_segment_fixed_size 0
		.amdhsa_private_segment_fixed_size 0
		.amdhsa_kernarg_size 32
		.amdhsa_user_sgpr_count 6
		.amdhsa_user_sgpr_private_segment_buffer 1
		.amdhsa_user_sgpr_dispatch_ptr 0
		.amdhsa_user_sgpr_queue_ptr 0
		.amdhsa_user_sgpr_kernarg_segment_ptr 1
		.amdhsa_user_sgpr_dispatch_id 0
		.amdhsa_user_sgpr_flat_scratch_init 0
		.amdhsa_user_sgpr_kernarg_preload_length 0
		.amdhsa_user_sgpr_kernarg_preload_offset 0
		.amdhsa_user_sgpr_private_segment_size 0
		.amdhsa_uses_dynamic_stack 0
		.amdhsa_system_sgpr_private_segment_wavefront_offset 0
		.amdhsa_system_sgpr_workgroup_id_x 1
		.amdhsa_system_sgpr_workgroup_id_y 0
		.amdhsa_system_sgpr_workgroup_id_z 0
		.amdhsa_system_sgpr_workgroup_info 0
		.amdhsa_system_vgpr_workitem_id 0
		.amdhsa_next_free_vgpr 1
		.amdhsa_next_free_sgpr 0
		.amdhsa_accum_offset 4
		.amdhsa_reserve_vcc 0
		.amdhsa_reserve_flat_scratch 0
		.amdhsa_float_round_mode_32 0
		.amdhsa_float_round_mode_16_64 0
		.amdhsa_float_denorm_mode_32 3
		.amdhsa_float_denorm_mode_16_64 3
		.amdhsa_dx10_clamp 1
		.amdhsa_ieee_mode 1
		.amdhsa_fp16_overflow 0
		.amdhsa_tg_split 0
		.amdhsa_exception_fp_ieee_invalid_op 0
		.amdhsa_exception_fp_denorm_src 0
		.amdhsa_exception_fp_ieee_div_zero 0
		.amdhsa_exception_fp_ieee_overflow 0
		.amdhsa_exception_fp_ieee_underflow 0
		.amdhsa_exception_fp_ieee_inexact 0
		.amdhsa_exception_int_div_zero 0
	.end_amdhsa_kernel
	.section	.text._ZN7rocprim17ROCPRIM_400000_NS6detail17trampoline_kernelINS0_14default_configENS1_20scan_config_selectorIiEEZZNS1_9scan_implILNS1_25lookback_scan_determinismE0ELb0ELb0ES3_PiS8_iN6thrust23THRUST_200600_302600_NS4plusIvEEiEEDaPvRmT3_T4_T5_mT6_P12ihipStream_tbENKUlT_T0_E_clISt17integral_constantIbLb1EESQ_EEDaSL_SM_EUlSL_E0_NS1_11comp_targetILNS1_3genE5ELNS1_11target_archE942ELNS1_3gpuE9ELNS1_3repE0EEENS1_30default_config_static_selectorELNS0_4arch9wavefront6targetE1EEEvT1_,"axG",@progbits,_ZN7rocprim17ROCPRIM_400000_NS6detail17trampoline_kernelINS0_14default_configENS1_20scan_config_selectorIiEEZZNS1_9scan_implILNS1_25lookback_scan_determinismE0ELb0ELb0ES3_PiS8_iN6thrust23THRUST_200600_302600_NS4plusIvEEiEEDaPvRmT3_T4_T5_mT6_P12ihipStream_tbENKUlT_T0_E_clISt17integral_constantIbLb1EESQ_EEDaSL_SM_EUlSL_E0_NS1_11comp_targetILNS1_3genE5ELNS1_11target_archE942ELNS1_3gpuE9ELNS1_3repE0EEENS1_30default_config_static_selectorELNS0_4arch9wavefront6targetE1EEEvT1_,comdat
.Lfunc_end57:
	.size	_ZN7rocprim17ROCPRIM_400000_NS6detail17trampoline_kernelINS0_14default_configENS1_20scan_config_selectorIiEEZZNS1_9scan_implILNS1_25lookback_scan_determinismE0ELb0ELb0ES3_PiS8_iN6thrust23THRUST_200600_302600_NS4plusIvEEiEEDaPvRmT3_T4_T5_mT6_P12ihipStream_tbENKUlT_T0_E_clISt17integral_constantIbLb1EESQ_EEDaSL_SM_EUlSL_E0_NS1_11comp_targetILNS1_3genE5ELNS1_11target_archE942ELNS1_3gpuE9ELNS1_3repE0EEENS1_30default_config_static_selectorELNS0_4arch9wavefront6targetE1EEEvT1_, .Lfunc_end57-_ZN7rocprim17ROCPRIM_400000_NS6detail17trampoline_kernelINS0_14default_configENS1_20scan_config_selectorIiEEZZNS1_9scan_implILNS1_25lookback_scan_determinismE0ELb0ELb0ES3_PiS8_iN6thrust23THRUST_200600_302600_NS4plusIvEEiEEDaPvRmT3_T4_T5_mT6_P12ihipStream_tbENKUlT_T0_E_clISt17integral_constantIbLb1EESQ_EEDaSL_SM_EUlSL_E0_NS1_11comp_targetILNS1_3genE5ELNS1_11target_archE942ELNS1_3gpuE9ELNS1_3repE0EEENS1_30default_config_static_selectorELNS0_4arch9wavefront6targetE1EEEvT1_
                                        ; -- End function
	.section	.AMDGPU.csdata,"",@progbits
; Kernel info:
; codeLenInByte = 0
; NumSgprs: 4
; NumVgprs: 0
; NumAgprs: 0
; TotalNumVgprs: 0
; ScratchSize: 0
; MemoryBound: 0
; FloatMode: 240
; IeeeMode: 1
; LDSByteSize: 0 bytes/workgroup (compile time only)
; SGPRBlocks: 0
; VGPRBlocks: 0
; NumSGPRsForWavesPerEU: 4
; NumVGPRsForWavesPerEU: 1
; AccumOffset: 4
; Occupancy: 8
; WaveLimiterHint : 0
; COMPUTE_PGM_RSRC2:SCRATCH_EN: 0
; COMPUTE_PGM_RSRC2:USER_SGPR: 6
; COMPUTE_PGM_RSRC2:TRAP_HANDLER: 0
; COMPUTE_PGM_RSRC2:TGID_X_EN: 1
; COMPUTE_PGM_RSRC2:TGID_Y_EN: 0
; COMPUTE_PGM_RSRC2:TGID_Z_EN: 0
; COMPUTE_PGM_RSRC2:TIDIG_COMP_CNT: 0
; COMPUTE_PGM_RSRC3_GFX90A:ACCUM_OFFSET: 0
; COMPUTE_PGM_RSRC3_GFX90A:TG_SPLIT: 0
	.section	.text._ZN7rocprim17ROCPRIM_400000_NS6detail17trampoline_kernelINS0_14default_configENS1_20scan_config_selectorIiEEZZNS1_9scan_implILNS1_25lookback_scan_determinismE0ELb0ELb0ES3_PiS8_iN6thrust23THRUST_200600_302600_NS4plusIvEEiEEDaPvRmT3_T4_T5_mT6_P12ihipStream_tbENKUlT_T0_E_clISt17integral_constantIbLb1EESQ_EEDaSL_SM_EUlSL_E0_NS1_11comp_targetILNS1_3genE4ELNS1_11target_archE910ELNS1_3gpuE8ELNS1_3repE0EEENS1_30default_config_static_selectorELNS0_4arch9wavefront6targetE1EEEvT1_,"axG",@progbits,_ZN7rocprim17ROCPRIM_400000_NS6detail17trampoline_kernelINS0_14default_configENS1_20scan_config_selectorIiEEZZNS1_9scan_implILNS1_25lookback_scan_determinismE0ELb0ELb0ES3_PiS8_iN6thrust23THRUST_200600_302600_NS4plusIvEEiEEDaPvRmT3_T4_T5_mT6_P12ihipStream_tbENKUlT_T0_E_clISt17integral_constantIbLb1EESQ_EEDaSL_SM_EUlSL_E0_NS1_11comp_targetILNS1_3genE4ELNS1_11target_archE910ELNS1_3gpuE8ELNS1_3repE0EEENS1_30default_config_static_selectorELNS0_4arch9wavefront6targetE1EEEvT1_,comdat
	.protected	_ZN7rocprim17ROCPRIM_400000_NS6detail17trampoline_kernelINS0_14default_configENS1_20scan_config_selectorIiEEZZNS1_9scan_implILNS1_25lookback_scan_determinismE0ELb0ELb0ES3_PiS8_iN6thrust23THRUST_200600_302600_NS4plusIvEEiEEDaPvRmT3_T4_T5_mT6_P12ihipStream_tbENKUlT_T0_E_clISt17integral_constantIbLb1EESQ_EEDaSL_SM_EUlSL_E0_NS1_11comp_targetILNS1_3genE4ELNS1_11target_archE910ELNS1_3gpuE8ELNS1_3repE0EEENS1_30default_config_static_selectorELNS0_4arch9wavefront6targetE1EEEvT1_ ; -- Begin function _ZN7rocprim17ROCPRIM_400000_NS6detail17trampoline_kernelINS0_14default_configENS1_20scan_config_selectorIiEEZZNS1_9scan_implILNS1_25lookback_scan_determinismE0ELb0ELb0ES3_PiS8_iN6thrust23THRUST_200600_302600_NS4plusIvEEiEEDaPvRmT3_T4_T5_mT6_P12ihipStream_tbENKUlT_T0_E_clISt17integral_constantIbLb1EESQ_EEDaSL_SM_EUlSL_E0_NS1_11comp_targetILNS1_3genE4ELNS1_11target_archE910ELNS1_3gpuE8ELNS1_3repE0EEENS1_30default_config_static_selectorELNS0_4arch9wavefront6targetE1EEEvT1_
	.globl	_ZN7rocprim17ROCPRIM_400000_NS6detail17trampoline_kernelINS0_14default_configENS1_20scan_config_selectorIiEEZZNS1_9scan_implILNS1_25lookback_scan_determinismE0ELb0ELb0ES3_PiS8_iN6thrust23THRUST_200600_302600_NS4plusIvEEiEEDaPvRmT3_T4_T5_mT6_P12ihipStream_tbENKUlT_T0_E_clISt17integral_constantIbLb1EESQ_EEDaSL_SM_EUlSL_E0_NS1_11comp_targetILNS1_3genE4ELNS1_11target_archE910ELNS1_3gpuE8ELNS1_3repE0EEENS1_30default_config_static_selectorELNS0_4arch9wavefront6targetE1EEEvT1_
	.p2align	8
	.type	_ZN7rocprim17ROCPRIM_400000_NS6detail17trampoline_kernelINS0_14default_configENS1_20scan_config_selectorIiEEZZNS1_9scan_implILNS1_25lookback_scan_determinismE0ELb0ELb0ES3_PiS8_iN6thrust23THRUST_200600_302600_NS4plusIvEEiEEDaPvRmT3_T4_T5_mT6_P12ihipStream_tbENKUlT_T0_E_clISt17integral_constantIbLb1EESQ_EEDaSL_SM_EUlSL_E0_NS1_11comp_targetILNS1_3genE4ELNS1_11target_archE910ELNS1_3gpuE8ELNS1_3repE0EEENS1_30default_config_static_selectorELNS0_4arch9wavefront6targetE1EEEvT1_,@function
_ZN7rocprim17ROCPRIM_400000_NS6detail17trampoline_kernelINS0_14default_configENS1_20scan_config_selectorIiEEZZNS1_9scan_implILNS1_25lookback_scan_determinismE0ELb0ELb0ES3_PiS8_iN6thrust23THRUST_200600_302600_NS4plusIvEEiEEDaPvRmT3_T4_T5_mT6_P12ihipStream_tbENKUlT_T0_E_clISt17integral_constantIbLb1EESQ_EEDaSL_SM_EUlSL_E0_NS1_11comp_targetILNS1_3genE4ELNS1_11target_archE910ELNS1_3gpuE8ELNS1_3repE0EEENS1_30default_config_static_selectorELNS0_4arch9wavefront6targetE1EEEvT1_: ; @_ZN7rocprim17ROCPRIM_400000_NS6detail17trampoline_kernelINS0_14default_configENS1_20scan_config_selectorIiEEZZNS1_9scan_implILNS1_25lookback_scan_determinismE0ELb0ELb0ES3_PiS8_iN6thrust23THRUST_200600_302600_NS4plusIvEEiEEDaPvRmT3_T4_T5_mT6_P12ihipStream_tbENKUlT_T0_E_clISt17integral_constantIbLb1EESQ_EEDaSL_SM_EUlSL_E0_NS1_11comp_targetILNS1_3genE4ELNS1_11target_archE910ELNS1_3gpuE8ELNS1_3repE0EEENS1_30default_config_static_selectorELNS0_4arch9wavefront6targetE1EEEvT1_
; %bb.0:
	s_load_dwordx4 s[20:23], s[4:5], 0x0
	v_lshlrev_b32_e32 v20, 2, v0
	s_waitcnt lgkmcnt(0)
	s_load_dword s23, s[20:21], 0x0
	v_cmp_gt_u32_e32 vcc, s22, v0
	s_waitcnt lgkmcnt(0)
	v_mov_b32_e32 v1, s23
	s_and_saveexec_b64 s[0:1], vcc
	s_cbranch_execz .LBB58_2
; %bb.1:
	global_load_dword v1, v20, s[20:21]
.LBB58_2:
	s_or_b64 exec, exec, s[0:1]
	v_or_b32_e32 v2, 0x80, v0
	v_cmp_gt_u32_e64 s[0:1], s22, v2
	v_mov_b32_e32 v2, s23
	s_and_saveexec_b64 s[2:3], s[0:1]
	s_cbranch_execz .LBB58_4
; %bb.3:
	global_load_dword v2, v20, s[20:21] offset:512
.LBB58_4:
	s_or_b64 exec, exec, s[2:3]
	v_or_b32_e32 v3, 0x100, v0
	v_cmp_gt_u32_e64 s[2:3], s22, v3
	v_mov_b32_e32 v3, s23
	s_and_saveexec_b64 s[6:7], s[2:3]
	s_cbranch_execz .LBB58_6
; %bb.5:
	global_load_dword v3, v20, s[20:21] offset:1024
.LBB58_6:
	;; [unrolled: 9-line block ×7, first 2 shown]
	s_or_b64 exec, exec, s[14:15]
	v_or_b32_e32 v10, 0x400, v0
	v_cmp_gt_u32_e64 s[14:15], s22, v10
	v_mov_b32_e32 v9, s23
	s_and_saveexec_b64 s[16:17], s[14:15]
	s_cbranch_execz .LBB58_18
; %bb.17:
	v_lshlrev_b32_e32 v9, 2, v10
	global_load_dword v9, v9, s[20:21]
.LBB58_18:
	s_or_b64 exec, exec, s[16:17]
	v_or_b32_e32 v11, 0x480, v0
	v_cmp_gt_u32_e64 s[16:17], s22, v11
	v_mov_b32_e32 v10, s23
	s_and_saveexec_b64 s[22:23], s[16:17]
	s_cbranch_execz .LBB58_20
; %bb.19:
	v_lshlrev_b32_e32 v10, 2, v11
	global_load_dword v10, v10, s[20:21]
.LBB58_20:
	s_or_b64 exec, exec, s[22:23]
	s_waitcnt vmcnt(0)
	ds_write2st64_b32 v20, v1, v2 offset1:2
	ds_write2st64_b32 v20, v3, v4 offset0:4 offset1:6
	ds_write2st64_b32 v20, v5, v6 offset0:8 offset1:10
	;; [unrolled: 1-line block ×4, first 2 shown]
	v_mad_u32_u24 v1, v0, 36, v20
	s_waitcnt lgkmcnt(0)
	s_barrier
	ds_read2_b64 v[6:9], v1 offset1:1
	ds_read2_b64 v[2:5], v1 offset0:2 offset1:3
	ds_read_b64 v[18:19], v1 offset:32
	v_lshrrev_b32_e32 v21, 3, v0
	v_and_b32_e32 v21, 12, v21
	s_waitcnt lgkmcnt(2)
	v_add_u32_e32 v1, v7, v6
	v_add_u32_e32 v14, v1, v8
	;; [unrolled: 1-line block ×3, first 2 shown]
	s_waitcnt lgkmcnt(1)
	v_add_u32_e32 v10, v15, v2
	v_add_u32_e32 v11, v10, v3
	;; [unrolled: 1-line block ×4, first 2 shown]
	s_waitcnt lgkmcnt(0)
	v_add_u32_e32 v16, v13, v18
	v_add_u32_e32 v17, v16, v19
	;; [unrolled: 1-line block ×3, first 2 shown]
	v_cmp_gt_u32_e64 s[20:21], 64, v0
	s_barrier
	ds_write_b32 v21, v17
	s_waitcnt lgkmcnt(0)
	s_barrier
	s_and_saveexec_b64 s[22:23], s[20:21]
	s_cbranch_execz .LBB58_22
; %bb.21:
	v_lshlrev_b32_e32 v21, 1, v0
	v_lshrrev_b32_e32 v22, 4, v0
	v_add_lshl_u32 v21, v22, v21, 2
	ds_read2_b32 v[22:23], v21 offset1:1
	v_mbcnt_lo_u32_b32 v24, -1, 0
	v_mbcnt_hi_u32_b32 v24, -1, v24
	v_and_b32_e32 v25, 15, v24
	v_cmp_ne_u32_e64 s[20:21], 0, v25
	s_waitcnt lgkmcnt(0)
	v_add_u32_e32 v23, v23, v22
	; wave barrier
	s_nop 1
	v_mov_b32_dpp v26, v23 row_shr:1 row_mask:0xf bank_mask:0xf
	v_cndmask_b32_e64 v26, 0, v26, s[20:21]
	v_add_u32_e32 v23, v26, v23
	v_cmp_lt_u32_e64 s[20:21], 1, v25
	s_nop 0
	v_mov_b32_dpp v26, v23 row_shr:2 row_mask:0xf bank_mask:0xf
	v_cndmask_b32_e64 v26, 0, v26, s[20:21]
	v_add_u32_e32 v23, v23, v26
	v_cmp_lt_u32_e64 s[20:21], 3, v25
	;; [unrolled: 5-line block ×3, first 2 shown]
	s_nop 0
	v_mov_b32_dpp v26, v23 row_shr:8 row_mask:0xf bank_mask:0xf
	v_cndmask_b32_e64 v25, 0, v26, s[20:21]
	v_add_u32_e32 v23, v23, v25
	v_bfe_i32 v26, v24, 4, 1
	v_cmp_lt_u32_e64 s[20:21], 31, v24
	v_mov_b32_dpp v25, v23 row_bcast:15 row_mask:0xf bank_mask:0xf
	v_and_b32_e32 v25, v26, v25
	v_add_u32_e32 v23, v23, v25
	v_and_b32_e32 v26, 64, v24
	s_nop 0
	v_mov_b32_dpp v25, v23 row_bcast:31 row_mask:0xf bank_mask:0xf
	v_cndmask_b32_e64 v25, 0, v25, s[20:21]
	v_add_u32_e32 v23, v23, v25
	v_add_u32_e32 v25, -1, v24
	v_cmp_lt_i32_e64 s[20:21], v25, v26
	v_cndmask_b32_e64 v24, v25, v24, s[20:21]
	v_lshlrev_b32_e32 v24, 2, v24
	ds_bpermute_b32 v23, v24, v23
	v_cmp_eq_u32_e64 s[20:21], 0, v0
	s_waitcnt lgkmcnt(0)
	v_add_u32_e32 v22, v23, v22
	v_cndmask_b32_e64 v22, v22, v17, s[20:21]
	ds_write_b32 v21, v22
	; wave barrier
	ds_read_b32 v23, v21 offset:4
	s_waitcnt lgkmcnt(0)
	v_add_u32_e32 v22, v23, v22
	ds_write_b32 v21, v22 offset:4
.LBB58_22:
	s_or_b64 exec, exec, s[22:23]
	s_load_dwordx2 s[20:21], s[4:5], 0x18
	v_cmp_ne_u32_e64 s[4:5], 0, v0
	v_mov_b32_e32 v22, v17
	s_waitcnt lgkmcnt(0)
	s_barrier
	s_and_saveexec_b64 s[22:23], s[4:5]
	s_cbranch_execz .LBB58_24
; %bb.23:
	v_add_u32_e32 v21, -1, v0
	v_lshrrev_b32_e32 v22, 5, v21
	v_add_lshl_u32 v21, v22, v21, 2
	ds_read_b32 v22, v21
.LBB58_24:
	s_or_b64 exec, exec, s[22:23]
	v_mul_u32_u24_e32 v21, 36, v0
	v_mov_b32_e32 v0, v6
	s_and_saveexec_b64 s[22:23], s[4:5]
	s_cbranch_execz .LBB58_26
; %bb.25:
	s_waitcnt lgkmcnt(0)
	v_add_u32_e32 v0, v22, v6
	v_add_u32_e32 v1, v0, v7
	;; [unrolled: 1-line block ×10, first 2 shown]
	;;#ASMSTART
	;;#ASMEND
.LBB58_26:
	s_or_b64 exec, exec, s[22:23]
	v_add_u32_e32 v2, v20, v21
	s_waitcnt lgkmcnt(0)
	s_barrier
	ds_write2_b64 v2, v[0:1], v[14:15] offset1:1
	ds_write2_b64 v2, v[10:11], v[12:13] offset0:2 offset1:3
	ds_write_b64 v2, v[16:17] offset:32
	s_waitcnt lgkmcnt(0)
	s_barrier
	ds_read2st64_b32 v[8:9], v20 offset0:2 offset1:4
	ds_read2st64_b32 v[6:7], v20 offset0:6 offset1:8
	;; [unrolled: 1-line block ×4, first 2 shown]
	ds_read_b32 v10, v20 offset:4608
	v_mov_b32_e32 v1, s21
	v_add_co_u32_e64 v0, s[4:5], s20, v20
	v_addc_co_u32_e64 v1, s[4:5], 0, v1, s[4:5]
	s_and_saveexec_b64 s[4:5], vcc
	s_cbranch_execnz .LBB58_37
; %bb.27:
	s_or_b64 exec, exec, s[4:5]
	s_and_saveexec_b64 s[4:5], s[0:1]
	s_cbranch_execnz .LBB58_38
.LBB58_28:
	s_or_b64 exec, exec, s[4:5]
	s_and_saveexec_b64 s[0:1], s[2:3]
	s_cbranch_execnz .LBB58_39
.LBB58_29:
	s_or_b64 exec, exec, s[0:1]
	s_and_saveexec_b64 s[0:1], s[18:19]
	s_cbranch_execnz .LBB58_40
.LBB58_30:
	s_or_b64 exec, exec, s[0:1]
	s_and_saveexec_b64 s[0:1], s[6:7]
	s_cbranch_execnz .LBB58_41
.LBB58_31:
	s_or_b64 exec, exec, s[0:1]
	s_and_saveexec_b64 s[0:1], s[8:9]
	s_cbranch_execnz .LBB58_42
.LBB58_32:
	s_or_b64 exec, exec, s[0:1]
	s_and_saveexec_b64 s[0:1], s[10:11]
	s_cbranch_execnz .LBB58_43
.LBB58_33:
	s_or_b64 exec, exec, s[0:1]
	s_and_saveexec_b64 s[0:1], s[12:13]
	s_cbranch_execnz .LBB58_44
.LBB58_34:
	s_or_b64 exec, exec, s[0:1]
	s_and_saveexec_b64 s[0:1], s[14:15]
	s_cbranch_execnz .LBB58_45
.LBB58_35:
	s_or_b64 exec, exec, s[0:1]
	s_and_saveexec_b64 s[0:1], s[16:17]
	s_cbranch_execnz .LBB58_46
.LBB58_36:
	s_endpgm
.LBB58_37:
	ds_read_b32 v11, v20
	s_waitcnt lgkmcnt(0)
	global_store_dword v[0:1], v11, off
	s_or_b64 exec, exec, s[4:5]
	s_and_saveexec_b64 s[4:5], s[0:1]
	s_cbranch_execz .LBB58_28
.LBB58_38:
	s_waitcnt lgkmcnt(4)
	global_store_dword v[0:1], v8, off offset:512
	s_or_b64 exec, exec, s[4:5]
	s_and_saveexec_b64 s[0:1], s[2:3]
	s_cbranch_execz .LBB58_29
.LBB58_39:
	s_waitcnt lgkmcnt(4)
	global_store_dword v[0:1], v9, off offset:1024
	s_or_b64 exec, exec, s[0:1]
	s_and_saveexec_b64 s[0:1], s[18:19]
	s_cbranch_execz .LBB58_30
.LBB58_40:
	s_waitcnt lgkmcnt(3)
	global_store_dword v[0:1], v6, off offset:1536
	s_or_b64 exec, exec, s[0:1]
	s_and_saveexec_b64 s[0:1], s[6:7]
	s_cbranch_execz .LBB58_31
.LBB58_41:
	s_waitcnt lgkmcnt(3)
	global_store_dword v[0:1], v7, off offset:2048
	s_or_b64 exec, exec, s[0:1]
	s_and_saveexec_b64 s[0:1], s[8:9]
	s_cbranch_execz .LBB58_32
.LBB58_42:
	s_waitcnt lgkmcnt(2)
	global_store_dword v[0:1], v4, off offset:2560
	s_or_b64 exec, exec, s[0:1]
	s_and_saveexec_b64 s[0:1], s[10:11]
	s_cbranch_execz .LBB58_33
.LBB58_43:
	s_waitcnt lgkmcnt(2)
	global_store_dword v[0:1], v5, off offset:3072
	s_or_b64 exec, exec, s[0:1]
	s_and_saveexec_b64 s[0:1], s[12:13]
	s_cbranch_execz .LBB58_34
.LBB58_44:
	s_waitcnt lgkmcnt(1)
	global_store_dword v[0:1], v2, off offset:3584
	s_or_b64 exec, exec, s[0:1]
	s_and_saveexec_b64 s[0:1], s[14:15]
	s_cbranch_execz .LBB58_35
.LBB58_45:
	s_waitcnt lgkmcnt(2)
	v_add_co_u32_e32 v4, vcc, 0x1000, v0
	v_addc_co_u32_e32 v5, vcc, 0, v1, vcc
	s_waitcnt lgkmcnt(1)
	global_store_dword v[4:5], v3, off
	s_or_b64 exec, exec, s[0:1]
	s_and_saveexec_b64 s[0:1], s[16:17]
	s_cbranch_execz .LBB58_36
.LBB58_46:
	v_add_co_u32_e32 v0, vcc, 0x1000, v0
	v_addc_co_u32_e32 v1, vcc, 0, v1, vcc
	s_waitcnt lgkmcnt(0)
	global_store_dword v[0:1], v10, off offset:512
	s_endpgm
	.section	.rodata,"a",@progbits
	.p2align	6, 0x0
	.amdhsa_kernel _ZN7rocprim17ROCPRIM_400000_NS6detail17trampoline_kernelINS0_14default_configENS1_20scan_config_selectorIiEEZZNS1_9scan_implILNS1_25lookback_scan_determinismE0ELb0ELb0ES3_PiS8_iN6thrust23THRUST_200600_302600_NS4plusIvEEiEEDaPvRmT3_T4_T5_mT6_P12ihipStream_tbENKUlT_T0_E_clISt17integral_constantIbLb1EESQ_EEDaSL_SM_EUlSL_E0_NS1_11comp_targetILNS1_3genE4ELNS1_11target_archE910ELNS1_3gpuE8ELNS1_3repE0EEENS1_30default_config_static_selectorELNS0_4arch9wavefront6targetE1EEEvT1_
		.amdhsa_group_segment_fixed_size 5120
		.amdhsa_private_segment_fixed_size 0
		.amdhsa_kernarg_size 32
		.amdhsa_user_sgpr_count 6
		.amdhsa_user_sgpr_private_segment_buffer 1
		.amdhsa_user_sgpr_dispatch_ptr 0
		.amdhsa_user_sgpr_queue_ptr 0
		.amdhsa_user_sgpr_kernarg_segment_ptr 1
		.amdhsa_user_sgpr_dispatch_id 0
		.amdhsa_user_sgpr_flat_scratch_init 0
		.amdhsa_user_sgpr_kernarg_preload_length 0
		.amdhsa_user_sgpr_kernarg_preload_offset 0
		.amdhsa_user_sgpr_private_segment_size 0
		.amdhsa_uses_dynamic_stack 0
		.amdhsa_system_sgpr_private_segment_wavefront_offset 0
		.amdhsa_system_sgpr_workgroup_id_x 1
		.amdhsa_system_sgpr_workgroup_id_y 0
		.amdhsa_system_sgpr_workgroup_id_z 0
		.amdhsa_system_sgpr_workgroup_info 0
		.amdhsa_system_vgpr_workitem_id 0
		.amdhsa_next_free_vgpr 27
		.amdhsa_next_free_sgpr 24
		.amdhsa_accum_offset 28
		.amdhsa_reserve_vcc 1
		.amdhsa_reserve_flat_scratch 0
		.amdhsa_float_round_mode_32 0
		.amdhsa_float_round_mode_16_64 0
		.amdhsa_float_denorm_mode_32 3
		.amdhsa_float_denorm_mode_16_64 3
		.amdhsa_dx10_clamp 1
		.amdhsa_ieee_mode 1
		.amdhsa_fp16_overflow 0
		.amdhsa_tg_split 0
		.amdhsa_exception_fp_ieee_invalid_op 0
		.amdhsa_exception_fp_denorm_src 0
		.amdhsa_exception_fp_ieee_div_zero 0
		.amdhsa_exception_fp_ieee_overflow 0
		.amdhsa_exception_fp_ieee_underflow 0
		.amdhsa_exception_fp_ieee_inexact 0
		.amdhsa_exception_int_div_zero 0
	.end_amdhsa_kernel
	.section	.text._ZN7rocprim17ROCPRIM_400000_NS6detail17trampoline_kernelINS0_14default_configENS1_20scan_config_selectorIiEEZZNS1_9scan_implILNS1_25lookback_scan_determinismE0ELb0ELb0ES3_PiS8_iN6thrust23THRUST_200600_302600_NS4plusIvEEiEEDaPvRmT3_T4_T5_mT6_P12ihipStream_tbENKUlT_T0_E_clISt17integral_constantIbLb1EESQ_EEDaSL_SM_EUlSL_E0_NS1_11comp_targetILNS1_3genE4ELNS1_11target_archE910ELNS1_3gpuE8ELNS1_3repE0EEENS1_30default_config_static_selectorELNS0_4arch9wavefront6targetE1EEEvT1_,"axG",@progbits,_ZN7rocprim17ROCPRIM_400000_NS6detail17trampoline_kernelINS0_14default_configENS1_20scan_config_selectorIiEEZZNS1_9scan_implILNS1_25lookback_scan_determinismE0ELb0ELb0ES3_PiS8_iN6thrust23THRUST_200600_302600_NS4plusIvEEiEEDaPvRmT3_T4_T5_mT6_P12ihipStream_tbENKUlT_T0_E_clISt17integral_constantIbLb1EESQ_EEDaSL_SM_EUlSL_E0_NS1_11comp_targetILNS1_3genE4ELNS1_11target_archE910ELNS1_3gpuE8ELNS1_3repE0EEENS1_30default_config_static_selectorELNS0_4arch9wavefront6targetE1EEEvT1_,comdat
.Lfunc_end58:
	.size	_ZN7rocprim17ROCPRIM_400000_NS6detail17trampoline_kernelINS0_14default_configENS1_20scan_config_selectorIiEEZZNS1_9scan_implILNS1_25lookback_scan_determinismE0ELb0ELb0ES3_PiS8_iN6thrust23THRUST_200600_302600_NS4plusIvEEiEEDaPvRmT3_T4_T5_mT6_P12ihipStream_tbENKUlT_T0_E_clISt17integral_constantIbLb1EESQ_EEDaSL_SM_EUlSL_E0_NS1_11comp_targetILNS1_3genE4ELNS1_11target_archE910ELNS1_3gpuE8ELNS1_3repE0EEENS1_30default_config_static_selectorELNS0_4arch9wavefront6targetE1EEEvT1_, .Lfunc_end58-_ZN7rocprim17ROCPRIM_400000_NS6detail17trampoline_kernelINS0_14default_configENS1_20scan_config_selectorIiEEZZNS1_9scan_implILNS1_25lookback_scan_determinismE0ELb0ELb0ES3_PiS8_iN6thrust23THRUST_200600_302600_NS4plusIvEEiEEDaPvRmT3_T4_T5_mT6_P12ihipStream_tbENKUlT_T0_E_clISt17integral_constantIbLb1EESQ_EEDaSL_SM_EUlSL_E0_NS1_11comp_targetILNS1_3genE4ELNS1_11target_archE910ELNS1_3gpuE8ELNS1_3repE0EEENS1_30default_config_static_selectorELNS0_4arch9wavefront6targetE1EEEvT1_
                                        ; -- End function
	.section	.AMDGPU.csdata,"",@progbits
; Kernel info:
; codeLenInByte = 1556
; NumSgprs: 28
; NumVgprs: 27
; NumAgprs: 0
; TotalNumVgprs: 27
; ScratchSize: 0
; MemoryBound: 0
; FloatMode: 240
; IeeeMode: 1
; LDSByteSize: 5120 bytes/workgroup (compile time only)
; SGPRBlocks: 3
; VGPRBlocks: 3
; NumSGPRsForWavesPerEU: 28
; NumVGPRsForWavesPerEU: 27
; AccumOffset: 28
; Occupancy: 6
; WaveLimiterHint : 0
; COMPUTE_PGM_RSRC2:SCRATCH_EN: 0
; COMPUTE_PGM_RSRC2:USER_SGPR: 6
; COMPUTE_PGM_RSRC2:TRAP_HANDLER: 0
; COMPUTE_PGM_RSRC2:TGID_X_EN: 1
; COMPUTE_PGM_RSRC2:TGID_Y_EN: 0
; COMPUTE_PGM_RSRC2:TGID_Z_EN: 0
; COMPUTE_PGM_RSRC2:TIDIG_COMP_CNT: 0
; COMPUTE_PGM_RSRC3_GFX90A:ACCUM_OFFSET: 6
; COMPUTE_PGM_RSRC3_GFX90A:TG_SPLIT: 0
	.section	.text._ZN7rocprim17ROCPRIM_400000_NS6detail17trampoline_kernelINS0_14default_configENS1_20scan_config_selectorIiEEZZNS1_9scan_implILNS1_25lookback_scan_determinismE0ELb0ELb0ES3_PiS8_iN6thrust23THRUST_200600_302600_NS4plusIvEEiEEDaPvRmT3_T4_T5_mT6_P12ihipStream_tbENKUlT_T0_E_clISt17integral_constantIbLb1EESQ_EEDaSL_SM_EUlSL_E0_NS1_11comp_targetILNS1_3genE3ELNS1_11target_archE908ELNS1_3gpuE7ELNS1_3repE0EEENS1_30default_config_static_selectorELNS0_4arch9wavefront6targetE1EEEvT1_,"axG",@progbits,_ZN7rocprim17ROCPRIM_400000_NS6detail17trampoline_kernelINS0_14default_configENS1_20scan_config_selectorIiEEZZNS1_9scan_implILNS1_25lookback_scan_determinismE0ELb0ELb0ES3_PiS8_iN6thrust23THRUST_200600_302600_NS4plusIvEEiEEDaPvRmT3_T4_T5_mT6_P12ihipStream_tbENKUlT_T0_E_clISt17integral_constantIbLb1EESQ_EEDaSL_SM_EUlSL_E0_NS1_11comp_targetILNS1_3genE3ELNS1_11target_archE908ELNS1_3gpuE7ELNS1_3repE0EEENS1_30default_config_static_selectorELNS0_4arch9wavefront6targetE1EEEvT1_,comdat
	.protected	_ZN7rocprim17ROCPRIM_400000_NS6detail17trampoline_kernelINS0_14default_configENS1_20scan_config_selectorIiEEZZNS1_9scan_implILNS1_25lookback_scan_determinismE0ELb0ELb0ES3_PiS8_iN6thrust23THRUST_200600_302600_NS4plusIvEEiEEDaPvRmT3_T4_T5_mT6_P12ihipStream_tbENKUlT_T0_E_clISt17integral_constantIbLb1EESQ_EEDaSL_SM_EUlSL_E0_NS1_11comp_targetILNS1_3genE3ELNS1_11target_archE908ELNS1_3gpuE7ELNS1_3repE0EEENS1_30default_config_static_selectorELNS0_4arch9wavefront6targetE1EEEvT1_ ; -- Begin function _ZN7rocprim17ROCPRIM_400000_NS6detail17trampoline_kernelINS0_14default_configENS1_20scan_config_selectorIiEEZZNS1_9scan_implILNS1_25lookback_scan_determinismE0ELb0ELb0ES3_PiS8_iN6thrust23THRUST_200600_302600_NS4plusIvEEiEEDaPvRmT3_T4_T5_mT6_P12ihipStream_tbENKUlT_T0_E_clISt17integral_constantIbLb1EESQ_EEDaSL_SM_EUlSL_E0_NS1_11comp_targetILNS1_3genE3ELNS1_11target_archE908ELNS1_3gpuE7ELNS1_3repE0EEENS1_30default_config_static_selectorELNS0_4arch9wavefront6targetE1EEEvT1_
	.globl	_ZN7rocprim17ROCPRIM_400000_NS6detail17trampoline_kernelINS0_14default_configENS1_20scan_config_selectorIiEEZZNS1_9scan_implILNS1_25lookback_scan_determinismE0ELb0ELb0ES3_PiS8_iN6thrust23THRUST_200600_302600_NS4plusIvEEiEEDaPvRmT3_T4_T5_mT6_P12ihipStream_tbENKUlT_T0_E_clISt17integral_constantIbLb1EESQ_EEDaSL_SM_EUlSL_E0_NS1_11comp_targetILNS1_3genE3ELNS1_11target_archE908ELNS1_3gpuE7ELNS1_3repE0EEENS1_30default_config_static_selectorELNS0_4arch9wavefront6targetE1EEEvT1_
	.p2align	8
	.type	_ZN7rocprim17ROCPRIM_400000_NS6detail17trampoline_kernelINS0_14default_configENS1_20scan_config_selectorIiEEZZNS1_9scan_implILNS1_25lookback_scan_determinismE0ELb0ELb0ES3_PiS8_iN6thrust23THRUST_200600_302600_NS4plusIvEEiEEDaPvRmT3_T4_T5_mT6_P12ihipStream_tbENKUlT_T0_E_clISt17integral_constantIbLb1EESQ_EEDaSL_SM_EUlSL_E0_NS1_11comp_targetILNS1_3genE3ELNS1_11target_archE908ELNS1_3gpuE7ELNS1_3repE0EEENS1_30default_config_static_selectorELNS0_4arch9wavefront6targetE1EEEvT1_,@function
_ZN7rocprim17ROCPRIM_400000_NS6detail17trampoline_kernelINS0_14default_configENS1_20scan_config_selectorIiEEZZNS1_9scan_implILNS1_25lookback_scan_determinismE0ELb0ELb0ES3_PiS8_iN6thrust23THRUST_200600_302600_NS4plusIvEEiEEDaPvRmT3_T4_T5_mT6_P12ihipStream_tbENKUlT_T0_E_clISt17integral_constantIbLb1EESQ_EEDaSL_SM_EUlSL_E0_NS1_11comp_targetILNS1_3genE3ELNS1_11target_archE908ELNS1_3gpuE7ELNS1_3repE0EEENS1_30default_config_static_selectorELNS0_4arch9wavefront6targetE1EEEvT1_: ; @_ZN7rocprim17ROCPRIM_400000_NS6detail17trampoline_kernelINS0_14default_configENS1_20scan_config_selectorIiEEZZNS1_9scan_implILNS1_25lookback_scan_determinismE0ELb0ELb0ES3_PiS8_iN6thrust23THRUST_200600_302600_NS4plusIvEEiEEDaPvRmT3_T4_T5_mT6_P12ihipStream_tbENKUlT_T0_E_clISt17integral_constantIbLb1EESQ_EEDaSL_SM_EUlSL_E0_NS1_11comp_targetILNS1_3genE3ELNS1_11target_archE908ELNS1_3gpuE7ELNS1_3repE0EEENS1_30default_config_static_selectorELNS0_4arch9wavefront6targetE1EEEvT1_
; %bb.0:
	.section	.rodata,"a",@progbits
	.p2align	6, 0x0
	.amdhsa_kernel _ZN7rocprim17ROCPRIM_400000_NS6detail17trampoline_kernelINS0_14default_configENS1_20scan_config_selectorIiEEZZNS1_9scan_implILNS1_25lookback_scan_determinismE0ELb0ELb0ES3_PiS8_iN6thrust23THRUST_200600_302600_NS4plusIvEEiEEDaPvRmT3_T4_T5_mT6_P12ihipStream_tbENKUlT_T0_E_clISt17integral_constantIbLb1EESQ_EEDaSL_SM_EUlSL_E0_NS1_11comp_targetILNS1_3genE3ELNS1_11target_archE908ELNS1_3gpuE7ELNS1_3repE0EEENS1_30default_config_static_selectorELNS0_4arch9wavefront6targetE1EEEvT1_
		.amdhsa_group_segment_fixed_size 0
		.amdhsa_private_segment_fixed_size 0
		.amdhsa_kernarg_size 32
		.amdhsa_user_sgpr_count 6
		.amdhsa_user_sgpr_private_segment_buffer 1
		.amdhsa_user_sgpr_dispatch_ptr 0
		.amdhsa_user_sgpr_queue_ptr 0
		.amdhsa_user_sgpr_kernarg_segment_ptr 1
		.amdhsa_user_sgpr_dispatch_id 0
		.amdhsa_user_sgpr_flat_scratch_init 0
		.amdhsa_user_sgpr_kernarg_preload_length 0
		.amdhsa_user_sgpr_kernarg_preload_offset 0
		.amdhsa_user_sgpr_private_segment_size 0
		.amdhsa_uses_dynamic_stack 0
		.amdhsa_system_sgpr_private_segment_wavefront_offset 0
		.amdhsa_system_sgpr_workgroup_id_x 1
		.amdhsa_system_sgpr_workgroup_id_y 0
		.amdhsa_system_sgpr_workgroup_id_z 0
		.amdhsa_system_sgpr_workgroup_info 0
		.amdhsa_system_vgpr_workitem_id 0
		.amdhsa_next_free_vgpr 1
		.amdhsa_next_free_sgpr 0
		.amdhsa_accum_offset 4
		.amdhsa_reserve_vcc 0
		.amdhsa_reserve_flat_scratch 0
		.amdhsa_float_round_mode_32 0
		.amdhsa_float_round_mode_16_64 0
		.amdhsa_float_denorm_mode_32 3
		.amdhsa_float_denorm_mode_16_64 3
		.amdhsa_dx10_clamp 1
		.amdhsa_ieee_mode 1
		.amdhsa_fp16_overflow 0
		.amdhsa_tg_split 0
		.amdhsa_exception_fp_ieee_invalid_op 0
		.amdhsa_exception_fp_denorm_src 0
		.amdhsa_exception_fp_ieee_div_zero 0
		.amdhsa_exception_fp_ieee_overflow 0
		.amdhsa_exception_fp_ieee_underflow 0
		.amdhsa_exception_fp_ieee_inexact 0
		.amdhsa_exception_int_div_zero 0
	.end_amdhsa_kernel
	.section	.text._ZN7rocprim17ROCPRIM_400000_NS6detail17trampoline_kernelINS0_14default_configENS1_20scan_config_selectorIiEEZZNS1_9scan_implILNS1_25lookback_scan_determinismE0ELb0ELb0ES3_PiS8_iN6thrust23THRUST_200600_302600_NS4plusIvEEiEEDaPvRmT3_T4_T5_mT6_P12ihipStream_tbENKUlT_T0_E_clISt17integral_constantIbLb1EESQ_EEDaSL_SM_EUlSL_E0_NS1_11comp_targetILNS1_3genE3ELNS1_11target_archE908ELNS1_3gpuE7ELNS1_3repE0EEENS1_30default_config_static_selectorELNS0_4arch9wavefront6targetE1EEEvT1_,"axG",@progbits,_ZN7rocprim17ROCPRIM_400000_NS6detail17trampoline_kernelINS0_14default_configENS1_20scan_config_selectorIiEEZZNS1_9scan_implILNS1_25lookback_scan_determinismE0ELb0ELb0ES3_PiS8_iN6thrust23THRUST_200600_302600_NS4plusIvEEiEEDaPvRmT3_T4_T5_mT6_P12ihipStream_tbENKUlT_T0_E_clISt17integral_constantIbLb1EESQ_EEDaSL_SM_EUlSL_E0_NS1_11comp_targetILNS1_3genE3ELNS1_11target_archE908ELNS1_3gpuE7ELNS1_3repE0EEENS1_30default_config_static_selectorELNS0_4arch9wavefront6targetE1EEEvT1_,comdat
.Lfunc_end59:
	.size	_ZN7rocprim17ROCPRIM_400000_NS6detail17trampoline_kernelINS0_14default_configENS1_20scan_config_selectorIiEEZZNS1_9scan_implILNS1_25lookback_scan_determinismE0ELb0ELb0ES3_PiS8_iN6thrust23THRUST_200600_302600_NS4plusIvEEiEEDaPvRmT3_T4_T5_mT6_P12ihipStream_tbENKUlT_T0_E_clISt17integral_constantIbLb1EESQ_EEDaSL_SM_EUlSL_E0_NS1_11comp_targetILNS1_3genE3ELNS1_11target_archE908ELNS1_3gpuE7ELNS1_3repE0EEENS1_30default_config_static_selectorELNS0_4arch9wavefront6targetE1EEEvT1_, .Lfunc_end59-_ZN7rocprim17ROCPRIM_400000_NS6detail17trampoline_kernelINS0_14default_configENS1_20scan_config_selectorIiEEZZNS1_9scan_implILNS1_25lookback_scan_determinismE0ELb0ELb0ES3_PiS8_iN6thrust23THRUST_200600_302600_NS4plusIvEEiEEDaPvRmT3_T4_T5_mT6_P12ihipStream_tbENKUlT_T0_E_clISt17integral_constantIbLb1EESQ_EEDaSL_SM_EUlSL_E0_NS1_11comp_targetILNS1_3genE3ELNS1_11target_archE908ELNS1_3gpuE7ELNS1_3repE0EEENS1_30default_config_static_selectorELNS0_4arch9wavefront6targetE1EEEvT1_
                                        ; -- End function
	.section	.AMDGPU.csdata,"",@progbits
; Kernel info:
; codeLenInByte = 0
; NumSgprs: 4
; NumVgprs: 0
; NumAgprs: 0
; TotalNumVgprs: 0
; ScratchSize: 0
; MemoryBound: 0
; FloatMode: 240
; IeeeMode: 1
; LDSByteSize: 0 bytes/workgroup (compile time only)
; SGPRBlocks: 0
; VGPRBlocks: 0
; NumSGPRsForWavesPerEU: 4
; NumVGPRsForWavesPerEU: 1
; AccumOffset: 4
; Occupancy: 8
; WaveLimiterHint : 0
; COMPUTE_PGM_RSRC2:SCRATCH_EN: 0
; COMPUTE_PGM_RSRC2:USER_SGPR: 6
; COMPUTE_PGM_RSRC2:TRAP_HANDLER: 0
; COMPUTE_PGM_RSRC2:TGID_X_EN: 1
; COMPUTE_PGM_RSRC2:TGID_Y_EN: 0
; COMPUTE_PGM_RSRC2:TGID_Z_EN: 0
; COMPUTE_PGM_RSRC2:TIDIG_COMP_CNT: 0
; COMPUTE_PGM_RSRC3_GFX90A:ACCUM_OFFSET: 0
; COMPUTE_PGM_RSRC3_GFX90A:TG_SPLIT: 0
	.section	.text._ZN7rocprim17ROCPRIM_400000_NS6detail17trampoline_kernelINS0_14default_configENS1_20scan_config_selectorIiEEZZNS1_9scan_implILNS1_25lookback_scan_determinismE0ELb0ELb0ES3_PiS8_iN6thrust23THRUST_200600_302600_NS4plusIvEEiEEDaPvRmT3_T4_T5_mT6_P12ihipStream_tbENKUlT_T0_E_clISt17integral_constantIbLb1EESQ_EEDaSL_SM_EUlSL_E0_NS1_11comp_targetILNS1_3genE2ELNS1_11target_archE906ELNS1_3gpuE6ELNS1_3repE0EEENS1_30default_config_static_selectorELNS0_4arch9wavefront6targetE1EEEvT1_,"axG",@progbits,_ZN7rocprim17ROCPRIM_400000_NS6detail17trampoline_kernelINS0_14default_configENS1_20scan_config_selectorIiEEZZNS1_9scan_implILNS1_25lookback_scan_determinismE0ELb0ELb0ES3_PiS8_iN6thrust23THRUST_200600_302600_NS4plusIvEEiEEDaPvRmT3_T4_T5_mT6_P12ihipStream_tbENKUlT_T0_E_clISt17integral_constantIbLb1EESQ_EEDaSL_SM_EUlSL_E0_NS1_11comp_targetILNS1_3genE2ELNS1_11target_archE906ELNS1_3gpuE6ELNS1_3repE0EEENS1_30default_config_static_selectorELNS0_4arch9wavefront6targetE1EEEvT1_,comdat
	.protected	_ZN7rocprim17ROCPRIM_400000_NS6detail17trampoline_kernelINS0_14default_configENS1_20scan_config_selectorIiEEZZNS1_9scan_implILNS1_25lookback_scan_determinismE0ELb0ELb0ES3_PiS8_iN6thrust23THRUST_200600_302600_NS4plusIvEEiEEDaPvRmT3_T4_T5_mT6_P12ihipStream_tbENKUlT_T0_E_clISt17integral_constantIbLb1EESQ_EEDaSL_SM_EUlSL_E0_NS1_11comp_targetILNS1_3genE2ELNS1_11target_archE906ELNS1_3gpuE6ELNS1_3repE0EEENS1_30default_config_static_selectorELNS0_4arch9wavefront6targetE1EEEvT1_ ; -- Begin function _ZN7rocprim17ROCPRIM_400000_NS6detail17trampoline_kernelINS0_14default_configENS1_20scan_config_selectorIiEEZZNS1_9scan_implILNS1_25lookback_scan_determinismE0ELb0ELb0ES3_PiS8_iN6thrust23THRUST_200600_302600_NS4plusIvEEiEEDaPvRmT3_T4_T5_mT6_P12ihipStream_tbENKUlT_T0_E_clISt17integral_constantIbLb1EESQ_EEDaSL_SM_EUlSL_E0_NS1_11comp_targetILNS1_3genE2ELNS1_11target_archE906ELNS1_3gpuE6ELNS1_3repE0EEENS1_30default_config_static_selectorELNS0_4arch9wavefront6targetE1EEEvT1_
	.globl	_ZN7rocprim17ROCPRIM_400000_NS6detail17trampoline_kernelINS0_14default_configENS1_20scan_config_selectorIiEEZZNS1_9scan_implILNS1_25lookback_scan_determinismE0ELb0ELb0ES3_PiS8_iN6thrust23THRUST_200600_302600_NS4plusIvEEiEEDaPvRmT3_T4_T5_mT6_P12ihipStream_tbENKUlT_T0_E_clISt17integral_constantIbLb1EESQ_EEDaSL_SM_EUlSL_E0_NS1_11comp_targetILNS1_3genE2ELNS1_11target_archE906ELNS1_3gpuE6ELNS1_3repE0EEENS1_30default_config_static_selectorELNS0_4arch9wavefront6targetE1EEEvT1_
	.p2align	8
	.type	_ZN7rocprim17ROCPRIM_400000_NS6detail17trampoline_kernelINS0_14default_configENS1_20scan_config_selectorIiEEZZNS1_9scan_implILNS1_25lookback_scan_determinismE0ELb0ELb0ES3_PiS8_iN6thrust23THRUST_200600_302600_NS4plusIvEEiEEDaPvRmT3_T4_T5_mT6_P12ihipStream_tbENKUlT_T0_E_clISt17integral_constantIbLb1EESQ_EEDaSL_SM_EUlSL_E0_NS1_11comp_targetILNS1_3genE2ELNS1_11target_archE906ELNS1_3gpuE6ELNS1_3repE0EEENS1_30default_config_static_selectorELNS0_4arch9wavefront6targetE1EEEvT1_,@function
_ZN7rocprim17ROCPRIM_400000_NS6detail17trampoline_kernelINS0_14default_configENS1_20scan_config_selectorIiEEZZNS1_9scan_implILNS1_25lookback_scan_determinismE0ELb0ELb0ES3_PiS8_iN6thrust23THRUST_200600_302600_NS4plusIvEEiEEDaPvRmT3_T4_T5_mT6_P12ihipStream_tbENKUlT_T0_E_clISt17integral_constantIbLb1EESQ_EEDaSL_SM_EUlSL_E0_NS1_11comp_targetILNS1_3genE2ELNS1_11target_archE906ELNS1_3gpuE6ELNS1_3repE0EEENS1_30default_config_static_selectorELNS0_4arch9wavefront6targetE1EEEvT1_: ; @_ZN7rocprim17ROCPRIM_400000_NS6detail17trampoline_kernelINS0_14default_configENS1_20scan_config_selectorIiEEZZNS1_9scan_implILNS1_25lookback_scan_determinismE0ELb0ELb0ES3_PiS8_iN6thrust23THRUST_200600_302600_NS4plusIvEEiEEDaPvRmT3_T4_T5_mT6_P12ihipStream_tbENKUlT_T0_E_clISt17integral_constantIbLb1EESQ_EEDaSL_SM_EUlSL_E0_NS1_11comp_targetILNS1_3genE2ELNS1_11target_archE906ELNS1_3gpuE6ELNS1_3repE0EEENS1_30default_config_static_selectorELNS0_4arch9wavefront6targetE1EEEvT1_
; %bb.0:
	.section	.rodata,"a",@progbits
	.p2align	6, 0x0
	.amdhsa_kernel _ZN7rocprim17ROCPRIM_400000_NS6detail17trampoline_kernelINS0_14default_configENS1_20scan_config_selectorIiEEZZNS1_9scan_implILNS1_25lookback_scan_determinismE0ELb0ELb0ES3_PiS8_iN6thrust23THRUST_200600_302600_NS4plusIvEEiEEDaPvRmT3_T4_T5_mT6_P12ihipStream_tbENKUlT_T0_E_clISt17integral_constantIbLb1EESQ_EEDaSL_SM_EUlSL_E0_NS1_11comp_targetILNS1_3genE2ELNS1_11target_archE906ELNS1_3gpuE6ELNS1_3repE0EEENS1_30default_config_static_selectorELNS0_4arch9wavefront6targetE1EEEvT1_
		.amdhsa_group_segment_fixed_size 0
		.amdhsa_private_segment_fixed_size 0
		.amdhsa_kernarg_size 32
		.amdhsa_user_sgpr_count 6
		.amdhsa_user_sgpr_private_segment_buffer 1
		.amdhsa_user_sgpr_dispatch_ptr 0
		.amdhsa_user_sgpr_queue_ptr 0
		.amdhsa_user_sgpr_kernarg_segment_ptr 1
		.amdhsa_user_sgpr_dispatch_id 0
		.amdhsa_user_sgpr_flat_scratch_init 0
		.amdhsa_user_sgpr_kernarg_preload_length 0
		.amdhsa_user_sgpr_kernarg_preload_offset 0
		.amdhsa_user_sgpr_private_segment_size 0
		.amdhsa_uses_dynamic_stack 0
		.amdhsa_system_sgpr_private_segment_wavefront_offset 0
		.amdhsa_system_sgpr_workgroup_id_x 1
		.amdhsa_system_sgpr_workgroup_id_y 0
		.amdhsa_system_sgpr_workgroup_id_z 0
		.amdhsa_system_sgpr_workgroup_info 0
		.amdhsa_system_vgpr_workitem_id 0
		.amdhsa_next_free_vgpr 1
		.amdhsa_next_free_sgpr 0
		.amdhsa_accum_offset 4
		.amdhsa_reserve_vcc 0
		.amdhsa_reserve_flat_scratch 0
		.amdhsa_float_round_mode_32 0
		.amdhsa_float_round_mode_16_64 0
		.amdhsa_float_denorm_mode_32 3
		.amdhsa_float_denorm_mode_16_64 3
		.amdhsa_dx10_clamp 1
		.amdhsa_ieee_mode 1
		.amdhsa_fp16_overflow 0
		.amdhsa_tg_split 0
		.amdhsa_exception_fp_ieee_invalid_op 0
		.amdhsa_exception_fp_denorm_src 0
		.amdhsa_exception_fp_ieee_div_zero 0
		.amdhsa_exception_fp_ieee_overflow 0
		.amdhsa_exception_fp_ieee_underflow 0
		.amdhsa_exception_fp_ieee_inexact 0
		.amdhsa_exception_int_div_zero 0
	.end_amdhsa_kernel
	.section	.text._ZN7rocprim17ROCPRIM_400000_NS6detail17trampoline_kernelINS0_14default_configENS1_20scan_config_selectorIiEEZZNS1_9scan_implILNS1_25lookback_scan_determinismE0ELb0ELb0ES3_PiS8_iN6thrust23THRUST_200600_302600_NS4plusIvEEiEEDaPvRmT3_T4_T5_mT6_P12ihipStream_tbENKUlT_T0_E_clISt17integral_constantIbLb1EESQ_EEDaSL_SM_EUlSL_E0_NS1_11comp_targetILNS1_3genE2ELNS1_11target_archE906ELNS1_3gpuE6ELNS1_3repE0EEENS1_30default_config_static_selectorELNS0_4arch9wavefront6targetE1EEEvT1_,"axG",@progbits,_ZN7rocprim17ROCPRIM_400000_NS6detail17trampoline_kernelINS0_14default_configENS1_20scan_config_selectorIiEEZZNS1_9scan_implILNS1_25lookback_scan_determinismE0ELb0ELb0ES3_PiS8_iN6thrust23THRUST_200600_302600_NS4plusIvEEiEEDaPvRmT3_T4_T5_mT6_P12ihipStream_tbENKUlT_T0_E_clISt17integral_constantIbLb1EESQ_EEDaSL_SM_EUlSL_E0_NS1_11comp_targetILNS1_3genE2ELNS1_11target_archE906ELNS1_3gpuE6ELNS1_3repE0EEENS1_30default_config_static_selectorELNS0_4arch9wavefront6targetE1EEEvT1_,comdat
.Lfunc_end60:
	.size	_ZN7rocprim17ROCPRIM_400000_NS6detail17trampoline_kernelINS0_14default_configENS1_20scan_config_selectorIiEEZZNS1_9scan_implILNS1_25lookback_scan_determinismE0ELb0ELb0ES3_PiS8_iN6thrust23THRUST_200600_302600_NS4plusIvEEiEEDaPvRmT3_T4_T5_mT6_P12ihipStream_tbENKUlT_T0_E_clISt17integral_constantIbLb1EESQ_EEDaSL_SM_EUlSL_E0_NS1_11comp_targetILNS1_3genE2ELNS1_11target_archE906ELNS1_3gpuE6ELNS1_3repE0EEENS1_30default_config_static_selectorELNS0_4arch9wavefront6targetE1EEEvT1_, .Lfunc_end60-_ZN7rocprim17ROCPRIM_400000_NS6detail17trampoline_kernelINS0_14default_configENS1_20scan_config_selectorIiEEZZNS1_9scan_implILNS1_25lookback_scan_determinismE0ELb0ELb0ES3_PiS8_iN6thrust23THRUST_200600_302600_NS4plusIvEEiEEDaPvRmT3_T4_T5_mT6_P12ihipStream_tbENKUlT_T0_E_clISt17integral_constantIbLb1EESQ_EEDaSL_SM_EUlSL_E0_NS1_11comp_targetILNS1_3genE2ELNS1_11target_archE906ELNS1_3gpuE6ELNS1_3repE0EEENS1_30default_config_static_selectorELNS0_4arch9wavefront6targetE1EEEvT1_
                                        ; -- End function
	.section	.AMDGPU.csdata,"",@progbits
; Kernel info:
; codeLenInByte = 0
; NumSgprs: 4
; NumVgprs: 0
; NumAgprs: 0
; TotalNumVgprs: 0
; ScratchSize: 0
; MemoryBound: 0
; FloatMode: 240
; IeeeMode: 1
; LDSByteSize: 0 bytes/workgroup (compile time only)
; SGPRBlocks: 0
; VGPRBlocks: 0
; NumSGPRsForWavesPerEU: 4
; NumVGPRsForWavesPerEU: 1
; AccumOffset: 4
; Occupancy: 8
; WaveLimiterHint : 0
; COMPUTE_PGM_RSRC2:SCRATCH_EN: 0
; COMPUTE_PGM_RSRC2:USER_SGPR: 6
; COMPUTE_PGM_RSRC2:TRAP_HANDLER: 0
; COMPUTE_PGM_RSRC2:TGID_X_EN: 1
; COMPUTE_PGM_RSRC2:TGID_Y_EN: 0
; COMPUTE_PGM_RSRC2:TGID_Z_EN: 0
; COMPUTE_PGM_RSRC2:TIDIG_COMP_CNT: 0
; COMPUTE_PGM_RSRC3_GFX90A:ACCUM_OFFSET: 0
; COMPUTE_PGM_RSRC3_GFX90A:TG_SPLIT: 0
	.section	.text._ZN7rocprim17ROCPRIM_400000_NS6detail17trampoline_kernelINS0_14default_configENS1_20scan_config_selectorIiEEZZNS1_9scan_implILNS1_25lookback_scan_determinismE0ELb0ELb0ES3_PiS8_iN6thrust23THRUST_200600_302600_NS4plusIvEEiEEDaPvRmT3_T4_T5_mT6_P12ihipStream_tbENKUlT_T0_E_clISt17integral_constantIbLb1EESQ_EEDaSL_SM_EUlSL_E0_NS1_11comp_targetILNS1_3genE10ELNS1_11target_archE1201ELNS1_3gpuE5ELNS1_3repE0EEENS1_30default_config_static_selectorELNS0_4arch9wavefront6targetE1EEEvT1_,"axG",@progbits,_ZN7rocprim17ROCPRIM_400000_NS6detail17trampoline_kernelINS0_14default_configENS1_20scan_config_selectorIiEEZZNS1_9scan_implILNS1_25lookback_scan_determinismE0ELb0ELb0ES3_PiS8_iN6thrust23THRUST_200600_302600_NS4plusIvEEiEEDaPvRmT3_T4_T5_mT6_P12ihipStream_tbENKUlT_T0_E_clISt17integral_constantIbLb1EESQ_EEDaSL_SM_EUlSL_E0_NS1_11comp_targetILNS1_3genE10ELNS1_11target_archE1201ELNS1_3gpuE5ELNS1_3repE0EEENS1_30default_config_static_selectorELNS0_4arch9wavefront6targetE1EEEvT1_,comdat
	.protected	_ZN7rocprim17ROCPRIM_400000_NS6detail17trampoline_kernelINS0_14default_configENS1_20scan_config_selectorIiEEZZNS1_9scan_implILNS1_25lookback_scan_determinismE0ELb0ELb0ES3_PiS8_iN6thrust23THRUST_200600_302600_NS4plusIvEEiEEDaPvRmT3_T4_T5_mT6_P12ihipStream_tbENKUlT_T0_E_clISt17integral_constantIbLb1EESQ_EEDaSL_SM_EUlSL_E0_NS1_11comp_targetILNS1_3genE10ELNS1_11target_archE1201ELNS1_3gpuE5ELNS1_3repE0EEENS1_30default_config_static_selectorELNS0_4arch9wavefront6targetE1EEEvT1_ ; -- Begin function _ZN7rocprim17ROCPRIM_400000_NS6detail17trampoline_kernelINS0_14default_configENS1_20scan_config_selectorIiEEZZNS1_9scan_implILNS1_25lookback_scan_determinismE0ELb0ELb0ES3_PiS8_iN6thrust23THRUST_200600_302600_NS4plusIvEEiEEDaPvRmT3_T4_T5_mT6_P12ihipStream_tbENKUlT_T0_E_clISt17integral_constantIbLb1EESQ_EEDaSL_SM_EUlSL_E0_NS1_11comp_targetILNS1_3genE10ELNS1_11target_archE1201ELNS1_3gpuE5ELNS1_3repE0EEENS1_30default_config_static_selectorELNS0_4arch9wavefront6targetE1EEEvT1_
	.globl	_ZN7rocprim17ROCPRIM_400000_NS6detail17trampoline_kernelINS0_14default_configENS1_20scan_config_selectorIiEEZZNS1_9scan_implILNS1_25lookback_scan_determinismE0ELb0ELb0ES3_PiS8_iN6thrust23THRUST_200600_302600_NS4plusIvEEiEEDaPvRmT3_T4_T5_mT6_P12ihipStream_tbENKUlT_T0_E_clISt17integral_constantIbLb1EESQ_EEDaSL_SM_EUlSL_E0_NS1_11comp_targetILNS1_3genE10ELNS1_11target_archE1201ELNS1_3gpuE5ELNS1_3repE0EEENS1_30default_config_static_selectorELNS0_4arch9wavefront6targetE1EEEvT1_
	.p2align	8
	.type	_ZN7rocprim17ROCPRIM_400000_NS6detail17trampoline_kernelINS0_14default_configENS1_20scan_config_selectorIiEEZZNS1_9scan_implILNS1_25lookback_scan_determinismE0ELb0ELb0ES3_PiS8_iN6thrust23THRUST_200600_302600_NS4plusIvEEiEEDaPvRmT3_T4_T5_mT6_P12ihipStream_tbENKUlT_T0_E_clISt17integral_constantIbLb1EESQ_EEDaSL_SM_EUlSL_E0_NS1_11comp_targetILNS1_3genE10ELNS1_11target_archE1201ELNS1_3gpuE5ELNS1_3repE0EEENS1_30default_config_static_selectorELNS0_4arch9wavefront6targetE1EEEvT1_,@function
_ZN7rocprim17ROCPRIM_400000_NS6detail17trampoline_kernelINS0_14default_configENS1_20scan_config_selectorIiEEZZNS1_9scan_implILNS1_25lookback_scan_determinismE0ELb0ELb0ES3_PiS8_iN6thrust23THRUST_200600_302600_NS4plusIvEEiEEDaPvRmT3_T4_T5_mT6_P12ihipStream_tbENKUlT_T0_E_clISt17integral_constantIbLb1EESQ_EEDaSL_SM_EUlSL_E0_NS1_11comp_targetILNS1_3genE10ELNS1_11target_archE1201ELNS1_3gpuE5ELNS1_3repE0EEENS1_30default_config_static_selectorELNS0_4arch9wavefront6targetE1EEEvT1_: ; @_ZN7rocprim17ROCPRIM_400000_NS6detail17trampoline_kernelINS0_14default_configENS1_20scan_config_selectorIiEEZZNS1_9scan_implILNS1_25lookback_scan_determinismE0ELb0ELb0ES3_PiS8_iN6thrust23THRUST_200600_302600_NS4plusIvEEiEEDaPvRmT3_T4_T5_mT6_P12ihipStream_tbENKUlT_T0_E_clISt17integral_constantIbLb1EESQ_EEDaSL_SM_EUlSL_E0_NS1_11comp_targetILNS1_3genE10ELNS1_11target_archE1201ELNS1_3gpuE5ELNS1_3repE0EEENS1_30default_config_static_selectorELNS0_4arch9wavefront6targetE1EEEvT1_
; %bb.0:
	.section	.rodata,"a",@progbits
	.p2align	6, 0x0
	.amdhsa_kernel _ZN7rocprim17ROCPRIM_400000_NS6detail17trampoline_kernelINS0_14default_configENS1_20scan_config_selectorIiEEZZNS1_9scan_implILNS1_25lookback_scan_determinismE0ELb0ELb0ES3_PiS8_iN6thrust23THRUST_200600_302600_NS4plusIvEEiEEDaPvRmT3_T4_T5_mT6_P12ihipStream_tbENKUlT_T0_E_clISt17integral_constantIbLb1EESQ_EEDaSL_SM_EUlSL_E0_NS1_11comp_targetILNS1_3genE10ELNS1_11target_archE1201ELNS1_3gpuE5ELNS1_3repE0EEENS1_30default_config_static_selectorELNS0_4arch9wavefront6targetE1EEEvT1_
		.amdhsa_group_segment_fixed_size 0
		.amdhsa_private_segment_fixed_size 0
		.amdhsa_kernarg_size 32
		.amdhsa_user_sgpr_count 6
		.amdhsa_user_sgpr_private_segment_buffer 1
		.amdhsa_user_sgpr_dispatch_ptr 0
		.amdhsa_user_sgpr_queue_ptr 0
		.amdhsa_user_sgpr_kernarg_segment_ptr 1
		.amdhsa_user_sgpr_dispatch_id 0
		.amdhsa_user_sgpr_flat_scratch_init 0
		.amdhsa_user_sgpr_kernarg_preload_length 0
		.amdhsa_user_sgpr_kernarg_preload_offset 0
		.amdhsa_user_sgpr_private_segment_size 0
		.amdhsa_uses_dynamic_stack 0
		.amdhsa_system_sgpr_private_segment_wavefront_offset 0
		.amdhsa_system_sgpr_workgroup_id_x 1
		.amdhsa_system_sgpr_workgroup_id_y 0
		.amdhsa_system_sgpr_workgroup_id_z 0
		.amdhsa_system_sgpr_workgroup_info 0
		.amdhsa_system_vgpr_workitem_id 0
		.amdhsa_next_free_vgpr 1
		.amdhsa_next_free_sgpr 0
		.amdhsa_accum_offset 4
		.amdhsa_reserve_vcc 0
		.amdhsa_reserve_flat_scratch 0
		.amdhsa_float_round_mode_32 0
		.amdhsa_float_round_mode_16_64 0
		.amdhsa_float_denorm_mode_32 3
		.amdhsa_float_denorm_mode_16_64 3
		.amdhsa_dx10_clamp 1
		.amdhsa_ieee_mode 1
		.amdhsa_fp16_overflow 0
		.amdhsa_tg_split 0
		.amdhsa_exception_fp_ieee_invalid_op 0
		.amdhsa_exception_fp_denorm_src 0
		.amdhsa_exception_fp_ieee_div_zero 0
		.amdhsa_exception_fp_ieee_overflow 0
		.amdhsa_exception_fp_ieee_underflow 0
		.amdhsa_exception_fp_ieee_inexact 0
		.amdhsa_exception_int_div_zero 0
	.end_amdhsa_kernel
	.section	.text._ZN7rocprim17ROCPRIM_400000_NS6detail17trampoline_kernelINS0_14default_configENS1_20scan_config_selectorIiEEZZNS1_9scan_implILNS1_25lookback_scan_determinismE0ELb0ELb0ES3_PiS8_iN6thrust23THRUST_200600_302600_NS4plusIvEEiEEDaPvRmT3_T4_T5_mT6_P12ihipStream_tbENKUlT_T0_E_clISt17integral_constantIbLb1EESQ_EEDaSL_SM_EUlSL_E0_NS1_11comp_targetILNS1_3genE10ELNS1_11target_archE1201ELNS1_3gpuE5ELNS1_3repE0EEENS1_30default_config_static_selectorELNS0_4arch9wavefront6targetE1EEEvT1_,"axG",@progbits,_ZN7rocprim17ROCPRIM_400000_NS6detail17trampoline_kernelINS0_14default_configENS1_20scan_config_selectorIiEEZZNS1_9scan_implILNS1_25lookback_scan_determinismE0ELb0ELb0ES3_PiS8_iN6thrust23THRUST_200600_302600_NS4plusIvEEiEEDaPvRmT3_T4_T5_mT6_P12ihipStream_tbENKUlT_T0_E_clISt17integral_constantIbLb1EESQ_EEDaSL_SM_EUlSL_E0_NS1_11comp_targetILNS1_3genE10ELNS1_11target_archE1201ELNS1_3gpuE5ELNS1_3repE0EEENS1_30default_config_static_selectorELNS0_4arch9wavefront6targetE1EEEvT1_,comdat
.Lfunc_end61:
	.size	_ZN7rocprim17ROCPRIM_400000_NS6detail17trampoline_kernelINS0_14default_configENS1_20scan_config_selectorIiEEZZNS1_9scan_implILNS1_25lookback_scan_determinismE0ELb0ELb0ES3_PiS8_iN6thrust23THRUST_200600_302600_NS4plusIvEEiEEDaPvRmT3_T4_T5_mT6_P12ihipStream_tbENKUlT_T0_E_clISt17integral_constantIbLb1EESQ_EEDaSL_SM_EUlSL_E0_NS1_11comp_targetILNS1_3genE10ELNS1_11target_archE1201ELNS1_3gpuE5ELNS1_3repE0EEENS1_30default_config_static_selectorELNS0_4arch9wavefront6targetE1EEEvT1_, .Lfunc_end61-_ZN7rocprim17ROCPRIM_400000_NS6detail17trampoline_kernelINS0_14default_configENS1_20scan_config_selectorIiEEZZNS1_9scan_implILNS1_25lookback_scan_determinismE0ELb0ELb0ES3_PiS8_iN6thrust23THRUST_200600_302600_NS4plusIvEEiEEDaPvRmT3_T4_T5_mT6_P12ihipStream_tbENKUlT_T0_E_clISt17integral_constantIbLb1EESQ_EEDaSL_SM_EUlSL_E0_NS1_11comp_targetILNS1_3genE10ELNS1_11target_archE1201ELNS1_3gpuE5ELNS1_3repE0EEENS1_30default_config_static_selectorELNS0_4arch9wavefront6targetE1EEEvT1_
                                        ; -- End function
	.section	.AMDGPU.csdata,"",@progbits
; Kernel info:
; codeLenInByte = 0
; NumSgprs: 4
; NumVgprs: 0
; NumAgprs: 0
; TotalNumVgprs: 0
; ScratchSize: 0
; MemoryBound: 0
; FloatMode: 240
; IeeeMode: 1
; LDSByteSize: 0 bytes/workgroup (compile time only)
; SGPRBlocks: 0
; VGPRBlocks: 0
; NumSGPRsForWavesPerEU: 4
; NumVGPRsForWavesPerEU: 1
; AccumOffset: 4
; Occupancy: 8
; WaveLimiterHint : 0
; COMPUTE_PGM_RSRC2:SCRATCH_EN: 0
; COMPUTE_PGM_RSRC2:USER_SGPR: 6
; COMPUTE_PGM_RSRC2:TRAP_HANDLER: 0
; COMPUTE_PGM_RSRC2:TGID_X_EN: 1
; COMPUTE_PGM_RSRC2:TGID_Y_EN: 0
; COMPUTE_PGM_RSRC2:TGID_Z_EN: 0
; COMPUTE_PGM_RSRC2:TIDIG_COMP_CNT: 0
; COMPUTE_PGM_RSRC3_GFX90A:ACCUM_OFFSET: 0
; COMPUTE_PGM_RSRC3_GFX90A:TG_SPLIT: 0
	.section	.text._ZN7rocprim17ROCPRIM_400000_NS6detail17trampoline_kernelINS0_14default_configENS1_20scan_config_selectorIiEEZZNS1_9scan_implILNS1_25lookback_scan_determinismE0ELb0ELb0ES3_PiS8_iN6thrust23THRUST_200600_302600_NS4plusIvEEiEEDaPvRmT3_T4_T5_mT6_P12ihipStream_tbENKUlT_T0_E_clISt17integral_constantIbLb1EESQ_EEDaSL_SM_EUlSL_E0_NS1_11comp_targetILNS1_3genE10ELNS1_11target_archE1200ELNS1_3gpuE4ELNS1_3repE0EEENS1_30default_config_static_selectorELNS0_4arch9wavefront6targetE1EEEvT1_,"axG",@progbits,_ZN7rocprim17ROCPRIM_400000_NS6detail17trampoline_kernelINS0_14default_configENS1_20scan_config_selectorIiEEZZNS1_9scan_implILNS1_25lookback_scan_determinismE0ELb0ELb0ES3_PiS8_iN6thrust23THRUST_200600_302600_NS4plusIvEEiEEDaPvRmT3_T4_T5_mT6_P12ihipStream_tbENKUlT_T0_E_clISt17integral_constantIbLb1EESQ_EEDaSL_SM_EUlSL_E0_NS1_11comp_targetILNS1_3genE10ELNS1_11target_archE1200ELNS1_3gpuE4ELNS1_3repE0EEENS1_30default_config_static_selectorELNS0_4arch9wavefront6targetE1EEEvT1_,comdat
	.protected	_ZN7rocprim17ROCPRIM_400000_NS6detail17trampoline_kernelINS0_14default_configENS1_20scan_config_selectorIiEEZZNS1_9scan_implILNS1_25lookback_scan_determinismE0ELb0ELb0ES3_PiS8_iN6thrust23THRUST_200600_302600_NS4plusIvEEiEEDaPvRmT3_T4_T5_mT6_P12ihipStream_tbENKUlT_T0_E_clISt17integral_constantIbLb1EESQ_EEDaSL_SM_EUlSL_E0_NS1_11comp_targetILNS1_3genE10ELNS1_11target_archE1200ELNS1_3gpuE4ELNS1_3repE0EEENS1_30default_config_static_selectorELNS0_4arch9wavefront6targetE1EEEvT1_ ; -- Begin function _ZN7rocprim17ROCPRIM_400000_NS6detail17trampoline_kernelINS0_14default_configENS1_20scan_config_selectorIiEEZZNS1_9scan_implILNS1_25lookback_scan_determinismE0ELb0ELb0ES3_PiS8_iN6thrust23THRUST_200600_302600_NS4plusIvEEiEEDaPvRmT3_T4_T5_mT6_P12ihipStream_tbENKUlT_T0_E_clISt17integral_constantIbLb1EESQ_EEDaSL_SM_EUlSL_E0_NS1_11comp_targetILNS1_3genE10ELNS1_11target_archE1200ELNS1_3gpuE4ELNS1_3repE0EEENS1_30default_config_static_selectorELNS0_4arch9wavefront6targetE1EEEvT1_
	.globl	_ZN7rocprim17ROCPRIM_400000_NS6detail17trampoline_kernelINS0_14default_configENS1_20scan_config_selectorIiEEZZNS1_9scan_implILNS1_25lookback_scan_determinismE0ELb0ELb0ES3_PiS8_iN6thrust23THRUST_200600_302600_NS4plusIvEEiEEDaPvRmT3_T4_T5_mT6_P12ihipStream_tbENKUlT_T0_E_clISt17integral_constantIbLb1EESQ_EEDaSL_SM_EUlSL_E0_NS1_11comp_targetILNS1_3genE10ELNS1_11target_archE1200ELNS1_3gpuE4ELNS1_3repE0EEENS1_30default_config_static_selectorELNS0_4arch9wavefront6targetE1EEEvT1_
	.p2align	8
	.type	_ZN7rocprim17ROCPRIM_400000_NS6detail17trampoline_kernelINS0_14default_configENS1_20scan_config_selectorIiEEZZNS1_9scan_implILNS1_25lookback_scan_determinismE0ELb0ELb0ES3_PiS8_iN6thrust23THRUST_200600_302600_NS4plusIvEEiEEDaPvRmT3_T4_T5_mT6_P12ihipStream_tbENKUlT_T0_E_clISt17integral_constantIbLb1EESQ_EEDaSL_SM_EUlSL_E0_NS1_11comp_targetILNS1_3genE10ELNS1_11target_archE1200ELNS1_3gpuE4ELNS1_3repE0EEENS1_30default_config_static_selectorELNS0_4arch9wavefront6targetE1EEEvT1_,@function
_ZN7rocprim17ROCPRIM_400000_NS6detail17trampoline_kernelINS0_14default_configENS1_20scan_config_selectorIiEEZZNS1_9scan_implILNS1_25lookback_scan_determinismE0ELb0ELb0ES3_PiS8_iN6thrust23THRUST_200600_302600_NS4plusIvEEiEEDaPvRmT3_T4_T5_mT6_P12ihipStream_tbENKUlT_T0_E_clISt17integral_constantIbLb1EESQ_EEDaSL_SM_EUlSL_E0_NS1_11comp_targetILNS1_3genE10ELNS1_11target_archE1200ELNS1_3gpuE4ELNS1_3repE0EEENS1_30default_config_static_selectorELNS0_4arch9wavefront6targetE1EEEvT1_: ; @_ZN7rocprim17ROCPRIM_400000_NS6detail17trampoline_kernelINS0_14default_configENS1_20scan_config_selectorIiEEZZNS1_9scan_implILNS1_25lookback_scan_determinismE0ELb0ELb0ES3_PiS8_iN6thrust23THRUST_200600_302600_NS4plusIvEEiEEDaPvRmT3_T4_T5_mT6_P12ihipStream_tbENKUlT_T0_E_clISt17integral_constantIbLb1EESQ_EEDaSL_SM_EUlSL_E0_NS1_11comp_targetILNS1_3genE10ELNS1_11target_archE1200ELNS1_3gpuE4ELNS1_3repE0EEENS1_30default_config_static_selectorELNS0_4arch9wavefront6targetE1EEEvT1_
; %bb.0:
	.section	.rodata,"a",@progbits
	.p2align	6, 0x0
	.amdhsa_kernel _ZN7rocprim17ROCPRIM_400000_NS6detail17trampoline_kernelINS0_14default_configENS1_20scan_config_selectorIiEEZZNS1_9scan_implILNS1_25lookback_scan_determinismE0ELb0ELb0ES3_PiS8_iN6thrust23THRUST_200600_302600_NS4plusIvEEiEEDaPvRmT3_T4_T5_mT6_P12ihipStream_tbENKUlT_T0_E_clISt17integral_constantIbLb1EESQ_EEDaSL_SM_EUlSL_E0_NS1_11comp_targetILNS1_3genE10ELNS1_11target_archE1200ELNS1_3gpuE4ELNS1_3repE0EEENS1_30default_config_static_selectorELNS0_4arch9wavefront6targetE1EEEvT1_
		.amdhsa_group_segment_fixed_size 0
		.amdhsa_private_segment_fixed_size 0
		.amdhsa_kernarg_size 32
		.amdhsa_user_sgpr_count 6
		.amdhsa_user_sgpr_private_segment_buffer 1
		.amdhsa_user_sgpr_dispatch_ptr 0
		.amdhsa_user_sgpr_queue_ptr 0
		.amdhsa_user_sgpr_kernarg_segment_ptr 1
		.amdhsa_user_sgpr_dispatch_id 0
		.amdhsa_user_sgpr_flat_scratch_init 0
		.amdhsa_user_sgpr_kernarg_preload_length 0
		.amdhsa_user_sgpr_kernarg_preload_offset 0
		.amdhsa_user_sgpr_private_segment_size 0
		.amdhsa_uses_dynamic_stack 0
		.amdhsa_system_sgpr_private_segment_wavefront_offset 0
		.amdhsa_system_sgpr_workgroup_id_x 1
		.amdhsa_system_sgpr_workgroup_id_y 0
		.amdhsa_system_sgpr_workgroup_id_z 0
		.amdhsa_system_sgpr_workgroup_info 0
		.amdhsa_system_vgpr_workitem_id 0
		.amdhsa_next_free_vgpr 1
		.amdhsa_next_free_sgpr 0
		.amdhsa_accum_offset 4
		.amdhsa_reserve_vcc 0
		.amdhsa_reserve_flat_scratch 0
		.amdhsa_float_round_mode_32 0
		.amdhsa_float_round_mode_16_64 0
		.amdhsa_float_denorm_mode_32 3
		.amdhsa_float_denorm_mode_16_64 3
		.amdhsa_dx10_clamp 1
		.amdhsa_ieee_mode 1
		.amdhsa_fp16_overflow 0
		.amdhsa_tg_split 0
		.amdhsa_exception_fp_ieee_invalid_op 0
		.amdhsa_exception_fp_denorm_src 0
		.amdhsa_exception_fp_ieee_div_zero 0
		.amdhsa_exception_fp_ieee_overflow 0
		.amdhsa_exception_fp_ieee_underflow 0
		.amdhsa_exception_fp_ieee_inexact 0
		.amdhsa_exception_int_div_zero 0
	.end_amdhsa_kernel
	.section	.text._ZN7rocprim17ROCPRIM_400000_NS6detail17trampoline_kernelINS0_14default_configENS1_20scan_config_selectorIiEEZZNS1_9scan_implILNS1_25lookback_scan_determinismE0ELb0ELb0ES3_PiS8_iN6thrust23THRUST_200600_302600_NS4plusIvEEiEEDaPvRmT3_T4_T5_mT6_P12ihipStream_tbENKUlT_T0_E_clISt17integral_constantIbLb1EESQ_EEDaSL_SM_EUlSL_E0_NS1_11comp_targetILNS1_3genE10ELNS1_11target_archE1200ELNS1_3gpuE4ELNS1_3repE0EEENS1_30default_config_static_selectorELNS0_4arch9wavefront6targetE1EEEvT1_,"axG",@progbits,_ZN7rocprim17ROCPRIM_400000_NS6detail17trampoline_kernelINS0_14default_configENS1_20scan_config_selectorIiEEZZNS1_9scan_implILNS1_25lookback_scan_determinismE0ELb0ELb0ES3_PiS8_iN6thrust23THRUST_200600_302600_NS4plusIvEEiEEDaPvRmT3_T4_T5_mT6_P12ihipStream_tbENKUlT_T0_E_clISt17integral_constantIbLb1EESQ_EEDaSL_SM_EUlSL_E0_NS1_11comp_targetILNS1_3genE10ELNS1_11target_archE1200ELNS1_3gpuE4ELNS1_3repE0EEENS1_30default_config_static_selectorELNS0_4arch9wavefront6targetE1EEEvT1_,comdat
.Lfunc_end62:
	.size	_ZN7rocprim17ROCPRIM_400000_NS6detail17trampoline_kernelINS0_14default_configENS1_20scan_config_selectorIiEEZZNS1_9scan_implILNS1_25lookback_scan_determinismE0ELb0ELb0ES3_PiS8_iN6thrust23THRUST_200600_302600_NS4plusIvEEiEEDaPvRmT3_T4_T5_mT6_P12ihipStream_tbENKUlT_T0_E_clISt17integral_constantIbLb1EESQ_EEDaSL_SM_EUlSL_E0_NS1_11comp_targetILNS1_3genE10ELNS1_11target_archE1200ELNS1_3gpuE4ELNS1_3repE0EEENS1_30default_config_static_selectorELNS0_4arch9wavefront6targetE1EEEvT1_, .Lfunc_end62-_ZN7rocprim17ROCPRIM_400000_NS6detail17trampoline_kernelINS0_14default_configENS1_20scan_config_selectorIiEEZZNS1_9scan_implILNS1_25lookback_scan_determinismE0ELb0ELb0ES3_PiS8_iN6thrust23THRUST_200600_302600_NS4plusIvEEiEEDaPvRmT3_T4_T5_mT6_P12ihipStream_tbENKUlT_T0_E_clISt17integral_constantIbLb1EESQ_EEDaSL_SM_EUlSL_E0_NS1_11comp_targetILNS1_3genE10ELNS1_11target_archE1200ELNS1_3gpuE4ELNS1_3repE0EEENS1_30default_config_static_selectorELNS0_4arch9wavefront6targetE1EEEvT1_
                                        ; -- End function
	.section	.AMDGPU.csdata,"",@progbits
; Kernel info:
; codeLenInByte = 0
; NumSgprs: 4
; NumVgprs: 0
; NumAgprs: 0
; TotalNumVgprs: 0
; ScratchSize: 0
; MemoryBound: 0
; FloatMode: 240
; IeeeMode: 1
; LDSByteSize: 0 bytes/workgroup (compile time only)
; SGPRBlocks: 0
; VGPRBlocks: 0
; NumSGPRsForWavesPerEU: 4
; NumVGPRsForWavesPerEU: 1
; AccumOffset: 4
; Occupancy: 8
; WaveLimiterHint : 0
; COMPUTE_PGM_RSRC2:SCRATCH_EN: 0
; COMPUTE_PGM_RSRC2:USER_SGPR: 6
; COMPUTE_PGM_RSRC2:TRAP_HANDLER: 0
; COMPUTE_PGM_RSRC2:TGID_X_EN: 1
; COMPUTE_PGM_RSRC2:TGID_Y_EN: 0
; COMPUTE_PGM_RSRC2:TGID_Z_EN: 0
; COMPUTE_PGM_RSRC2:TIDIG_COMP_CNT: 0
; COMPUTE_PGM_RSRC3_GFX90A:ACCUM_OFFSET: 0
; COMPUTE_PGM_RSRC3_GFX90A:TG_SPLIT: 0
	.section	.text._ZN7rocprim17ROCPRIM_400000_NS6detail17trampoline_kernelINS0_14default_configENS1_20scan_config_selectorIiEEZZNS1_9scan_implILNS1_25lookback_scan_determinismE0ELb0ELb0ES3_PiS8_iN6thrust23THRUST_200600_302600_NS4plusIvEEiEEDaPvRmT3_T4_T5_mT6_P12ihipStream_tbENKUlT_T0_E_clISt17integral_constantIbLb1EESQ_EEDaSL_SM_EUlSL_E0_NS1_11comp_targetILNS1_3genE9ELNS1_11target_archE1100ELNS1_3gpuE3ELNS1_3repE0EEENS1_30default_config_static_selectorELNS0_4arch9wavefront6targetE1EEEvT1_,"axG",@progbits,_ZN7rocprim17ROCPRIM_400000_NS6detail17trampoline_kernelINS0_14default_configENS1_20scan_config_selectorIiEEZZNS1_9scan_implILNS1_25lookback_scan_determinismE0ELb0ELb0ES3_PiS8_iN6thrust23THRUST_200600_302600_NS4plusIvEEiEEDaPvRmT3_T4_T5_mT6_P12ihipStream_tbENKUlT_T0_E_clISt17integral_constantIbLb1EESQ_EEDaSL_SM_EUlSL_E0_NS1_11comp_targetILNS1_3genE9ELNS1_11target_archE1100ELNS1_3gpuE3ELNS1_3repE0EEENS1_30default_config_static_selectorELNS0_4arch9wavefront6targetE1EEEvT1_,comdat
	.protected	_ZN7rocprim17ROCPRIM_400000_NS6detail17trampoline_kernelINS0_14default_configENS1_20scan_config_selectorIiEEZZNS1_9scan_implILNS1_25lookback_scan_determinismE0ELb0ELb0ES3_PiS8_iN6thrust23THRUST_200600_302600_NS4plusIvEEiEEDaPvRmT3_T4_T5_mT6_P12ihipStream_tbENKUlT_T0_E_clISt17integral_constantIbLb1EESQ_EEDaSL_SM_EUlSL_E0_NS1_11comp_targetILNS1_3genE9ELNS1_11target_archE1100ELNS1_3gpuE3ELNS1_3repE0EEENS1_30default_config_static_selectorELNS0_4arch9wavefront6targetE1EEEvT1_ ; -- Begin function _ZN7rocprim17ROCPRIM_400000_NS6detail17trampoline_kernelINS0_14default_configENS1_20scan_config_selectorIiEEZZNS1_9scan_implILNS1_25lookback_scan_determinismE0ELb0ELb0ES3_PiS8_iN6thrust23THRUST_200600_302600_NS4plusIvEEiEEDaPvRmT3_T4_T5_mT6_P12ihipStream_tbENKUlT_T0_E_clISt17integral_constantIbLb1EESQ_EEDaSL_SM_EUlSL_E0_NS1_11comp_targetILNS1_3genE9ELNS1_11target_archE1100ELNS1_3gpuE3ELNS1_3repE0EEENS1_30default_config_static_selectorELNS0_4arch9wavefront6targetE1EEEvT1_
	.globl	_ZN7rocprim17ROCPRIM_400000_NS6detail17trampoline_kernelINS0_14default_configENS1_20scan_config_selectorIiEEZZNS1_9scan_implILNS1_25lookback_scan_determinismE0ELb0ELb0ES3_PiS8_iN6thrust23THRUST_200600_302600_NS4plusIvEEiEEDaPvRmT3_T4_T5_mT6_P12ihipStream_tbENKUlT_T0_E_clISt17integral_constantIbLb1EESQ_EEDaSL_SM_EUlSL_E0_NS1_11comp_targetILNS1_3genE9ELNS1_11target_archE1100ELNS1_3gpuE3ELNS1_3repE0EEENS1_30default_config_static_selectorELNS0_4arch9wavefront6targetE1EEEvT1_
	.p2align	8
	.type	_ZN7rocprim17ROCPRIM_400000_NS6detail17trampoline_kernelINS0_14default_configENS1_20scan_config_selectorIiEEZZNS1_9scan_implILNS1_25lookback_scan_determinismE0ELb0ELb0ES3_PiS8_iN6thrust23THRUST_200600_302600_NS4plusIvEEiEEDaPvRmT3_T4_T5_mT6_P12ihipStream_tbENKUlT_T0_E_clISt17integral_constantIbLb1EESQ_EEDaSL_SM_EUlSL_E0_NS1_11comp_targetILNS1_3genE9ELNS1_11target_archE1100ELNS1_3gpuE3ELNS1_3repE0EEENS1_30default_config_static_selectorELNS0_4arch9wavefront6targetE1EEEvT1_,@function
_ZN7rocprim17ROCPRIM_400000_NS6detail17trampoline_kernelINS0_14default_configENS1_20scan_config_selectorIiEEZZNS1_9scan_implILNS1_25lookback_scan_determinismE0ELb0ELb0ES3_PiS8_iN6thrust23THRUST_200600_302600_NS4plusIvEEiEEDaPvRmT3_T4_T5_mT6_P12ihipStream_tbENKUlT_T0_E_clISt17integral_constantIbLb1EESQ_EEDaSL_SM_EUlSL_E0_NS1_11comp_targetILNS1_3genE9ELNS1_11target_archE1100ELNS1_3gpuE3ELNS1_3repE0EEENS1_30default_config_static_selectorELNS0_4arch9wavefront6targetE1EEEvT1_: ; @_ZN7rocprim17ROCPRIM_400000_NS6detail17trampoline_kernelINS0_14default_configENS1_20scan_config_selectorIiEEZZNS1_9scan_implILNS1_25lookback_scan_determinismE0ELb0ELb0ES3_PiS8_iN6thrust23THRUST_200600_302600_NS4plusIvEEiEEDaPvRmT3_T4_T5_mT6_P12ihipStream_tbENKUlT_T0_E_clISt17integral_constantIbLb1EESQ_EEDaSL_SM_EUlSL_E0_NS1_11comp_targetILNS1_3genE9ELNS1_11target_archE1100ELNS1_3gpuE3ELNS1_3repE0EEENS1_30default_config_static_selectorELNS0_4arch9wavefront6targetE1EEEvT1_
; %bb.0:
	.section	.rodata,"a",@progbits
	.p2align	6, 0x0
	.amdhsa_kernel _ZN7rocprim17ROCPRIM_400000_NS6detail17trampoline_kernelINS0_14default_configENS1_20scan_config_selectorIiEEZZNS1_9scan_implILNS1_25lookback_scan_determinismE0ELb0ELb0ES3_PiS8_iN6thrust23THRUST_200600_302600_NS4plusIvEEiEEDaPvRmT3_T4_T5_mT6_P12ihipStream_tbENKUlT_T0_E_clISt17integral_constantIbLb1EESQ_EEDaSL_SM_EUlSL_E0_NS1_11comp_targetILNS1_3genE9ELNS1_11target_archE1100ELNS1_3gpuE3ELNS1_3repE0EEENS1_30default_config_static_selectorELNS0_4arch9wavefront6targetE1EEEvT1_
		.amdhsa_group_segment_fixed_size 0
		.amdhsa_private_segment_fixed_size 0
		.amdhsa_kernarg_size 32
		.amdhsa_user_sgpr_count 6
		.amdhsa_user_sgpr_private_segment_buffer 1
		.amdhsa_user_sgpr_dispatch_ptr 0
		.amdhsa_user_sgpr_queue_ptr 0
		.amdhsa_user_sgpr_kernarg_segment_ptr 1
		.amdhsa_user_sgpr_dispatch_id 0
		.amdhsa_user_sgpr_flat_scratch_init 0
		.amdhsa_user_sgpr_kernarg_preload_length 0
		.amdhsa_user_sgpr_kernarg_preload_offset 0
		.amdhsa_user_sgpr_private_segment_size 0
		.amdhsa_uses_dynamic_stack 0
		.amdhsa_system_sgpr_private_segment_wavefront_offset 0
		.amdhsa_system_sgpr_workgroup_id_x 1
		.amdhsa_system_sgpr_workgroup_id_y 0
		.amdhsa_system_sgpr_workgroup_id_z 0
		.amdhsa_system_sgpr_workgroup_info 0
		.amdhsa_system_vgpr_workitem_id 0
		.amdhsa_next_free_vgpr 1
		.amdhsa_next_free_sgpr 0
		.amdhsa_accum_offset 4
		.amdhsa_reserve_vcc 0
		.amdhsa_reserve_flat_scratch 0
		.amdhsa_float_round_mode_32 0
		.amdhsa_float_round_mode_16_64 0
		.amdhsa_float_denorm_mode_32 3
		.amdhsa_float_denorm_mode_16_64 3
		.amdhsa_dx10_clamp 1
		.amdhsa_ieee_mode 1
		.amdhsa_fp16_overflow 0
		.amdhsa_tg_split 0
		.amdhsa_exception_fp_ieee_invalid_op 0
		.amdhsa_exception_fp_denorm_src 0
		.amdhsa_exception_fp_ieee_div_zero 0
		.amdhsa_exception_fp_ieee_overflow 0
		.amdhsa_exception_fp_ieee_underflow 0
		.amdhsa_exception_fp_ieee_inexact 0
		.amdhsa_exception_int_div_zero 0
	.end_amdhsa_kernel
	.section	.text._ZN7rocprim17ROCPRIM_400000_NS6detail17trampoline_kernelINS0_14default_configENS1_20scan_config_selectorIiEEZZNS1_9scan_implILNS1_25lookback_scan_determinismE0ELb0ELb0ES3_PiS8_iN6thrust23THRUST_200600_302600_NS4plusIvEEiEEDaPvRmT3_T4_T5_mT6_P12ihipStream_tbENKUlT_T0_E_clISt17integral_constantIbLb1EESQ_EEDaSL_SM_EUlSL_E0_NS1_11comp_targetILNS1_3genE9ELNS1_11target_archE1100ELNS1_3gpuE3ELNS1_3repE0EEENS1_30default_config_static_selectorELNS0_4arch9wavefront6targetE1EEEvT1_,"axG",@progbits,_ZN7rocprim17ROCPRIM_400000_NS6detail17trampoline_kernelINS0_14default_configENS1_20scan_config_selectorIiEEZZNS1_9scan_implILNS1_25lookback_scan_determinismE0ELb0ELb0ES3_PiS8_iN6thrust23THRUST_200600_302600_NS4plusIvEEiEEDaPvRmT3_T4_T5_mT6_P12ihipStream_tbENKUlT_T0_E_clISt17integral_constantIbLb1EESQ_EEDaSL_SM_EUlSL_E0_NS1_11comp_targetILNS1_3genE9ELNS1_11target_archE1100ELNS1_3gpuE3ELNS1_3repE0EEENS1_30default_config_static_selectorELNS0_4arch9wavefront6targetE1EEEvT1_,comdat
.Lfunc_end63:
	.size	_ZN7rocprim17ROCPRIM_400000_NS6detail17trampoline_kernelINS0_14default_configENS1_20scan_config_selectorIiEEZZNS1_9scan_implILNS1_25lookback_scan_determinismE0ELb0ELb0ES3_PiS8_iN6thrust23THRUST_200600_302600_NS4plusIvEEiEEDaPvRmT3_T4_T5_mT6_P12ihipStream_tbENKUlT_T0_E_clISt17integral_constantIbLb1EESQ_EEDaSL_SM_EUlSL_E0_NS1_11comp_targetILNS1_3genE9ELNS1_11target_archE1100ELNS1_3gpuE3ELNS1_3repE0EEENS1_30default_config_static_selectorELNS0_4arch9wavefront6targetE1EEEvT1_, .Lfunc_end63-_ZN7rocprim17ROCPRIM_400000_NS6detail17trampoline_kernelINS0_14default_configENS1_20scan_config_selectorIiEEZZNS1_9scan_implILNS1_25lookback_scan_determinismE0ELb0ELb0ES3_PiS8_iN6thrust23THRUST_200600_302600_NS4plusIvEEiEEDaPvRmT3_T4_T5_mT6_P12ihipStream_tbENKUlT_T0_E_clISt17integral_constantIbLb1EESQ_EEDaSL_SM_EUlSL_E0_NS1_11comp_targetILNS1_3genE9ELNS1_11target_archE1100ELNS1_3gpuE3ELNS1_3repE0EEENS1_30default_config_static_selectorELNS0_4arch9wavefront6targetE1EEEvT1_
                                        ; -- End function
	.section	.AMDGPU.csdata,"",@progbits
; Kernel info:
; codeLenInByte = 0
; NumSgprs: 4
; NumVgprs: 0
; NumAgprs: 0
; TotalNumVgprs: 0
; ScratchSize: 0
; MemoryBound: 0
; FloatMode: 240
; IeeeMode: 1
; LDSByteSize: 0 bytes/workgroup (compile time only)
; SGPRBlocks: 0
; VGPRBlocks: 0
; NumSGPRsForWavesPerEU: 4
; NumVGPRsForWavesPerEU: 1
; AccumOffset: 4
; Occupancy: 8
; WaveLimiterHint : 0
; COMPUTE_PGM_RSRC2:SCRATCH_EN: 0
; COMPUTE_PGM_RSRC2:USER_SGPR: 6
; COMPUTE_PGM_RSRC2:TRAP_HANDLER: 0
; COMPUTE_PGM_RSRC2:TGID_X_EN: 1
; COMPUTE_PGM_RSRC2:TGID_Y_EN: 0
; COMPUTE_PGM_RSRC2:TGID_Z_EN: 0
; COMPUTE_PGM_RSRC2:TIDIG_COMP_CNT: 0
; COMPUTE_PGM_RSRC3_GFX90A:ACCUM_OFFSET: 0
; COMPUTE_PGM_RSRC3_GFX90A:TG_SPLIT: 0
	.section	.text._ZN7rocprim17ROCPRIM_400000_NS6detail17trampoline_kernelINS0_14default_configENS1_20scan_config_selectorIiEEZZNS1_9scan_implILNS1_25lookback_scan_determinismE0ELb0ELb0ES3_PiS8_iN6thrust23THRUST_200600_302600_NS4plusIvEEiEEDaPvRmT3_T4_T5_mT6_P12ihipStream_tbENKUlT_T0_E_clISt17integral_constantIbLb1EESQ_EEDaSL_SM_EUlSL_E0_NS1_11comp_targetILNS1_3genE8ELNS1_11target_archE1030ELNS1_3gpuE2ELNS1_3repE0EEENS1_30default_config_static_selectorELNS0_4arch9wavefront6targetE1EEEvT1_,"axG",@progbits,_ZN7rocprim17ROCPRIM_400000_NS6detail17trampoline_kernelINS0_14default_configENS1_20scan_config_selectorIiEEZZNS1_9scan_implILNS1_25lookback_scan_determinismE0ELb0ELb0ES3_PiS8_iN6thrust23THRUST_200600_302600_NS4plusIvEEiEEDaPvRmT3_T4_T5_mT6_P12ihipStream_tbENKUlT_T0_E_clISt17integral_constantIbLb1EESQ_EEDaSL_SM_EUlSL_E0_NS1_11comp_targetILNS1_3genE8ELNS1_11target_archE1030ELNS1_3gpuE2ELNS1_3repE0EEENS1_30default_config_static_selectorELNS0_4arch9wavefront6targetE1EEEvT1_,comdat
	.protected	_ZN7rocprim17ROCPRIM_400000_NS6detail17trampoline_kernelINS0_14default_configENS1_20scan_config_selectorIiEEZZNS1_9scan_implILNS1_25lookback_scan_determinismE0ELb0ELb0ES3_PiS8_iN6thrust23THRUST_200600_302600_NS4plusIvEEiEEDaPvRmT3_T4_T5_mT6_P12ihipStream_tbENKUlT_T0_E_clISt17integral_constantIbLb1EESQ_EEDaSL_SM_EUlSL_E0_NS1_11comp_targetILNS1_3genE8ELNS1_11target_archE1030ELNS1_3gpuE2ELNS1_3repE0EEENS1_30default_config_static_selectorELNS0_4arch9wavefront6targetE1EEEvT1_ ; -- Begin function _ZN7rocprim17ROCPRIM_400000_NS6detail17trampoline_kernelINS0_14default_configENS1_20scan_config_selectorIiEEZZNS1_9scan_implILNS1_25lookback_scan_determinismE0ELb0ELb0ES3_PiS8_iN6thrust23THRUST_200600_302600_NS4plusIvEEiEEDaPvRmT3_T4_T5_mT6_P12ihipStream_tbENKUlT_T0_E_clISt17integral_constantIbLb1EESQ_EEDaSL_SM_EUlSL_E0_NS1_11comp_targetILNS1_3genE8ELNS1_11target_archE1030ELNS1_3gpuE2ELNS1_3repE0EEENS1_30default_config_static_selectorELNS0_4arch9wavefront6targetE1EEEvT1_
	.globl	_ZN7rocprim17ROCPRIM_400000_NS6detail17trampoline_kernelINS0_14default_configENS1_20scan_config_selectorIiEEZZNS1_9scan_implILNS1_25lookback_scan_determinismE0ELb0ELb0ES3_PiS8_iN6thrust23THRUST_200600_302600_NS4plusIvEEiEEDaPvRmT3_T4_T5_mT6_P12ihipStream_tbENKUlT_T0_E_clISt17integral_constantIbLb1EESQ_EEDaSL_SM_EUlSL_E0_NS1_11comp_targetILNS1_3genE8ELNS1_11target_archE1030ELNS1_3gpuE2ELNS1_3repE0EEENS1_30default_config_static_selectorELNS0_4arch9wavefront6targetE1EEEvT1_
	.p2align	8
	.type	_ZN7rocprim17ROCPRIM_400000_NS6detail17trampoline_kernelINS0_14default_configENS1_20scan_config_selectorIiEEZZNS1_9scan_implILNS1_25lookback_scan_determinismE0ELb0ELb0ES3_PiS8_iN6thrust23THRUST_200600_302600_NS4plusIvEEiEEDaPvRmT3_T4_T5_mT6_P12ihipStream_tbENKUlT_T0_E_clISt17integral_constantIbLb1EESQ_EEDaSL_SM_EUlSL_E0_NS1_11comp_targetILNS1_3genE8ELNS1_11target_archE1030ELNS1_3gpuE2ELNS1_3repE0EEENS1_30default_config_static_selectorELNS0_4arch9wavefront6targetE1EEEvT1_,@function
_ZN7rocprim17ROCPRIM_400000_NS6detail17trampoline_kernelINS0_14default_configENS1_20scan_config_selectorIiEEZZNS1_9scan_implILNS1_25lookback_scan_determinismE0ELb0ELb0ES3_PiS8_iN6thrust23THRUST_200600_302600_NS4plusIvEEiEEDaPvRmT3_T4_T5_mT6_P12ihipStream_tbENKUlT_T0_E_clISt17integral_constantIbLb1EESQ_EEDaSL_SM_EUlSL_E0_NS1_11comp_targetILNS1_3genE8ELNS1_11target_archE1030ELNS1_3gpuE2ELNS1_3repE0EEENS1_30default_config_static_selectorELNS0_4arch9wavefront6targetE1EEEvT1_: ; @_ZN7rocprim17ROCPRIM_400000_NS6detail17trampoline_kernelINS0_14default_configENS1_20scan_config_selectorIiEEZZNS1_9scan_implILNS1_25lookback_scan_determinismE0ELb0ELb0ES3_PiS8_iN6thrust23THRUST_200600_302600_NS4plusIvEEiEEDaPvRmT3_T4_T5_mT6_P12ihipStream_tbENKUlT_T0_E_clISt17integral_constantIbLb1EESQ_EEDaSL_SM_EUlSL_E0_NS1_11comp_targetILNS1_3genE8ELNS1_11target_archE1030ELNS1_3gpuE2ELNS1_3repE0EEENS1_30default_config_static_selectorELNS0_4arch9wavefront6targetE1EEEvT1_
; %bb.0:
	.section	.rodata,"a",@progbits
	.p2align	6, 0x0
	.amdhsa_kernel _ZN7rocprim17ROCPRIM_400000_NS6detail17trampoline_kernelINS0_14default_configENS1_20scan_config_selectorIiEEZZNS1_9scan_implILNS1_25lookback_scan_determinismE0ELb0ELb0ES3_PiS8_iN6thrust23THRUST_200600_302600_NS4plusIvEEiEEDaPvRmT3_T4_T5_mT6_P12ihipStream_tbENKUlT_T0_E_clISt17integral_constantIbLb1EESQ_EEDaSL_SM_EUlSL_E0_NS1_11comp_targetILNS1_3genE8ELNS1_11target_archE1030ELNS1_3gpuE2ELNS1_3repE0EEENS1_30default_config_static_selectorELNS0_4arch9wavefront6targetE1EEEvT1_
		.amdhsa_group_segment_fixed_size 0
		.amdhsa_private_segment_fixed_size 0
		.amdhsa_kernarg_size 32
		.amdhsa_user_sgpr_count 6
		.amdhsa_user_sgpr_private_segment_buffer 1
		.amdhsa_user_sgpr_dispatch_ptr 0
		.amdhsa_user_sgpr_queue_ptr 0
		.amdhsa_user_sgpr_kernarg_segment_ptr 1
		.amdhsa_user_sgpr_dispatch_id 0
		.amdhsa_user_sgpr_flat_scratch_init 0
		.amdhsa_user_sgpr_kernarg_preload_length 0
		.amdhsa_user_sgpr_kernarg_preload_offset 0
		.amdhsa_user_sgpr_private_segment_size 0
		.amdhsa_uses_dynamic_stack 0
		.amdhsa_system_sgpr_private_segment_wavefront_offset 0
		.amdhsa_system_sgpr_workgroup_id_x 1
		.amdhsa_system_sgpr_workgroup_id_y 0
		.amdhsa_system_sgpr_workgroup_id_z 0
		.amdhsa_system_sgpr_workgroup_info 0
		.amdhsa_system_vgpr_workitem_id 0
		.amdhsa_next_free_vgpr 1
		.amdhsa_next_free_sgpr 0
		.amdhsa_accum_offset 4
		.amdhsa_reserve_vcc 0
		.amdhsa_reserve_flat_scratch 0
		.amdhsa_float_round_mode_32 0
		.amdhsa_float_round_mode_16_64 0
		.amdhsa_float_denorm_mode_32 3
		.amdhsa_float_denorm_mode_16_64 3
		.amdhsa_dx10_clamp 1
		.amdhsa_ieee_mode 1
		.amdhsa_fp16_overflow 0
		.amdhsa_tg_split 0
		.amdhsa_exception_fp_ieee_invalid_op 0
		.amdhsa_exception_fp_denorm_src 0
		.amdhsa_exception_fp_ieee_div_zero 0
		.amdhsa_exception_fp_ieee_overflow 0
		.amdhsa_exception_fp_ieee_underflow 0
		.amdhsa_exception_fp_ieee_inexact 0
		.amdhsa_exception_int_div_zero 0
	.end_amdhsa_kernel
	.section	.text._ZN7rocprim17ROCPRIM_400000_NS6detail17trampoline_kernelINS0_14default_configENS1_20scan_config_selectorIiEEZZNS1_9scan_implILNS1_25lookback_scan_determinismE0ELb0ELb0ES3_PiS8_iN6thrust23THRUST_200600_302600_NS4plusIvEEiEEDaPvRmT3_T4_T5_mT6_P12ihipStream_tbENKUlT_T0_E_clISt17integral_constantIbLb1EESQ_EEDaSL_SM_EUlSL_E0_NS1_11comp_targetILNS1_3genE8ELNS1_11target_archE1030ELNS1_3gpuE2ELNS1_3repE0EEENS1_30default_config_static_selectorELNS0_4arch9wavefront6targetE1EEEvT1_,"axG",@progbits,_ZN7rocprim17ROCPRIM_400000_NS6detail17trampoline_kernelINS0_14default_configENS1_20scan_config_selectorIiEEZZNS1_9scan_implILNS1_25lookback_scan_determinismE0ELb0ELb0ES3_PiS8_iN6thrust23THRUST_200600_302600_NS4plusIvEEiEEDaPvRmT3_T4_T5_mT6_P12ihipStream_tbENKUlT_T0_E_clISt17integral_constantIbLb1EESQ_EEDaSL_SM_EUlSL_E0_NS1_11comp_targetILNS1_3genE8ELNS1_11target_archE1030ELNS1_3gpuE2ELNS1_3repE0EEENS1_30default_config_static_selectorELNS0_4arch9wavefront6targetE1EEEvT1_,comdat
.Lfunc_end64:
	.size	_ZN7rocprim17ROCPRIM_400000_NS6detail17trampoline_kernelINS0_14default_configENS1_20scan_config_selectorIiEEZZNS1_9scan_implILNS1_25lookback_scan_determinismE0ELb0ELb0ES3_PiS8_iN6thrust23THRUST_200600_302600_NS4plusIvEEiEEDaPvRmT3_T4_T5_mT6_P12ihipStream_tbENKUlT_T0_E_clISt17integral_constantIbLb1EESQ_EEDaSL_SM_EUlSL_E0_NS1_11comp_targetILNS1_3genE8ELNS1_11target_archE1030ELNS1_3gpuE2ELNS1_3repE0EEENS1_30default_config_static_selectorELNS0_4arch9wavefront6targetE1EEEvT1_, .Lfunc_end64-_ZN7rocprim17ROCPRIM_400000_NS6detail17trampoline_kernelINS0_14default_configENS1_20scan_config_selectorIiEEZZNS1_9scan_implILNS1_25lookback_scan_determinismE0ELb0ELb0ES3_PiS8_iN6thrust23THRUST_200600_302600_NS4plusIvEEiEEDaPvRmT3_T4_T5_mT6_P12ihipStream_tbENKUlT_T0_E_clISt17integral_constantIbLb1EESQ_EEDaSL_SM_EUlSL_E0_NS1_11comp_targetILNS1_3genE8ELNS1_11target_archE1030ELNS1_3gpuE2ELNS1_3repE0EEENS1_30default_config_static_selectorELNS0_4arch9wavefront6targetE1EEEvT1_
                                        ; -- End function
	.section	.AMDGPU.csdata,"",@progbits
; Kernel info:
; codeLenInByte = 0
; NumSgprs: 4
; NumVgprs: 0
; NumAgprs: 0
; TotalNumVgprs: 0
; ScratchSize: 0
; MemoryBound: 0
; FloatMode: 240
; IeeeMode: 1
; LDSByteSize: 0 bytes/workgroup (compile time only)
; SGPRBlocks: 0
; VGPRBlocks: 0
; NumSGPRsForWavesPerEU: 4
; NumVGPRsForWavesPerEU: 1
; AccumOffset: 4
; Occupancy: 8
; WaveLimiterHint : 0
; COMPUTE_PGM_RSRC2:SCRATCH_EN: 0
; COMPUTE_PGM_RSRC2:USER_SGPR: 6
; COMPUTE_PGM_RSRC2:TRAP_HANDLER: 0
; COMPUTE_PGM_RSRC2:TGID_X_EN: 1
; COMPUTE_PGM_RSRC2:TGID_Y_EN: 0
; COMPUTE_PGM_RSRC2:TGID_Z_EN: 0
; COMPUTE_PGM_RSRC2:TIDIG_COMP_CNT: 0
; COMPUTE_PGM_RSRC3_GFX90A:ACCUM_OFFSET: 0
; COMPUTE_PGM_RSRC3_GFX90A:TG_SPLIT: 0
	.section	.text._ZN7rocprim17ROCPRIM_400000_NS6detail31init_lookback_scan_state_kernelINS1_19lookback_scan_stateIiLb1ELb1EEENS1_16block_id_wrapperIjLb0EEEEEvT_jT0_jPNS7_10value_typeE,"axG",@progbits,_ZN7rocprim17ROCPRIM_400000_NS6detail31init_lookback_scan_state_kernelINS1_19lookback_scan_stateIiLb1ELb1EEENS1_16block_id_wrapperIjLb0EEEEEvT_jT0_jPNS7_10value_typeE,comdat
	.protected	_ZN7rocprim17ROCPRIM_400000_NS6detail31init_lookback_scan_state_kernelINS1_19lookback_scan_stateIiLb1ELb1EEENS1_16block_id_wrapperIjLb0EEEEEvT_jT0_jPNS7_10value_typeE ; -- Begin function _ZN7rocprim17ROCPRIM_400000_NS6detail31init_lookback_scan_state_kernelINS1_19lookback_scan_stateIiLb1ELb1EEENS1_16block_id_wrapperIjLb0EEEEEvT_jT0_jPNS7_10value_typeE
	.globl	_ZN7rocprim17ROCPRIM_400000_NS6detail31init_lookback_scan_state_kernelINS1_19lookback_scan_stateIiLb1ELb1EEENS1_16block_id_wrapperIjLb0EEEEEvT_jT0_jPNS7_10value_typeE
	.p2align	8
	.type	_ZN7rocprim17ROCPRIM_400000_NS6detail31init_lookback_scan_state_kernelINS1_19lookback_scan_stateIiLb1ELb1EEENS1_16block_id_wrapperIjLb0EEEEEvT_jT0_jPNS7_10value_typeE,@function
_ZN7rocprim17ROCPRIM_400000_NS6detail31init_lookback_scan_state_kernelINS1_19lookback_scan_stateIiLb1ELb1EEENS1_16block_id_wrapperIjLb0EEEEEvT_jT0_jPNS7_10value_typeE: ; @_ZN7rocprim17ROCPRIM_400000_NS6detail31init_lookback_scan_state_kernelINS1_19lookback_scan_stateIiLb1ELb1EEENS1_16block_id_wrapperIjLb0EEEEEvT_jT0_jPNS7_10value_typeE
; %bb.0:
	s_load_dword s7, s[4:5], 0x2c
	s_load_dwordx2 s[2:3], s[4:5], 0x18
	s_load_dwordx2 s[0:1], s[4:5], 0x0
	s_load_dword s8, s[4:5], 0x8
	s_waitcnt lgkmcnt(0)
	s_and_b32 s7, s7, 0xffff
	s_mul_i32 s6, s6, s7
	s_cmp_eq_u64 s[2:3], 0
	v_add_u32_e32 v0, s6, v0
	s_cbranch_scc1 .LBB65_9
; %bb.1:
	s_load_dword s6, s[4:5], 0x10
	s_mov_b32 s7, 0
	s_waitcnt lgkmcnt(0)
	s_cmp_lt_u32 s6, s8
	s_cselect_b32 s4, s6, 0
	v_cmp_eq_u32_e32 vcc, s4, v0
	s_and_saveexec_b64 s[4:5], vcc
	s_cbranch_execz .LBB65_8
; %bb.2:
	s_add_i32 s6, s6, 64
	s_lshl_b64 s[6:7], s[6:7], 3
	s_add_u32 s6, s0, s6
	s_addc_u32 s7, s1, s7
	v_mov_b32_e32 v2, 0
	global_load_dwordx2 v[4:5], v2, s[6:7] glc
	s_waitcnt vmcnt(0)
	v_and_b32_e32 v3, 0xff, v5
	v_cmp_ne_u64_e32 vcc, 0, v[2:3]
	s_cbranch_vccnz .LBB65_7
; %bb.3:
	s_mov_b32 s9, 1
.LBB65_4:                               ; =>This Loop Header: Depth=1
                                        ;     Child Loop BB65_5 Depth 2
	s_max_u32 s10, s9, 1
.LBB65_5:                               ;   Parent Loop BB65_4 Depth=1
                                        ; =>  This Inner Loop Header: Depth=2
	s_add_i32 s10, s10, -1
	s_cmp_eq_u32 s10, 0
	s_sleep 1
	s_cbranch_scc0 .LBB65_5
; %bb.6:                                ;   in Loop: Header=BB65_4 Depth=1
	global_load_dwordx2 v[4:5], v2, s[6:7] glc
	s_cmp_lt_u32 s9, 32
	s_cselect_b64 s[10:11], -1, 0
	s_cmp_lg_u64 s[10:11], 0
	s_addc_u32 s9, s9, 0
	s_waitcnt vmcnt(0)
	v_and_b32_e32 v3, 0xff, v5
	v_cmp_ne_u64_e32 vcc, 0, v[2:3]
	s_cbranch_vccz .LBB65_4
.LBB65_7:
	v_mov_b32_e32 v1, 0
	global_store_dword v1, v4, s[2:3]
.LBB65_8:
	s_or_b64 exec, exec, s[4:5]
.LBB65_9:
	v_cmp_gt_u32_e32 vcc, s8, v0
	s_and_saveexec_b64 s[2:3], vcc
	s_cbranch_execnz .LBB65_12
; %bb.10:
	s_or_b64 exec, exec, s[2:3]
	v_cmp_gt_u32_e32 vcc, 64, v0
	s_and_saveexec_b64 s[2:3], vcc
	s_cbranch_execnz .LBB65_13
.LBB65_11:
	s_endpgm
.LBB65_12:
	v_add_u32_e32 v2, 64, v0
	v_mov_b32_e32 v3, 0
	v_lshlrev_b64 v[4:5], 3, v[2:3]
	v_mov_b32_e32 v1, s1
	v_add_co_u32_e32 v4, vcc, s0, v4
	v_addc_co_u32_e32 v5, vcc, v1, v5, vcc
	v_mov_b32_e32 v2, v3
	global_store_dwordx2 v[4:5], v[2:3], off
	s_or_b64 exec, exec, s[2:3]
	v_cmp_gt_u32_e32 vcc, 64, v0
	s_and_saveexec_b64 s[2:3], vcc
	s_cbranch_execz .LBB65_11
.LBB65_13:
	v_mov_b32_e32 v1, 0
	v_lshlrev_b64 v[2:3], 3, v[0:1]
	v_mov_b32_e32 v0, s1
	v_add_co_u32_e32 v2, vcc, s0, v2
	v_addc_co_u32_e32 v3, vcc, v0, v3, vcc
	v_mov_b32_e32 v5, 0xff
	v_mov_b32_e32 v4, v1
	global_store_dwordx2 v[2:3], v[4:5], off
	s_endpgm
	.section	.rodata,"a",@progbits
	.p2align	6, 0x0
	.amdhsa_kernel _ZN7rocprim17ROCPRIM_400000_NS6detail31init_lookback_scan_state_kernelINS1_19lookback_scan_stateIiLb1ELb1EEENS1_16block_id_wrapperIjLb0EEEEEvT_jT0_jPNS7_10value_typeE
		.amdhsa_group_segment_fixed_size 0
		.amdhsa_private_segment_fixed_size 0
		.amdhsa_kernarg_size 288
		.amdhsa_user_sgpr_count 6
		.amdhsa_user_sgpr_private_segment_buffer 1
		.amdhsa_user_sgpr_dispatch_ptr 0
		.amdhsa_user_sgpr_queue_ptr 0
		.amdhsa_user_sgpr_kernarg_segment_ptr 1
		.amdhsa_user_sgpr_dispatch_id 0
		.amdhsa_user_sgpr_flat_scratch_init 0
		.amdhsa_user_sgpr_kernarg_preload_length 0
		.amdhsa_user_sgpr_kernarg_preload_offset 0
		.amdhsa_user_sgpr_private_segment_size 0
		.amdhsa_uses_dynamic_stack 0
		.amdhsa_system_sgpr_private_segment_wavefront_offset 0
		.amdhsa_system_sgpr_workgroup_id_x 1
		.amdhsa_system_sgpr_workgroup_id_y 0
		.amdhsa_system_sgpr_workgroup_id_z 0
		.amdhsa_system_sgpr_workgroup_info 0
		.amdhsa_system_vgpr_workitem_id 0
		.amdhsa_next_free_vgpr 6
		.amdhsa_next_free_sgpr 12
		.amdhsa_accum_offset 8
		.amdhsa_reserve_vcc 1
		.amdhsa_reserve_flat_scratch 0
		.amdhsa_float_round_mode_32 0
		.amdhsa_float_round_mode_16_64 0
		.amdhsa_float_denorm_mode_32 3
		.amdhsa_float_denorm_mode_16_64 3
		.amdhsa_dx10_clamp 1
		.amdhsa_ieee_mode 1
		.amdhsa_fp16_overflow 0
		.amdhsa_tg_split 0
		.amdhsa_exception_fp_ieee_invalid_op 0
		.amdhsa_exception_fp_denorm_src 0
		.amdhsa_exception_fp_ieee_div_zero 0
		.amdhsa_exception_fp_ieee_overflow 0
		.amdhsa_exception_fp_ieee_underflow 0
		.amdhsa_exception_fp_ieee_inexact 0
		.amdhsa_exception_int_div_zero 0
	.end_amdhsa_kernel
	.section	.text._ZN7rocprim17ROCPRIM_400000_NS6detail31init_lookback_scan_state_kernelINS1_19lookback_scan_stateIiLb1ELb1EEENS1_16block_id_wrapperIjLb0EEEEEvT_jT0_jPNS7_10value_typeE,"axG",@progbits,_ZN7rocprim17ROCPRIM_400000_NS6detail31init_lookback_scan_state_kernelINS1_19lookback_scan_stateIiLb1ELb1EEENS1_16block_id_wrapperIjLb0EEEEEvT_jT0_jPNS7_10value_typeE,comdat
.Lfunc_end65:
	.size	_ZN7rocprim17ROCPRIM_400000_NS6detail31init_lookback_scan_state_kernelINS1_19lookback_scan_stateIiLb1ELb1EEENS1_16block_id_wrapperIjLb0EEEEEvT_jT0_jPNS7_10value_typeE, .Lfunc_end65-_ZN7rocprim17ROCPRIM_400000_NS6detail31init_lookback_scan_state_kernelINS1_19lookback_scan_stateIiLb1ELb1EEENS1_16block_id_wrapperIjLb0EEEEEvT_jT0_jPNS7_10value_typeE
                                        ; -- End function
	.section	.AMDGPU.csdata,"",@progbits
; Kernel info:
; codeLenInByte = 364
; NumSgprs: 16
; NumVgprs: 6
; NumAgprs: 0
; TotalNumVgprs: 6
; ScratchSize: 0
; MemoryBound: 0
; FloatMode: 240
; IeeeMode: 1
; LDSByteSize: 0 bytes/workgroup (compile time only)
; SGPRBlocks: 1
; VGPRBlocks: 0
; NumSGPRsForWavesPerEU: 16
; NumVGPRsForWavesPerEU: 6
; AccumOffset: 8
; Occupancy: 8
; WaveLimiterHint : 0
; COMPUTE_PGM_RSRC2:SCRATCH_EN: 0
; COMPUTE_PGM_RSRC2:USER_SGPR: 6
; COMPUTE_PGM_RSRC2:TRAP_HANDLER: 0
; COMPUTE_PGM_RSRC2:TGID_X_EN: 1
; COMPUTE_PGM_RSRC2:TGID_Y_EN: 0
; COMPUTE_PGM_RSRC2:TGID_Z_EN: 0
; COMPUTE_PGM_RSRC2:TIDIG_COMP_CNT: 0
; COMPUTE_PGM_RSRC3_GFX90A:ACCUM_OFFSET: 1
; COMPUTE_PGM_RSRC3_GFX90A:TG_SPLIT: 0
	.section	.text._ZN7rocprim17ROCPRIM_400000_NS6detail17trampoline_kernelINS0_14default_configENS1_20scan_config_selectorIiEEZZNS1_9scan_implILNS1_25lookback_scan_determinismE0ELb0ELb0ES3_PiS8_iN6thrust23THRUST_200600_302600_NS4plusIvEEiEEDaPvRmT3_T4_T5_mT6_P12ihipStream_tbENKUlT_T0_E_clISt17integral_constantIbLb1EESP_IbLb0EEEEDaSL_SM_EUlSL_E_NS1_11comp_targetILNS1_3genE0ELNS1_11target_archE4294967295ELNS1_3gpuE0ELNS1_3repE0EEENS1_30default_config_static_selectorELNS0_4arch9wavefront6targetE1EEEvT1_,"axG",@progbits,_ZN7rocprim17ROCPRIM_400000_NS6detail17trampoline_kernelINS0_14default_configENS1_20scan_config_selectorIiEEZZNS1_9scan_implILNS1_25lookback_scan_determinismE0ELb0ELb0ES3_PiS8_iN6thrust23THRUST_200600_302600_NS4plusIvEEiEEDaPvRmT3_T4_T5_mT6_P12ihipStream_tbENKUlT_T0_E_clISt17integral_constantIbLb1EESP_IbLb0EEEEDaSL_SM_EUlSL_E_NS1_11comp_targetILNS1_3genE0ELNS1_11target_archE4294967295ELNS1_3gpuE0ELNS1_3repE0EEENS1_30default_config_static_selectorELNS0_4arch9wavefront6targetE1EEEvT1_,comdat
	.protected	_ZN7rocprim17ROCPRIM_400000_NS6detail17trampoline_kernelINS0_14default_configENS1_20scan_config_selectorIiEEZZNS1_9scan_implILNS1_25lookback_scan_determinismE0ELb0ELb0ES3_PiS8_iN6thrust23THRUST_200600_302600_NS4plusIvEEiEEDaPvRmT3_T4_T5_mT6_P12ihipStream_tbENKUlT_T0_E_clISt17integral_constantIbLb1EESP_IbLb0EEEEDaSL_SM_EUlSL_E_NS1_11comp_targetILNS1_3genE0ELNS1_11target_archE4294967295ELNS1_3gpuE0ELNS1_3repE0EEENS1_30default_config_static_selectorELNS0_4arch9wavefront6targetE1EEEvT1_ ; -- Begin function _ZN7rocprim17ROCPRIM_400000_NS6detail17trampoline_kernelINS0_14default_configENS1_20scan_config_selectorIiEEZZNS1_9scan_implILNS1_25lookback_scan_determinismE0ELb0ELb0ES3_PiS8_iN6thrust23THRUST_200600_302600_NS4plusIvEEiEEDaPvRmT3_T4_T5_mT6_P12ihipStream_tbENKUlT_T0_E_clISt17integral_constantIbLb1EESP_IbLb0EEEEDaSL_SM_EUlSL_E_NS1_11comp_targetILNS1_3genE0ELNS1_11target_archE4294967295ELNS1_3gpuE0ELNS1_3repE0EEENS1_30default_config_static_selectorELNS0_4arch9wavefront6targetE1EEEvT1_
	.globl	_ZN7rocprim17ROCPRIM_400000_NS6detail17trampoline_kernelINS0_14default_configENS1_20scan_config_selectorIiEEZZNS1_9scan_implILNS1_25lookback_scan_determinismE0ELb0ELb0ES3_PiS8_iN6thrust23THRUST_200600_302600_NS4plusIvEEiEEDaPvRmT3_T4_T5_mT6_P12ihipStream_tbENKUlT_T0_E_clISt17integral_constantIbLb1EESP_IbLb0EEEEDaSL_SM_EUlSL_E_NS1_11comp_targetILNS1_3genE0ELNS1_11target_archE4294967295ELNS1_3gpuE0ELNS1_3repE0EEENS1_30default_config_static_selectorELNS0_4arch9wavefront6targetE1EEEvT1_
	.p2align	8
	.type	_ZN7rocprim17ROCPRIM_400000_NS6detail17trampoline_kernelINS0_14default_configENS1_20scan_config_selectorIiEEZZNS1_9scan_implILNS1_25lookback_scan_determinismE0ELb0ELb0ES3_PiS8_iN6thrust23THRUST_200600_302600_NS4plusIvEEiEEDaPvRmT3_T4_T5_mT6_P12ihipStream_tbENKUlT_T0_E_clISt17integral_constantIbLb1EESP_IbLb0EEEEDaSL_SM_EUlSL_E_NS1_11comp_targetILNS1_3genE0ELNS1_11target_archE4294967295ELNS1_3gpuE0ELNS1_3repE0EEENS1_30default_config_static_selectorELNS0_4arch9wavefront6targetE1EEEvT1_,@function
_ZN7rocprim17ROCPRIM_400000_NS6detail17trampoline_kernelINS0_14default_configENS1_20scan_config_selectorIiEEZZNS1_9scan_implILNS1_25lookback_scan_determinismE0ELb0ELb0ES3_PiS8_iN6thrust23THRUST_200600_302600_NS4plusIvEEiEEDaPvRmT3_T4_T5_mT6_P12ihipStream_tbENKUlT_T0_E_clISt17integral_constantIbLb1EESP_IbLb0EEEEDaSL_SM_EUlSL_E_NS1_11comp_targetILNS1_3genE0ELNS1_11target_archE4294967295ELNS1_3gpuE0ELNS1_3repE0EEENS1_30default_config_static_selectorELNS0_4arch9wavefront6targetE1EEEvT1_: ; @_ZN7rocprim17ROCPRIM_400000_NS6detail17trampoline_kernelINS0_14default_configENS1_20scan_config_selectorIiEEZZNS1_9scan_implILNS1_25lookback_scan_determinismE0ELb0ELb0ES3_PiS8_iN6thrust23THRUST_200600_302600_NS4plusIvEEiEEDaPvRmT3_T4_T5_mT6_P12ihipStream_tbENKUlT_T0_E_clISt17integral_constantIbLb1EESP_IbLb0EEEEDaSL_SM_EUlSL_E_NS1_11comp_targetILNS1_3genE0ELNS1_11target_archE4294967295ELNS1_3gpuE0ELNS1_3repE0EEENS1_30default_config_static_selectorELNS0_4arch9wavefront6targetE1EEEvT1_
; %bb.0:
	.section	.rodata,"a",@progbits
	.p2align	6, 0x0
	.amdhsa_kernel _ZN7rocprim17ROCPRIM_400000_NS6detail17trampoline_kernelINS0_14default_configENS1_20scan_config_selectorIiEEZZNS1_9scan_implILNS1_25lookback_scan_determinismE0ELb0ELb0ES3_PiS8_iN6thrust23THRUST_200600_302600_NS4plusIvEEiEEDaPvRmT3_T4_T5_mT6_P12ihipStream_tbENKUlT_T0_E_clISt17integral_constantIbLb1EESP_IbLb0EEEEDaSL_SM_EUlSL_E_NS1_11comp_targetILNS1_3genE0ELNS1_11target_archE4294967295ELNS1_3gpuE0ELNS1_3repE0EEENS1_30default_config_static_selectorELNS0_4arch9wavefront6targetE1EEEvT1_
		.amdhsa_group_segment_fixed_size 0
		.amdhsa_private_segment_fixed_size 0
		.amdhsa_kernarg_size 96
		.amdhsa_user_sgpr_count 6
		.amdhsa_user_sgpr_private_segment_buffer 1
		.amdhsa_user_sgpr_dispatch_ptr 0
		.amdhsa_user_sgpr_queue_ptr 0
		.amdhsa_user_sgpr_kernarg_segment_ptr 1
		.amdhsa_user_sgpr_dispatch_id 0
		.amdhsa_user_sgpr_flat_scratch_init 0
		.amdhsa_user_sgpr_kernarg_preload_length 0
		.amdhsa_user_sgpr_kernarg_preload_offset 0
		.amdhsa_user_sgpr_private_segment_size 0
		.amdhsa_uses_dynamic_stack 0
		.amdhsa_system_sgpr_private_segment_wavefront_offset 0
		.amdhsa_system_sgpr_workgroup_id_x 1
		.amdhsa_system_sgpr_workgroup_id_y 0
		.amdhsa_system_sgpr_workgroup_id_z 0
		.amdhsa_system_sgpr_workgroup_info 0
		.amdhsa_system_vgpr_workitem_id 0
		.amdhsa_next_free_vgpr 1
		.amdhsa_next_free_sgpr 0
		.amdhsa_accum_offset 4
		.amdhsa_reserve_vcc 0
		.amdhsa_reserve_flat_scratch 0
		.amdhsa_float_round_mode_32 0
		.amdhsa_float_round_mode_16_64 0
		.amdhsa_float_denorm_mode_32 3
		.amdhsa_float_denorm_mode_16_64 3
		.amdhsa_dx10_clamp 1
		.amdhsa_ieee_mode 1
		.amdhsa_fp16_overflow 0
		.amdhsa_tg_split 0
		.amdhsa_exception_fp_ieee_invalid_op 0
		.amdhsa_exception_fp_denorm_src 0
		.amdhsa_exception_fp_ieee_div_zero 0
		.amdhsa_exception_fp_ieee_overflow 0
		.amdhsa_exception_fp_ieee_underflow 0
		.amdhsa_exception_fp_ieee_inexact 0
		.amdhsa_exception_int_div_zero 0
	.end_amdhsa_kernel
	.section	.text._ZN7rocprim17ROCPRIM_400000_NS6detail17trampoline_kernelINS0_14default_configENS1_20scan_config_selectorIiEEZZNS1_9scan_implILNS1_25lookback_scan_determinismE0ELb0ELb0ES3_PiS8_iN6thrust23THRUST_200600_302600_NS4plusIvEEiEEDaPvRmT3_T4_T5_mT6_P12ihipStream_tbENKUlT_T0_E_clISt17integral_constantIbLb1EESP_IbLb0EEEEDaSL_SM_EUlSL_E_NS1_11comp_targetILNS1_3genE0ELNS1_11target_archE4294967295ELNS1_3gpuE0ELNS1_3repE0EEENS1_30default_config_static_selectorELNS0_4arch9wavefront6targetE1EEEvT1_,"axG",@progbits,_ZN7rocprim17ROCPRIM_400000_NS6detail17trampoline_kernelINS0_14default_configENS1_20scan_config_selectorIiEEZZNS1_9scan_implILNS1_25lookback_scan_determinismE0ELb0ELb0ES3_PiS8_iN6thrust23THRUST_200600_302600_NS4plusIvEEiEEDaPvRmT3_T4_T5_mT6_P12ihipStream_tbENKUlT_T0_E_clISt17integral_constantIbLb1EESP_IbLb0EEEEDaSL_SM_EUlSL_E_NS1_11comp_targetILNS1_3genE0ELNS1_11target_archE4294967295ELNS1_3gpuE0ELNS1_3repE0EEENS1_30default_config_static_selectorELNS0_4arch9wavefront6targetE1EEEvT1_,comdat
.Lfunc_end66:
	.size	_ZN7rocprim17ROCPRIM_400000_NS6detail17trampoline_kernelINS0_14default_configENS1_20scan_config_selectorIiEEZZNS1_9scan_implILNS1_25lookback_scan_determinismE0ELb0ELb0ES3_PiS8_iN6thrust23THRUST_200600_302600_NS4plusIvEEiEEDaPvRmT3_T4_T5_mT6_P12ihipStream_tbENKUlT_T0_E_clISt17integral_constantIbLb1EESP_IbLb0EEEEDaSL_SM_EUlSL_E_NS1_11comp_targetILNS1_3genE0ELNS1_11target_archE4294967295ELNS1_3gpuE0ELNS1_3repE0EEENS1_30default_config_static_selectorELNS0_4arch9wavefront6targetE1EEEvT1_, .Lfunc_end66-_ZN7rocprim17ROCPRIM_400000_NS6detail17trampoline_kernelINS0_14default_configENS1_20scan_config_selectorIiEEZZNS1_9scan_implILNS1_25lookback_scan_determinismE0ELb0ELb0ES3_PiS8_iN6thrust23THRUST_200600_302600_NS4plusIvEEiEEDaPvRmT3_T4_T5_mT6_P12ihipStream_tbENKUlT_T0_E_clISt17integral_constantIbLb1EESP_IbLb0EEEEDaSL_SM_EUlSL_E_NS1_11comp_targetILNS1_3genE0ELNS1_11target_archE4294967295ELNS1_3gpuE0ELNS1_3repE0EEENS1_30default_config_static_selectorELNS0_4arch9wavefront6targetE1EEEvT1_
                                        ; -- End function
	.section	.AMDGPU.csdata,"",@progbits
; Kernel info:
; codeLenInByte = 0
; NumSgprs: 4
; NumVgprs: 0
; NumAgprs: 0
; TotalNumVgprs: 0
; ScratchSize: 0
; MemoryBound: 0
; FloatMode: 240
; IeeeMode: 1
; LDSByteSize: 0 bytes/workgroup (compile time only)
; SGPRBlocks: 0
; VGPRBlocks: 0
; NumSGPRsForWavesPerEU: 4
; NumVGPRsForWavesPerEU: 1
; AccumOffset: 4
; Occupancy: 8
; WaveLimiterHint : 0
; COMPUTE_PGM_RSRC2:SCRATCH_EN: 0
; COMPUTE_PGM_RSRC2:USER_SGPR: 6
; COMPUTE_PGM_RSRC2:TRAP_HANDLER: 0
; COMPUTE_PGM_RSRC2:TGID_X_EN: 1
; COMPUTE_PGM_RSRC2:TGID_Y_EN: 0
; COMPUTE_PGM_RSRC2:TGID_Z_EN: 0
; COMPUTE_PGM_RSRC2:TIDIG_COMP_CNT: 0
; COMPUTE_PGM_RSRC3_GFX90A:ACCUM_OFFSET: 0
; COMPUTE_PGM_RSRC3_GFX90A:TG_SPLIT: 0
	.section	.text._ZN7rocprim17ROCPRIM_400000_NS6detail17trampoline_kernelINS0_14default_configENS1_20scan_config_selectorIiEEZZNS1_9scan_implILNS1_25lookback_scan_determinismE0ELb0ELb0ES3_PiS8_iN6thrust23THRUST_200600_302600_NS4plusIvEEiEEDaPvRmT3_T4_T5_mT6_P12ihipStream_tbENKUlT_T0_E_clISt17integral_constantIbLb1EESP_IbLb0EEEEDaSL_SM_EUlSL_E_NS1_11comp_targetILNS1_3genE5ELNS1_11target_archE942ELNS1_3gpuE9ELNS1_3repE0EEENS1_30default_config_static_selectorELNS0_4arch9wavefront6targetE1EEEvT1_,"axG",@progbits,_ZN7rocprim17ROCPRIM_400000_NS6detail17trampoline_kernelINS0_14default_configENS1_20scan_config_selectorIiEEZZNS1_9scan_implILNS1_25lookback_scan_determinismE0ELb0ELb0ES3_PiS8_iN6thrust23THRUST_200600_302600_NS4plusIvEEiEEDaPvRmT3_T4_T5_mT6_P12ihipStream_tbENKUlT_T0_E_clISt17integral_constantIbLb1EESP_IbLb0EEEEDaSL_SM_EUlSL_E_NS1_11comp_targetILNS1_3genE5ELNS1_11target_archE942ELNS1_3gpuE9ELNS1_3repE0EEENS1_30default_config_static_selectorELNS0_4arch9wavefront6targetE1EEEvT1_,comdat
	.protected	_ZN7rocprim17ROCPRIM_400000_NS6detail17trampoline_kernelINS0_14default_configENS1_20scan_config_selectorIiEEZZNS1_9scan_implILNS1_25lookback_scan_determinismE0ELb0ELb0ES3_PiS8_iN6thrust23THRUST_200600_302600_NS4plusIvEEiEEDaPvRmT3_T4_T5_mT6_P12ihipStream_tbENKUlT_T0_E_clISt17integral_constantIbLb1EESP_IbLb0EEEEDaSL_SM_EUlSL_E_NS1_11comp_targetILNS1_3genE5ELNS1_11target_archE942ELNS1_3gpuE9ELNS1_3repE0EEENS1_30default_config_static_selectorELNS0_4arch9wavefront6targetE1EEEvT1_ ; -- Begin function _ZN7rocprim17ROCPRIM_400000_NS6detail17trampoline_kernelINS0_14default_configENS1_20scan_config_selectorIiEEZZNS1_9scan_implILNS1_25lookback_scan_determinismE0ELb0ELb0ES3_PiS8_iN6thrust23THRUST_200600_302600_NS4plusIvEEiEEDaPvRmT3_T4_T5_mT6_P12ihipStream_tbENKUlT_T0_E_clISt17integral_constantIbLb1EESP_IbLb0EEEEDaSL_SM_EUlSL_E_NS1_11comp_targetILNS1_3genE5ELNS1_11target_archE942ELNS1_3gpuE9ELNS1_3repE0EEENS1_30default_config_static_selectorELNS0_4arch9wavefront6targetE1EEEvT1_
	.globl	_ZN7rocprim17ROCPRIM_400000_NS6detail17trampoline_kernelINS0_14default_configENS1_20scan_config_selectorIiEEZZNS1_9scan_implILNS1_25lookback_scan_determinismE0ELb0ELb0ES3_PiS8_iN6thrust23THRUST_200600_302600_NS4plusIvEEiEEDaPvRmT3_T4_T5_mT6_P12ihipStream_tbENKUlT_T0_E_clISt17integral_constantIbLb1EESP_IbLb0EEEEDaSL_SM_EUlSL_E_NS1_11comp_targetILNS1_3genE5ELNS1_11target_archE942ELNS1_3gpuE9ELNS1_3repE0EEENS1_30default_config_static_selectorELNS0_4arch9wavefront6targetE1EEEvT1_
	.p2align	8
	.type	_ZN7rocprim17ROCPRIM_400000_NS6detail17trampoline_kernelINS0_14default_configENS1_20scan_config_selectorIiEEZZNS1_9scan_implILNS1_25lookback_scan_determinismE0ELb0ELb0ES3_PiS8_iN6thrust23THRUST_200600_302600_NS4plusIvEEiEEDaPvRmT3_T4_T5_mT6_P12ihipStream_tbENKUlT_T0_E_clISt17integral_constantIbLb1EESP_IbLb0EEEEDaSL_SM_EUlSL_E_NS1_11comp_targetILNS1_3genE5ELNS1_11target_archE942ELNS1_3gpuE9ELNS1_3repE0EEENS1_30default_config_static_selectorELNS0_4arch9wavefront6targetE1EEEvT1_,@function
_ZN7rocprim17ROCPRIM_400000_NS6detail17trampoline_kernelINS0_14default_configENS1_20scan_config_selectorIiEEZZNS1_9scan_implILNS1_25lookback_scan_determinismE0ELb0ELb0ES3_PiS8_iN6thrust23THRUST_200600_302600_NS4plusIvEEiEEDaPvRmT3_T4_T5_mT6_P12ihipStream_tbENKUlT_T0_E_clISt17integral_constantIbLb1EESP_IbLb0EEEEDaSL_SM_EUlSL_E_NS1_11comp_targetILNS1_3genE5ELNS1_11target_archE942ELNS1_3gpuE9ELNS1_3repE0EEENS1_30default_config_static_selectorELNS0_4arch9wavefront6targetE1EEEvT1_: ; @_ZN7rocprim17ROCPRIM_400000_NS6detail17trampoline_kernelINS0_14default_configENS1_20scan_config_selectorIiEEZZNS1_9scan_implILNS1_25lookback_scan_determinismE0ELb0ELb0ES3_PiS8_iN6thrust23THRUST_200600_302600_NS4plusIvEEiEEDaPvRmT3_T4_T5_mT6_P12ihipStream_tbENKUlT_T0_E_clISt17integral_constantIbLb1EESP_IbLb0EEEEDaSL_SM_EUlSL_E_NS1_11comp_targetILNS1_3genE5ELNS1_11target_archE942ELNS1_3gpuE9ELNS1_3repE0EEENS1_30default_config_static_selectorELNS0_4arch9wavefront6targetE1EEEvT1_
; %bb.0:
	.section	.rodata,"a",@progbits
	.p2align	6, 0x0
	.amdhsa_kernel _ZN7rocprim17ROCPRIM_400000_NS6detail17trampoline_kernelINS0_14default_configENS1_20scan_config_selectorIiEEZZNS1_9scan_implILNS1_25lookback_scan_determinismE0ELb0ELb0ES3_PiS8_iN6thrust23THRUST_200600_302600_NS4plusIvEEiEEDaPvRmT3_T4_T5_mT6_P12ihipStream_tbENKUlT_T0_E_clISt17integral_constantIbLb1EESP_IbLb0EEEEDaSL_SM_EUlSL_E_NS1_11comp_targetILNS1_3genE5ELNS1_11target_archE942ELNS1_3gpuE9ELNS1_3repE0EEENS1_30default_config_static_selectorELNS0_4arch9wavefront6targetE1EEEvT1_
		.amdhsa_group_segment_fixed_size 0
		.amdhsa_private_segment_fixed_size 0
		.amdhsa_kernarg_size 96
		.amdhsa_user_sgpr_count 6
		.amdhsa_user_sgpr_private_segment_buffer 1
		.amdhsa_user_sgpr_dispatch_ptr 0
		.amdhsa_user_sgpr_queue_ptr 0
		.amdhsa_user_sgpr_kernarg_segment_ptr 1
		.amdhsa_user_sgpr_dispatch_id 0
		.amdhsa_user_sgpr_flat_scratch_init 0
		.amdhsa_user_sgpr_kernarg_preload_length 0
		.amdhsa_user_sgpr_kernarg_preload_offset 0
		.amdhsa_user_sgpr_private_segment_size 0
		.amdhsa_uses_dynamic_stack 0
		.amdhsa_system_sgpr_private_segment_wavefront_offset 0
		.amdhsa_system_sgpr_workgroup_id_x 1
		.amdhsa_system_sgpr_workgroup_id_y 0
		.amdhsa_system_sgpr_workgroup_id_z 0
		.amdhsa_system_sgpr_workgroup_info 0
		.amdhsa_system_vgpr_workitem_id 0
		.amdhsa_next_free_vgpr 1
		.amdhsa_next_free_sgpr 0
		.amdhsa_accum_offset 4
		.amdhsa_reserve_vcc 0
		.amdhsa_reserve_flat_scratch 0
		.amdhsa_float_round_mode_32 0
		.amdhsa_float_round_mode_16_64 0
		.amdhsa_float_denorm_mode_32 3
		.amdhsa_float_denorm_mode_16_64 3
		.amdhsa_dx10_clamp 1
		.amdhsa_ieee_mode 1
		.amdhsa_fp16_overflow 0
		.amdhsa_tg_split 0
		.amdhsa_exception_fp_ieee_invalid_op 0
		.amdhsa_exception_fp_denorm_src 0
		.amdhsa_exception_fp_ieee_div_zero 0
		.amdhsa_exception_fp_ieee_overflow 0
		.amdhsa_exception_fp_ieee_underflow 0
		.amdhsa_exception_fp_ieee_inexact 0
		.amdhsa_exception_int_div_zero 0
	.end_amdhsa_kernel
	.section	.text._ZN7rocprim17ROCPRIM_400000_NS6detail17trampoline_kernelINS0_14default_configENS1_20scan_config_selectorIiEEZZNS1_9scan_implILNS1_25lookback_scan_determinismE0ELb0ELb0ES3_PiS8_iN6thrust23THRUST_200600_302600_NS4plusIvEEiEEDaPvRmT3_T4_T5_mT6_P12ihipStream_tbENKUlT_T0_E_clISt17integral_constantIbLb1EESP_IbLb0EEEEDaSL_SM_EUlSL_E_NS1_11comp_targetILNS1_3genE5ELNS1_11target_archE942ELNS1_3gpuE9ELNS1_3repE0EEENS1_30default_config_static_selectorELNS0_4arch9wavefront6targetE1EEEvT1_,"axG",@progbits,_ZN7rocprim17ROCPRIM_400000_NS6detail17trampoline_kernelINS0_14default_configENS1_20scan_config_selectorIiEEZZNS1_9scan_implILNS1_25lookback_scan_determinismE0ELb0ELb0ES3_PiS8_iN6thrust23THRUST_200600_302600_NS4plusIvEEiEEDaPvRmT3_T4_T5_mT6_P12ihipStream_tbENKUlT_T0_E_clISt17integral_constantIbLb1EESP_IbLb0EEEEDaSL_SM_EUlSL_E_NS1_11comp_targetILNS1_3genE5ELNS1_11target_archE942ELNS1_3gpuE9ELNS1_3repE0EEENS1_30default_config_static_selectorELNS0_4arch9wavefront6targetE1EEEvT1_,comdat
.Lfunc_end67:
	.size	_ZN7rocprim17ROCPRIM_400000_NS6detail17trampoline_kernelINS0_14default_configENS1_20scan_config_selectorIiEEZZNS1_9scan_implILNS1_25lookback_scan_determinismE0ELb0ELb0ES3_PiS8_iN6thrust23THRUST_200600_302600_NS4plusIvEEiEEDaPvRmT3_T4_T5_mT6_P12ihipStream_tbENKUlT_T0_E_clISt17integral_constantIbLb1EESP_IbLb0EEEEDaSL_SM_EUlSL_E_NS1_11comp_targetILNS1_3genE5ELNS1_11target_archE942ELNS1_3gpuE9ELNS1_3repE0EEENS1_30default_config_static_selectorELNS0_4arch9wavefront6targetE1EEEvT1_, .Lfunc_end67-_ZN7rocprim17ROCPRIM_400000_NS6detail17trampoline_kernelINS0_14default_configENS1_20scan_config_selectorIiEEZZNS1_9scan_implILNS1_25lookback_scan_determinismE0ELb0ELb0ES3_PiS8_iN6thrust23THRUST_200600_302600_NS4plusIvEEiEEDaPvRmT3_T4_T5_mT6_P12ihipStream_tbENKUlT_T0_E_clISt17integral_constantIbLb1EESP_IbLb0EEEEDaSL_SM_EUlSL_E_NS1_11comp_targetILNS1_3genE5ELNS1_11target_archE942ELNS1_3gpuE9ELNS1_3repE0EEENS1_30default_config_static_selectorELNS0_4arch9wavefront6targetE1EEEvT1_
                                        ; -- End function
	.section	.AMDGPU.csdata,"",@progbits
; Kernel info:
; codeLenInByte = 0
; NumSgprs: 4
; NumVgprs: 0
; NumAgprs: 0
; TotalNumVgprs: 0
; ScratchSize: 0
; MemoryBound: 0
; FloatMode: 240
; IeeeMode: 1
; LDSByteSize: 0 bytes/workgroup (compile time only)
; SGPRBlocks: 0
; VGPRBlocks: 0
; NumSGPRsForWavesPerEU: 4
; NumVGPRsForWavesPerEU: 1
; AccumOffset: 4
; Occupancy: 8
; WaveLimiterHint : 0
; COMPUTE_PGM_RSRC2:SCRATCH_EN: 0
; COMPUTE_PGM_RSRC2:USER_SGPR: 6
; COMPUTE_PGM_RSRC2:TRAP_HANDLER: 0
; COMPUTE_PGM_RSRC2:TGID_X_EN: 1
; COMPUTE_PGM_RSRC2:TGID_Y_EN: 0
; COMPUTE_PGM_RSRC2:TGID_Z_EN: 0
; COMPUTE_PGM_RSRC2:TIDIG_COMP_CNT: 0
; COMPUTE_PGM_RSRC3_GFX90A:ACCUM_OFFSET: 0
; COMPUTE_PGM_RSRC3_GFX90A:TG_SPLIT: 0
	.section	.text._ZN7rocprim17ROCPRIM_400000_NS6detail17trampoline_kernelINS0_14default_configENS1_20scan_config_selectorIiEEZZNS1_9scan_implILNS1_25lookback_scan_determinismE0ELb0ELb0ES3_PiS8_iN6thrust23THRUST_200600_302600_NS4plusIvEEiEEDaPvRmT3_T4_T5_mT6_P12ihipStream_tbENKUlT_T0_E_clISt17integral_constantIbLb1EESP_IbLb0EEEEDaSL_SM_EUlSL_E_NS1_11comp_targetILNS1_3genE4ELNS1_11target_archE910ELNS1_3gpuE8ELNS1_3repE0EEENS1_30default_config_static_selectorELNS0_4arch9wavefront6targetE1EEEvT1_,"axG",@progbits,_ZN7rocprim17ROCPRIM_400000_NS6detail17trampoline_kernelINS0_14default_configENS1_20scan_config_selectorIiEEZZNS1_9scan_implILNS1_25lookback_scan_determinismE0ELb0ELb0ES3_PiS8_iN6thrust23THRUST_200600_302600_NS4plusIvEEiEEDaPvRmT3_T4_T5_mT6_P12ihipStream_tbENKUlT_T0_E_clISt17integral_constantIbLb1EESP_IbLb0EEEEDaSL_SM_EUlSL_E_NS1_11comp_targetILNS1_3genE4ELNS1_11target_archE910ELNS1_3gpuE8ELNS1_3repE0EEENS1_30default_config_static_selectorELNS0_4arch9wavefront6targetE1EEEvT1_,comdat
	.protected	_ZN7rocprim17ROCPRIM_400000_NS6detail17trampoline_kernelINS0_14default_configENS1_20scan_config_selectorIiEEZZNS1_9scan_implILNS1_25lookback_scan_determinismE0ELb0ELb0ES3_PiS8_iN6thrust23THRUST_200600_302600_NS4plusIvEEiEEDaPvRmT3_T4_T5_mT6_P12ihipStream_tbENKUlT_T0_E_clISt17integral_constantIbLb1EESP_IbLb0EEEEDaSL_SM_EUlSL_E_NS1_11comp_targetILNS1_3genE4ELNS1_11target_archE910ELNS1_3gpuE8ELNS1_3repE0EEENS1_30default_config_static_selectorELNS0_4arch9wavefront6targetE1EEEvT1_ ; -- Begin function _ZN7rocprim17ROCPRIM_400000_NS6detail17trampoline_kernelINS0_14default_configENS1_20scan_config_selectorIiEEZZNS1_9scan_implILNS1_25lookback_scan_determinismE0ELb0ELb0ES3_PiS8_iN6thrust23THRUST_200600_302600_NS4plusIvEEiEEDaPvRmT3_T4_T5_mT6_P12ihipStream_tbENKUlT_T0_E_clISt17integral_constantIbLb1EESP_IbLb0EEEEDaSL_SM_EUlSL_E_NS1_11comp_targetILNS1_3genE4ELNS1_11target_archE910ELNS1_3gpuE8ELNS1_3repE0EEENS1_30default_config_static_selectorELNS0_4arch9wavefront6targetE1EEEvT1_
	.globl	_ZN7rocprim17ROCPRIM_400000_NS6detail17trampoline_kernelINS0_14default_configENS1_20scan_config_selectorIiEEZZNS1_9scan_implILNS1_25lookback_scan_determinismE0ELb0ELb0ES3_PiS8_iN6thrust23THRUST_200600_302600_NS4plusIvEEiEEDaPvRmT3_T4_T5_mT6_P12ihipStream_tbENKUlT_T0_E_clISt17integral_constantIbLb1EESP_IbLb0EEEEDaSL_SM_EUlSL_E_NS1_11comp_targetILNS1_3genE4ELNS1_11target_archE910ELNS1_3gpuE8ELNS1_3repE0EEENS1_30default_config_static_selectorELNS0_4arch9wavefront6targetE1EEEvT1_
	.p2align	8
	.type	_ZN7rocprim17ROCPRIM_400000_NS6detail17trampoline_kernelINS0_14default_configENS1_20scan_config_selectorIiEEZZNS1_9scan_implILNS1_25lookback_scan_determinismE0ELb0ELb0ES3_PiS8_iN6thrust23THRUST_200600_302600_NS4plusIvEEiEEDaPvRmT3_T4_T5_mT6_P12ihipStream_tbENKUlT_T0_E_clISt17integral_constantIbLb1EESP_IbLb0EEEEDaSL_SM_EUlSL_E_NS1_11comp_targetILNS1_3genE4ELNS1_11target_archE910ELNS1_3gpuE8ELNS1_3repE0EEENS1_30default_config_static_selectorELNS0_4arch9wavefront6targetE1EEEvT1_,@function
_ZN7rocprim17ROCPRIM_400000_NS6detail17trampoline_kernelINS0_14default_configENS1_20scan_config_selectorIiEEZZNS1_9scan_implILNS1_25lookback_scan_determinismE0ELb0ELb0ES3_PiS8_iN6thrust23THRUST_200600_302600_NS4plusIvEEiEEDaPvRmT3_T4_T5_mT6_P12ihipStream_tbENKUlT_T0_E_clISt17integral_constantIbLb1EESP_IbLb0EEEEDaSL_SM_EUlSL_E_NS1_11comp_targetILNS1_3genE4ELNS1_11target_archE910ELNS1_3gpuE8ELNS1_3repE0EEENS1_30default_config_static_selectorELNS0_4arch9wavefront6targetE1EEEvT1_: ; @_ZN7rocprim17ROCPRIM_400000_NS6detail17trampoline_kernelINS0_14default_configENS1_20scan_config_selectorIiEEZZNS1_9scan_implILNS1_25lookback_scan_determinismE0ELb0ELb0ES3_PiS8_iN6thrust23THRUST_200600_302600_NS4plusIvEEiEEDaPvRmT3_T4_T5_mT6_P12ihipStream_tbENKUlT_T0_E_clISt17integral_constantIbLb1EESP_IbLb0EEEEDaSL_SM_EUlSL_E_NS1_11comp_targetILNS1_3genE4ELNS1_11target_archE910ELNS1_3gpuE8ELNS1_3repE0EEENS1_30default_config_static_selectorELNS0_4arch9wavefront6targetE1EEEvT1_
; %bb.0:
	s_load_dwordx8 s[16:23], s[4:5], 0x0
	s_load_dword s1, s[4:5], 0x30
	s_mul_i32 s0, s6, 0x500
	v_lshlrev_b32_e32 v22, 2, v0
	s_waitcnt lgkmcnt(0)
	s_lshl_b64 s[18:19], s[18:19], 2
	s_add_u32 s2, s16, s18
	s_addc_u32 s3, s17, s19
	s_add_i32 s7, s1, -1
	s_mul_i32 s8, s7, 0x500
	s_sub_u32 s30, s22, s8
	s_subb_u32 s31, s23, 0
	s_mov_b32 s1, 0
	s_cmp_lg_u32 s6, s7
	s_cselect_b64 s[22:23], -1, 0
	s_lshl_b64 s[24:25], s[0:1], 2
	s_add_u32 s2, s2, s24
	s_addc_u32 s3, s3, s25
	s_mov_b64 s[0:1], -1
	s_and_b64 vcc, exec, s[22:23]
	s_cbranch_vccz .LBB68_2
; %bb.1:
	v_mov_b32_e32 v1, s3
	v_add_co_u32_e32 v2, vcc, s2, v22
	v_addc_co_u32_e32 v1, vcc, 0, v1, vcc
	v_add_co_u32_e32 v2, vcc, 0x1000, v2
	v_addc_co_u32_e32 v3, vcc, 0, v1, vcc
	global_load_dword v4, v22, s[2:3]
	global_load_dword v5, v22, s[2:3] offset:512
	global_load_dword v6, v22, s[2:3] offset:1024
	;; [unrolled: 1-line block ×7, first 2 shown]
	global_load_dword v1, v[2:3], off
	global_load_dword v12, v[2:3], off offset:512
	s_mov_b64 s[0:1], 0
	s_waitcnt vmcnt(8)
	ds_write2st64_b32 v22, v4, v5 offset1:2
	s_waitcnt vmcnt(6)
	ds_write2st64_b32 v22, v6, v7 offset0:4 offset1:6
	s_waitcnt vmcnt(4)
	ds_write2st64_b32 v22, v8, v9 offset0:8 offset1:10
	;; [unrolled: 2-line block ×4, first 2 shown]
	s_waitcnt lgkmcnt(0)
	s_barrier
.LBB68_2:
	s_load_dwordx2 s[26:27], s[4:5], 0x28
	s_andn2_b64 vcc, exec, s[0:1]
	v_cmp_gt_u32_e64 s[0:1], s30, v0
	s_cbranch_vccnz .LBB68_24
; %bb.3:
	s_load_dword s8, s[2:3], 0x0
	s_waitcnt lgkmcnt(0)
	s_mov_b32 s9, s8
	s_mov_b32 s10, s8
	;; [unrolled: 1-line block ×9, first 2 shown]
	v_pk_mov_b32 v[2:3], s[8:9], s[8:9] op_sel:[0,1]
	v_pk_mov_b32 v[4:5], s[10:11], s[10:11] op_sel:[0,1]
	;; [unrolled: 1-line block ×5, first 2 shown]
	v_mov_b32_e32 v1, s8
	s_and_saveexec_b64 s[28:29], s[0:1]
	s_cbranch_execz .LBB68_5
; %bb.4:
	global_load_dword v1, v22, s[2:3]
	v_pk_mov_b32 v[2:3], s[8:9], s[8:9] op_sel:[0,1]
	v_pk_mov_b32 v[4:5], s[10:11], s[10:11] op_sel:[0,1]
	v_pk_mov_b32 v[6:7], s[12:13], s[12:13] op_sel:[0,1]
	v_pk_mov_b32 v[8:9], s[14:15], s[14:15] op_sel:[0,1]
	v_pk_mov_b32 v[10:11], s[16:17], s[16:17] op_sel:[0,1]
                                        ; kill: def $vgpr2 killed $vgpr1 killed $exec
.LBB68_5:
	s_or_b64 exec, exec, s[28:29]
	v_or_b32_e32 v2, 0x80, v0
	v_cmp_gt_u32_e32 vcc, s30, v2
	s_and_saveexec_b64 s[0:1], vcc
	s_cbranch_execz .LBB68_7
; %bb.6:
	global_load_dword v3, v22, s[2:3] offset:512
.LBB68_7:
	s_or_b64 exec, exec, s[0:1]
	v_or_b32_e32 v2, 0x100, v0
	v_cmp_gt_u32_e32 vcc, s30, v2
	s_and_saveexec_b64 s[0:1], vcc
	s_cbranch_execz .LBB68_9
; %bb.8:
	global_load_dword v4, v22, s[2:3] offset:1024
.LBB68_9:
	;; [unrolled: 8-line block ×7, first 2 shown]
	s_or_b64 exec, exec, s[0:1]
	v_or_b32_e32 v2, 0x400, v0
	v_cmp_gt_u32_e32 vcc, s30, v2
	s_and_saveexec_b64 s[0:1], vcc
	s_cbranch_execz .LBB68_21
; %bb.20:
	v_lshlrev_b32_e32 v2, 2, v2
	global_load_dword v10, v2, s[2:3]
.LBB68_21:
	s_or_b64 exec, exec, s[0:1]
	v_or_b32_e32 v2, 0x480, v0
	v_cmp_gt_u32_e32 vcc, s30, v2
	s_and_saveexec_b64 s[0:1], vcc
	s_cbranch_execz .LBB68_23
; %bb.22:
	v_lshlrev_b32_e32 v2, 2, v2
	global_load_dword v11, v2, s[2:3]
.LBB68_23:
	s_or_b64 exec, exec, s[0:1]
	s_waitcnt vmcnt(0)
	ds_write2st64_b32 v22, v1, v3 offset1:2
	ds_write2st64_b32 v22, v4, v5 offset0:4 offset1:6
	ds_write2st64_b32 v22, v6, v7 offset0:8 offset1:10
	;; [unrolled: 1-line block ×4, first 2 shown]
	s_waitcnt lgkmcnt(0)
	s_barrier
.LBB68_24:
	v_mul_u32_u24_e32 v23, 10, v0
	v_lshlrev_b32_e32 v1, 2, v23
	s_waitcnt lgkmcnt(0)
	ds_read2_b64 v[2:5], v1 offset1:1
	ds_read2_b64 v[16:19], v1 offset0:2 offset1:3
	ds_read_b64 v[20:21], v1 offset:32
	s_cmp_lg_u32 s6, 0
	v_lshrrev_b32_e32 v24, 5, v0
	v_cmp_gt_u32_e32 vcc, 64, v0
	s_waitcnt lgkmcnt(0)
	s_barrier
	s_cbranch_scc0 .LBB68_53
; %bb.25:
	v_add_u32_e32 v6, v3, v2
	v_add3_u32 v6, v6, v4, v5
	v_add3_u32 v6, v6, v16, v17
	;; [unrolled: 1-line block ×4, first 2 shown]
	v_add_lshl_u32 v7, v24, v0, 2
	ds_write_b32 v7, v6
	s_waitcnt lgkmcnt(0)
	s_barrier
	s_and_saveexec_b64 s[2:3], vcc
	s_cbranch_execz .LBB68_27
; %bb.26:
	v_lshlrev_b32_e32 v7, 1, v0
	v_lshrrev_b32_e32 v8, 4, v0
	v_add_lshl_u32 v7, v8, v7, 2
	ds_read2_b32 v[8:9], v7 offset1:1
	v_mbcnt_lo_u32_b32 v10, -1, 0
	v_mbcnt_hi_u32_b32 v10, -1, v10
	v_and_b32_e32 v11, 15, v10
	v_cmp_ne_u32_e64 s[0:1], 0, v11
	s_waitcnt lgkmcnt(0)
	v_add_u32_e32 v9, v9, v8
	; wave barrier
	s_nop 1
	v_mov_b32_dpp v12, v9 row_shr:1 row_mask:0xf bank_mask:0xf
	v_cndmask_b32_e64 v12, 0, v12, s[0:1]
	v_add_u32_e32 v9, v12, v9
	v_cmp_lt_u32_e64 s[0:1], 1, v11
	s_nop 0
	v_mov_b32_dpp v12, v9 row_shr:2 row_mask:0xf bank_mask:0xf
	v_cndmask_b32_e64 v12, 0, v12, s[0:1]
	v_add_u32_e32 v9, v9, v12
	v_cmp_lt_u32_e64 s[0:1], 3, v11
	;; [unrolled: 5-line block ×3, first 2 shown]
	s_nop 0
	v_mov_b32_dpp v12, v9 row_shr:8 row_mask:0xf bank_mask:0xf
	v_cndmask_b32_e64 v11, 0, v12, s[0:1]
	v_add_u32_e32 v9, v9, v11
	v_bfe_i32 v12, v10, 4, 1
	v_cmp_lt_u32_e64 s[0:1], 31, v10
	v_mov_b32_dpp v11, v9 row_bcast:15 row_mask:0xf bank_mask:0xf
	v_and_b32_e32 v11, v12, v11
	v_add_u32_e32 v9, v9, v11
	v_and_b32_e32 v12, 64, v10
	s_nop 0
	v_mov_b32_dpp v11, v9 row_bcast:31 row_mask:0xf bank_mask:0xf
	v_cndmask_b32_e64 v11, 0, v11, s[0:1]
	v_add_u32_e32 v9, v9, v11
	v_add_u32_e32 v11, -1, v10
	v_cmp_lt_i32_e64 s[0:1], v11, v12
	v_cndmask_b32_e64 v10, v11, v10, s[0:1]
	v_lshlrev_b32_e32 v10, 2, v10
	ds_bpermute_b32 v9, v10, v9
	v_cmp_eq_u32_e64 s[0:1], 0, v0
	s_waitcnt lgkmcnt(0)
	v_add_u32_e32 v8, v9, v8
	v_cndmask_b32_e64 v6, v8, v6, s[0:1]
	ds_write_b32 v7, v6
	; wave barrier
	ds_read_b32 v8, v7 offset:4
	s_waitcnt lgkmcnt(0)
	v_add_u32_e32 v6, v8, v6
	ds_write_b32 v7, v6 offset:4
.LBB68_27:
	s_or_b64 exec, exec, s[2:3]
	v_cmp_eq_u32_e64 s[0:1], 0, v0
	v_cmp_ne_u32_e64 s[2:3], 0, v0
	v_mov_b32_e32 v25, 0
	s_waitcnt lgkmcnt(0)
	s_barrier
	s_and_saveexec_b64 s[8:9], s[2:3]
	s_cbranch_execz .LBB68_29
; %bb.28:
	v_add_u32_e32 v6, -1, v0
	v_lshrrev_b32_e32 v7, 5, v6
	v_add_lshl_u32 v6, v7, v6, 2
	ds_read_b32 v25, v6
.LBB68_29:
	s_or_b64 exec, exec, s[8:9]
	s_and_saveexec_b64 s[8:9], vcc
	s_cbranch_execz .LBB68_52
; %bb.30:
	v_mov_b32_e32 v15, 0
	ds_read_b32 v6, v15 offset:520
	v_mbcnt_lo_u32_b32 v7, -1, 0
	v_mbcnt_hi_u32_b32 v9, -1, v7
	s_mov_b32 s13, 0
	v_cmp_eq_u32_e64 s[2:3], 0, v9
	s_and_saveexec_b64 s[10:11], s[2:3]
	s_cbranch_execz .LBB68_32
; %bb.31:
	s_add_i32 s12, s6, 64
	s_lshl_b64 s[12:13], s[12:13], 3
	s_add_u32 s12, s26, s12
	v_mov_b32_e32 v7, 1
	s_addc_u32 s13, s27, s13
	s_waitcnt lgkmcnt(0)
	global_store_dwordx2 v15, v[6:7], s[12:13]
.LBB68_32:
	s_or_b64 exec, exec, s[10:11]
	v_xad_u32 v8, v9, -1, s6
	v_add_u32_e32 v14, 64, v8
	v_lshlrev_b64 v[10:11], 3, v[14:15]
	v_mov_b32_e32 v7, s27
	v_add_co_u32_e32 v10, vcc, s26, v10
	v_addc_co_u32_e32 v11, vcc, v7, v11, vcc
	global_load_dwordx2 v[12:13], v[10:11], off glc
	s_waitcnt vmcnt(0)
	v_cmp_eq_u16_sdwa s[12:13], v13, v15 src0_sel:BYTE_0 src1_sel:DWORD
	s_and_saveexec_b64 s[10:11], s[12:13]
	s_cbranch_execz .LBB68_38
; %bb.33:
	s_mov_b32 s7, 1
	s_mov_b64 s[12:13], 0
	v_mov_b32_e32 v7, 0
.LBB68_34:                              ; =>This Loop Header: Depth=1
                                        ;     Child Loop BB68_35 Depth 2
	s_max_u32 s14, s7, 1
.LBB68_35:                              ;   Parent Loop BB68_34 Depth=1
                                        ; =>  This Inner Loop Header: Depth=2
	s_add_i32 s14, s14, -1
	s_cmp_eq_u32 s14, 0
	s_sleep 1
	s_cbranch_scc0 .LBB68_35
; %bb.36:                               ;   in Loop: Header=BB68_34 Depth=1
	global_load_dwordx2 v[12:13], v[10:11], off glc
	s_cmp_lt_u32 s7, 32
	s_cselect_b64 s[14:15], -1, 0
	s_cmp_lg_u64 s[14:15], 0
	s_addc_u32 s7, s7, 0
	s_waitcnt vmcnt(0)
	v_cmp_ne_u16_sdwa s[14:15], v13, v7 src0_sel:BYTE_0 src1_sel:DWORD
	s_or_b64 s[12:13], s[14:15], s[12:13]
	s_andn2_b64 exec, exec, s[12:13]
	s_cbranch_execnz .LBB68_34
; %bb.37:
	s_or_b64 exec, exec, s[12:13]
.LBB68_38:
	s_or_b64 exec, exec, s[10:11]
	v_and_b32_e32 v26, 63, v9
	v_mov_b32_e32 v7, 2
	v_cmp_ne_u32_e32 vcc, 63, v26
	v_cmp_eq_u16_sdwa s[10:11], v13, v7 src0_sel:BYTE_0 src1_sel:DWORD
	v_lshlrev_b64 v[10:11], v9, -1
	v_addc_co_u32_e32 v27, vcc, 0, v9, vcc
	v_and_b32_e32 v14, s11, v11
	v_lshlrev_b32_e32 v27, 2, v27
	v_or_b32_e32 v14, 0x80000000, v14
	ds_bpermute_b32 v28, v27, v12
	v_and_b32_e32 v15, s10, v10
	v_ffbl_b32_e32 v14, v14
	v_add_u32_e32 v14, 32, v14
	v_ffbl_b32_e32 v15, v15
	v_min_u32_e32 v14, v15, v14
	v_cmp_lt_u32_e32 vcc, v26, v14
	s_waitcnt lgkmcnt(0)
	v_cndmask_b32_e32 v15, 0, v28, vcc
	v_cmp_gt_u32_e32 vcc, 62, v26
	v_add_u32_e32 v12, v15, v12
	v_cndmask_b32_e64 v15, 0, 1, vcc
	v_lshlrev_b32_e32 v15, 1, v15
	v_add_lshl_u32 v28, v15, v9, 2
	ds_bpermute_b32 v15, v28, v12
	v_add_u32_e32 v29, 2, v26
	v_cmp_le_u32_e32 vcc, v29, v14
	v_add_u32_e32 v31, 4, v26
	v_add_u32_e32 v33, 8, v26
	s_waitcnt lgkmcnt(0)
	v_cndmask_b32_e32 v15, 0, v15, vcc
	v_cmp_gt_u32_e32 vcc, 60, v26
	v_add_u32_e32 v12, v12, v15
	v_cndmask_b32_e64 v15, 0, 1, vcc
	v_lshlrev_b32_e32 v15, 2, v15
	v_add_lshl_u32 v30, v15, v9, 2
	ds_bpermute_b32 v15, v30, v12
	v_cmp_le_u32_e32 vcc, v31, v14
	v_add_u32_e32 v36, 16, v26
	v_add_u32_e32 v38, 32, v26
	s_waitcnt lgkmcnt(0)
	v_cndmask_b32_e32 v15, 0, v15, vcc
	v_cmp_gt_u32_e32 vcc, 56, v26
	v_add_u32_e32 v12, v12, v15
	v_cndmask_b32_e64 v15, 0, 1, vcc
	v_lshlrev_b32_e32 v15, 3, v15
	v_add_lshl_u32 v32, v15, v9, 2
	ds_bpermute_b32 v15, v32, v12
	v_cmp_le_u32_e32 vcc, v33, v14
	s_waitcnt lgkmcnt(0)
	v_cndmask_b32_e32 v15, 0, v15, vcc
	v_cmp_gt_u32_e32 vcc, 48, v26
	v_add_u32_e32 v12, v12, v15
	v_cndmask_b32_e64 v15, 0, 1, vcc
	v_lshlrev_b32_e32 v15, 4, v15
	v_add_lshl_u32 v35, v15, v9, 2
	ds_bpermute_b32 v15, v35, v12
	v_cmp_le_u32_e32 vcc, v36, v14
	;; [unrolled: 9-line block ×3, first 2 shown]
	s_waitcnt lgkmcnt(0)
	v_cndmask_b32_e32 v9, 0, v9, vcc
	v_add_u32_e32 v12, v12, v9
	v_mov_b32_e32 v9, 0
	s_branch .LBB68_40
.LBB68_39:                              ;   in Loop: Header=BB68_40 Depth=1
	s_or_b64 exec, exec, s[10:11]
	v_cmp_eq_u16_sdwa s[10:11], v13, v7 src0_sel:BYTE_0 src1_sel:DWORD
	v_and_b32_e32 v14, s11, v11
	v_or_b32_e32 v14, 0x80000000, v14
	ds_bpermute_b32 v39, v27, v12
	v_and_b32_e32 v15, s10, v10
	v_ffbl_b32_e32 v14, v14
	v_add_u32_e32 v14, 32, v14
	v_ffbl_b32_e32 v15, v15
	v_min_u32_e32 v14, v15, v14
	v_cmp_lt_u32_e32 vcc, v26, v14
	s_waitcnt lgkmcnt(0)
	v_cndmask_b32_e32 v15, 0, v39, vcc
	v_add_u32_e32 v12, v15, v12
	ds_bpermute_b32 v15, v28, v12
	v_cmp_le_u32_e32 vcc, v29, v14
	v_subrev_u32_e32 v8, 64, v8
	s_waitcnt lgkmcnt(0)
	v_cndmask_b32_e32 v15, 0, v15, vcc
	v_add_u32_e32 v12, v12, v15
	ds_bpermute_b32 v15, v30, v12
	v_cmp_le_u32_e32 vcc, v31, v14
	s_waitcnt lgkmcnt(0)
	v_cndmask_b32_e32 v15, 0, v15, vcc
	v_add_u32_e32 v12, v12, v15
	ds_bpermute_b32 v15, v32, v12
	v_cmp_le_u32_e32 vcc, v33, v14
	s_waitcnt lgkmcnt(0)
	v_cndmask_b32_e32 v15, 0, v15, vcc
	v_add_u32_e32 v12, v12, v15
	ds_bpermute_b32 v15, v35, v12
	v_cmp_le_u32_e32 vcc, v36, v14
	s_waitcnt lgkmcnt(0)
	v_cndmask_b32_e32 v15, 0, v15, vcc
	v_add_u32_e32 v12, v12, v15
	ds_bpermute_b32 v15, v37, v12
	v_cmp_le_u32_e32 vcc, v38, v14
	s_waitcnt lgkmcnt(0)
	v_cndmask_b32_e32 v14, 0, v15, vcc
	v_add3_u32 v12, v14, v34, v12
.LBB68_40:                              ; =>This Loop Header: Depth=1
                                        ;     Child Loop BB68_43 Depth 2
                                        ;       Child Loop BB68_44 Depth 3
	v_cmp_ne_u16_sdwa s[10:11], v13, v7 src0_sel:BYTE_0 src1_sel:DWORD
	v_cndmask_b32_e64 v13, 0, 1, s[10:11]
	;;#ASMSTART
	;;#ASMEND
	v_cmp_ne_u32_e32 vcc, 0, v13
	s_cmp_lg_u64 vcc, exec
	v_mov_b32_e32 v34, v12
	s_cbranch_scc1 .LBB68_47
; %bb.41:                               ;   in Loop: Header=BB68_40 Depth=1
	v_lshlrev_b64 v[12:13], 3, v[8:9]
	v_mov_b32_e32 v15, s27
	v_add_co_u32_e32 v14, vcc, s26, v12
	v_addc_co_u32_e32 v15, vcc, v15, v13, vcc
	global_load_dwordx2 v[12:13], v[14:15], off glc
	s_waitcnt vmcnt(0)
	v_cmp_eq_u16_sdwa s[12:13], v13, v9 src0_sel:BYTE_0 src1_sel:DWORD
	s_and_saveexec_b64 s[10:11], s[12:13]
	s_cbranch_execz .LBB68_39
; %bb.42:                               ;   in Loop: Header=BB68_40 Depth=1
	s_mov_b32 s7, 1
	s_mov_b64 s[12:13], 0
.LBB68_43:                              ;   Parent Loop BB68_40 Depth=1
                                        ; =>  This Loop Header: Depth=2
                                        ;       Child Loop BB68_44 Depth 3
	s_max_u32 s14, s7, 1
.LBB68_44:                              ;   Parent Loop BB68_40 Depth=1
                                        ;     Parent Loop BB68_43 Depth=2
                                        ; =>    This Inner Loop Header: Depth=3
	s_add_i32 s14, s14, -1
	s_cmp_eq_u32 s14, 0
	s_sleep 1
	s_cbranch_scc0 .LBB68_44
; %bb.45:                               ;   in Loop: Header=BB68_43 Depth=2
	global_load_dwordx2 v[12:13], v[14:15], off glc
	s_cmp_lt_u32 s7, 32
	s_cselect_b64 s[14:15], -1, 0
	s_cmp_lg_u64 s[14:15], 0
	s_addc_u32 s7, s7, 0
	s_waitcnt vmcnt(0)
	v_cmp_ne_u16_sdwa s[14:15], v13, v9 src0_sel:BYTE_0 src1_sel:DWORD
	s_or_b64 s[12:13], s[14:15], s[12:13]
	s_andn2_b64 exec, exec, s[12:13]
	s_cbranch_execnz .LBB68_43
; %bb.46:                               ;   in Loop: Header=BB68_40 Depth=1
	s_or_b64 exec, exec, s[12:13]
	s_branch .LBB68_39
.LBB68_47:                              ;   in Loop: Header=BB68_40 Depth=1
                                        ; implicit-def: $vgpr12
                                        ; implicit-def: $vgpr13
	s_cbranch_execz .LBB68_40
; %bb.48:
	s_and_saveexec_b64 s[10:11], s[2:3]
	s_cbranch_execz .LBB68_50
; %bb.49:
	s_add_i32 s2, s6, 64
	s_mov_b32 s3, 0
	s_lshl_b64 s[2:3], s[2:3], 3
	s_add_u32 s2, s26, s2
	v_add_u32_e32 v6, v34, v6
	v_mov_b32_e32 v7, 2
	s_addc_u32 s3, s27, s3
	v_mov_b32_e32 v8, 0
	global_store_dwordx2 v8, v[6:7], s[2:3]
.LBB68_50:
	s_or_b64 exec, exec, s[10:11]
	s_and_b64 exec, exec, s[0:1]
	s_cbranch_execz .LBB68_52
; %bb.51:
	v_mov_b32_e32 v6, 0
	ds_write_b32 v6, v34
.LBB68_52:
	s_or_b64 exec, exec, s[8:9]
	v_mov_b32_e32 v6, 0
	s_waitcnt lgkmcnt(0)
	s_barrier
	ds_read_b32 v6, v6
	s_waitcnt lgkmcnt(0)
	v_add3_u32 v6, v25, v2, v6
	v_add_u32_e32 v7, v6, v3
	v_add_u32_e32 v8, v7, v4
	;; [unrolled: 1-line block ×9, first 2 shown]
	s_load_dwordx8 s[4:11], s[4:5], 0x38
	s_branch .LBB68_65
.LBB68_53:
                                        ; implicit-def: $vgpr6_vgpr7_vgpr8_vgpr9_vgpr10_vgpr11_vgpr12_vgpr13_vgpr14_vgpr15
	s_load_dwordx8 s[4:11], s[4:5], 0x38
	s_cbranch_execz .LBB68_65
; %bb.54:
	s_waitcnt lgkmcnt(0)
	s_cmp_lg_u64 s[8:9], 0
	s_cselect_b64 s[2:3], -1, 0
	v_cmp_eq_u32_e64 s[0:1], 0, v0
	v_cmp_ne_u32_e32 vcc, 0, v0
	s_and_b64 s[8:9], s[0:1], s[2:3]
	v_mov_b32_e32 v12, v3
	v_mov_b32_e32 v13, v4
	;; [unrolled: 1-line block ×3, first 2 shown]
	s_and_saveexec_b64 s[2:3], s[8:9]
	s_cbranch_execz .LBB68_56
; %bb.55:
	v_mov_b32_e32 v6, 0
	global_load_dword v6, v6, s[4:5]
	v_mov_b32_e32 v12, v3
	v_mov_b32_e32 v13, v4
	;; [unrolled: 1-line block ×3, first 2 shown]
	s_waitcnt vmcnt(0)
	v_add_u32_e32 v2, v6, v2
.LBB68_56:
	s_or_b64 exec, exec, s[2:3]
	v_add_u32_e32 v3, v12, v2
	v_add_u32_e32 v4, v3, v13
	;; [unrolled: 1-line block ×9, first 2 shown]
	v_add_lshl_u32 v15, v24, v0, 2
	v_cmp_gt_u32_e64 s[2:3], 64, v0
	ds_write_b32 v15, v11
	s_waitcnt lgkmcnt(0)
	s_barrier
	s_and_saveexec_b64 s[4:5], s[2:3]
	s_cbranch_execz .LBB68_58
; %bb.57:
	v_lshlrev_b32_e32 v15, 1, v0
	v_lshrrev_b32_e32 v24, 4, v0
	v_add_lshl_u32 v15, v24, v15, 2
	ds_read2_b32 v[24:25], v15 offset1:1
	v_mbcnt_lo_u32_b32 v26, -1, 0
	v_mbcnt_hi_u32_b32 v26, -1, v26
	v_and_b32_e32 v27, 15, v26
	v_cmp_ne_u32_e64 s[2:3], 0, v27
	s_waitcnt lgkmcnt(0)
	v_add_u32_e32 v25, v25, v24
	; wave barrier
	s_nop 1
	v_mov_b32_dpp v28, v25 row_shr:1 row_mask:0xf bank_mask:0xf
	v_cndmask_b32_e64 v28, 0, v28, s[2:3]
	v_add_u32_e32 v25, v28, v25
	v_cmp_lt_u32_e64 s[2:3], 1, v27
	s_nop 0
	v_mov_b32_dpp v28, v25 row_shr:2 row_mask:0xf bank_mask:0xf
	v_cndmask_b32_e64 v28, 0, v28, s[2:3]
	v_add_u32_e32 v25, v25, v28
	v_cmp_lt_u32_e64 s[2:3], 3, v27
	s_nop 0
	v_mov_b32_dpp v28, v25 row_shr:4 row_mask:0xf bank_mask:0xf
	v_cndmask_b32_e64 v28, 0, v28, s[2:3]
	v_add_u32_e32 v25, v25, v28
	v_cmp_lt_u32_e64 s[2:3], 7, v27
	s_nop 0
	v_mov_b32_dpp v28, v25 row_shr:8 row_mask:0xf bank_mask:0xf
	v_cndmask_b32_e64 v27, 0, v28, s[2:3]
	v_add_u32_e32 v25, v25, v27
	v_bfe_i32 v28, v26, 4, 1
	v_cmp_lt_u32_e64 s[2:3], 31, v26
	v_mov_b32_dpp v27, v25 row_bcast:15 row_mask:0xf bank_mask:0xf
	v_and_b32_e32 v27, v28, v27
	v_add_u32_e32 v25, v25, v27
	v_and_b32_e32 v28, 64, v26
	s_nop 0
	v_mov_b32_dpp v27, v25 row_bcast:31 row_mask:0xf bank_mask:0xf
	v_cndmask_b32_e64 v27, 0, v27, s[2:3]
	v_add_u32_e32 v25, v25, v27
	v_add_u32_e32 v27, -1, v26
	v_cmp_lt_i32_e64 s[2:3], v27, v28
	v_cndmask_b32_e64 v26, v27, v26, s[2:3]
	v_lshlrev_b32_e32 v26, 2, v26
	ds_bpermute_b32 v25, v26, v25
	s_waitcnt lgkmcnt(0)
	v_add_u32_e32 v24, v25, v24
	v_cndmask_b32_e64 v24, v24, v11, s[0:1]
	ds_write_b32 v15, v24
	; wave barrier
	ds_read_b32 v25, v15 offset:4
	s_waitcnt lgkmcnt(0)
	v_add_u32_e32 v24, v25, v24
	ds_write_b32 v15, v24 offset:4
.LBB68_58:
	s_or_b64 exec, exec, s[4:5]
	v_mov_b32_e32 v15, v11
	s_waitcnt lgkmcnt(0)
	s_barrier
	s_and_saveexec_b64 s[0:1], vcc
	s_cbranch_execz .LBB68_60
; %bb.59:
	v_add_u32_e32 v15, -1, v0
	v_lshrrev_b32_e32 v24, 5, v15
	v_add_lshl_u32 v15, v24, v15, 2
	ds_read_b32 v15, v15
.LBB68_60:
	s_or_b64 exec, exec, s[0:1]
	s_and_saveexec_b64 s[0:1], vcc
	s_cbranch_execz .LBB68_62
; %bb.61:
	s_waitcnt lgkmcnt(0)
	v_add_u32_e32 v2, v15, v2
	v_add_u32_e32 v3, v2, v12
	v_add_u32_e32 v4, v3, v13
	v_add_u32_e32 v5, v4, v14
	v_add_u32_e32 v6, v5, v16
	v_add_u32_e32 v7, v6, v17
	v_add_u32_e32 v8, v7, v18
	v_add_u32_e32 v9, v8, v19
	v_add_u32_e32 v10, v9, v20
	v_add_u32_e32 v11, v10, v21
	;;#ASMSTART
	;;#ASMEND
.LBB68_62:
	s_or_b64 exec, exec, s[0:1]
	s_movk_i32 s0, 0x7f
	v_cmp_eq_u32_e32 vcc, s0, v0
	s_and_saveexec_b64 s[0:1], vcc
	s_cbranch_execz .LBB68_64
; %bb.63:
	v_mov_b32_e32 v14, 0
	v_mov_b32_e32 v13, 2
	;; [unrolled: 1-line block ×3, first 2 shown]
	global_store_dwordx2 v14, v[12:13], s[26:27] offset:512
.LBB68_64:
	s_or_b64 exec, exec, s[0:1]
	s_waitcnt lgkmcnt(0)
	v_pk_mov_b32 v[14:15], v[10:11], v[10:11] op_sel:[0,1]
	v_pk_mov_b32 v[12:13], v[8:9], v[8:9] op_sel:[0,1]
	;; [unrolled: 1-line block ×5, first 2 shown]
.LBB68_65:
	s_add_u32 s0, s20, s18
	s_addc_u32 s1, s21, s19
	s_add_u32 s0, s0, s24
	s_addc_u32 s1, s1, s25
	s_mov_b64 s[2:3], -1
	s_and_b64 vcc, exec, s[22:23]
	s_waitcnt lgkmcnt(0)
	s_barrier
	s_cbranch_vccz .LBB68_67
; %bb.66:
	ds_write2_b64 v1, v[6:7], v[8:9] offset1:1
	ds_write2_b64 v1, v[10:11], v[12:13] offset0:2 offset1:3
	ds_write_b64 v1, v[14:15] offset:32
	s_waitcnt lgkmcnt(0)
	s_barrier
	ds_read2st64_b32 v[2:3], v22 offset1:2
	ds_read2st64_b32 v[4:5], v22 offset0:4 offset1:6
	ds_read2st64_b32 v[16:17], v22 offset0:8 offset1:10
	;; [unrolled: 1-line block ×4, first 2 shown]
	v_mov_b32_e32 v24, s1
	v_add_co_u32_e32 v25, vcc, s0, v22
	v_addc_co_u32_e32 v24, vcc, 0, v24, vcc
	s_waitcnt lgkmcnt(4)
	global_store_dword v22, v2, s[0:1]
	global_store_dword v22, v3, s[0:1] offset:512
	s_waitcnt lgkmcnt(3)
	global_store_dword v22, v4, s[0:1] offset:1024
	global_store_dword v22, v5, s[0:1] offset:1536
	s_waitcnt lgkmcnt(2)
	global_store_dword v22, v16, s[0:1] offset:2048
	;; [unrolled: 3-line block ×3, first 2 shown]
	global_store_dword v22, v19, s[0:1] offset:3584
	v_add_co_u32_e32 v2, vcc, 0x1000, v25
	v_addc_co_u32_e32 v3, vcc, 0, v24, vcc
	s_waitcnt lgkmcnt(0)
	global_store_dword v[2:3], v20, off
	global_store_dword v[2:3], v21, off offset:512
	s_mov_b64 s[2:3], 0
.LBB68_67:
	s_andn2_b64 vcc, exec, s[2:3]
	s_cbranch_vccnz .LBB68_123
; %bb.68:
	ds_write2_b64 v1, v[6:7], v[8:9] offset1:1
	ds_write2_b64 v1, v[10:11], v[12:13] offset0:2 offset1:3
	ds_write_b64 v1, v[14:15] offset:32
	s_waitcnt lgkmcnt(0)
	s_barrier
	ds_read2st64_b32 v[2:3], v22 offset1:2
	ds_read2st64_b32 v[6:7], v22 offset0:4 offset1:6
	ds_read2st64_b32 v[4:5], v22 offset0:8 offset1:10
	;; [unrolled: 1-line block ×4, first 2 shown]
	v_mov_b32_e32 v13, s1
	v_add_co_u32_e32 v12, vcc, s0, v22
	v_addc_co_u32_e32 v13, vcc, 0, v13, vcc
	v_mov_b32_e32 v1, 0
	v_cmp_gt_u32_e32 vcc, s30, v0
	s_and_saveexec_b64 s[0:1], vcc
	s_cbranch_execz .LBB68_70
; %bb.69:
	s_waitcnt lgkmcnt(4)
	global_store_dword v[12:13], v2, off
.LBB68_70:
	s_or_b64 exec, exec, s[0:1]
	v_or_b32_e32 v14, 0x80, v0
	v_cmp_gt_u32_e32 vcc, s30, v14
	s_and_saveexec_b64 s[0:1], vcc
	s_cbranch_execz .LBB68_72
; %bb.71:
	s_waitcnt lgkmcnt(4)
	global_store_dword v[12:13], v3, off offset:512
.LBB68_72:
	s_or_b64 exec, exec, s[0:1]
	v_or_b32_e32 v14, 0x100, v0
	v_cmp_gt_u32_e32 vcc, s30, v14
	s_and_saveexec_b64 s[0:1], vcc
	s_cbranch_execz .LBB68_74
; %bb.73:
	s_waitcnt lgkmcnt(3)
	global_store_dword v[12:13], v6, off offset:1024
.LBB68_74:
	;; [unrolled: 9-line block ×7, first 2 shown]
	s_or_b64 exec, exec, s[0:1]
	v_or_b32_e32 v14, 0x400, v0
	v_cmp_gt_u32_e32 vcc, s30, v14
	s_and_saveexec_b64 s[0:1], vcc
	s_cbranch_execz .LBB68_86
; %bb.85:
	v_add_co_u32_e32 v14, vcc, 0x1000, v12
	v_addc_co_u32_e32 v15, vcc, 0, v13, vcc
	s_waitcnt lgkmcnt(0)
	global_store_dword v[14:15], v10, off
.LBB68_86:
	s_or_b64 exec, exec, s[0:1]
	v_or_b32_e32 v14, 0x480, v0
	v_cmp_gt_u32_e32 vcc, s30, v14
	s_and_saveexec_b64 s[0:1], vcc
	s_cbranch_execz .LBB68_88
; %bb.87:
	v_add_co_u32_e32 v12, vcc, 0x1000, v12
	v_addc_co_u32_e32 v13, vcc, 0, v13, vcc
	s_waitcnt lgkmcnt(0)
	global_store_dword v[12:13], v11, off offset:512
.LBB68_88:
	s_or_b64 exec, exec, s[0:1]
	v_cmp_lt_u64_e64 s[0:1], s[10:11], 2
	s_and_b64 vcc, exec, s[0:1]
	s_cbranch_vccnz .LBB68_123
; %bb.89:
	s_add_u32 s0, s30, -1
	s_addc_u32 s1, s31, -1
	s_add_u32 s2, 0, 0x99986000
	s_addc_u32 s3, 0, 0x59
	s_add_i32 s3, s3, 0x19999940
	s_mul_hi_u32 s9, s2, -10
	s_sub_i32 s9, s9, s2
	s_mul_i32 s10, s3, -10
	s_mul_i32 s4, s2, -10
	s_add_i32 s9, s9, s10
	s_mul_hi_u32 s5, s3, s4
	s_mul_i32 s8, s3, s4
	s_mul_i32 s11, s2, s9
	s_mul_hi_u32 s4, s2, s4
	s_mul_hi_u32 s10, s2, s9
	s_add_u32 s4, s4, s11
	s_addc_u32 s10, 0, s10
	s_add_u32 s4, s4, s8
	s_mul_hi_u32 s11, s3, s9
	s_addc_u32 s4, s10, s5
	s_addc_u32 s5, s11, 0
	s_mul_i32 s8, s3, s9
	s_add_u32 s4, s4, s8
	v_mov_b32_e32 v12, s4
	s_addc_u32 s5, 0, s5
	v_add_co_u32_e32 v12, vcc, s2, v12
	s_cmp_lg_u64 vcc, 0
	s_addc_u32 s2, s3, s5
	v_readfirstlane_b32 s5, v12
	s_mul_i32 s4, s0, s2
	s_mul_hi_u32 s8, s0, s5
	s_mul_hi_u32 s3, s0, s2
	s_add_u32 s4, s8, s4
	s_addc_u32 s3, 0, s3
	s_mul_hi_u32 s9, s1, s5
	s_mul_i32 s5, s1, s5
	s_add_u32 s4, s4, s5
	s_mul_hi_u32 s8, s1, s2
	s_addc_u32 s3, s3, s9
	s_addc_u32 s4, s8, 0
	s_mul_i32 s2, s1, s2
	s_add_u32 s2, s3, s2
	s_addc_u32 s3, 0, s4
	s_add_u32 s4, s2, 1
	s_addc_u32 s5, s3, 0
	s_add_u32 s8, s2, 2
	s_mul_i32 s10, s3, 10
	s_mul_hi_u32 s11, s2, 10
	s_addc_u32 s9, s3, 0
	s_add_i32 s11, s11, s10
	s_mul_i32 s10, s2, 10
	v_mov_b32_e32 v12, s10
	v_sub_co_u32_e32 v12, vcc, s0, v12
	s_cmp_lg_u64 vcc, 0
	s_subb_u32 s10, s1, s11
	v_subrev_co_u32_e32 v13, vcc, 10, v12
	s_cmp_lg_u64 vcc, 0
	s_subb_u32 s11, s10, 0
	v_readfirstlane_b32 s12, v13
	s_cmp_gt_u32 s12, 9
	s_cselect_b32 s12, -1, 0
	s_cmp_eq_u32 s11, 0
	s_cselect_b32 s11, s12, -1
	s_cmp_lg_u32 s11, 0
	s_cselect_b32 s4, s8, s4
	v_readfirstlane_b32 s8, v12
	s_cselect_b32 s5, s9, s5
	s_cmp_gt_u32 s8, 9
	s_cselect_b32 s8, -1, 0
	s_cmp_eq_u32 s10, 0
	s_cselect_b32 s8, s8, -1
	s_cmp_lg_u32 s8, 0
	s_cselect_b32 s3, s5, s3
	s_cselect_b32 s2, s4, s2
	v_cmp_eq_u64_e32 vcc, s[2:3], v[0:1]
	s_and_saveexec_b64 s[2:3], vcc
	s_cbranch_execz .LBB68_123
; %bb.90:
	v_mul_hi_u32_u24_e32 v1, 10, v0
	v_mov_b32_e32 v12, s1
	v_sub_co_u32_e32 v0, vcc, s0, v23
	v_subb_co_u32_e32 v1, vcc, v12, v1, vcc
	v_cmp_lt_i64_e32 vcc, 4, v[0:1]
	s_and_saveexec_b64 s[0:1], vcc
	s_xor_b64 s[0:1], exec, s[0:1]
	s_cbranch_execz .LBB68_108
; %bb.91:
	v_cmp_lt_i64_e32 vcc, 6, v[0:1]
	s_and_saveexec_b64 s[2:3], vcc
	s_xor_b64 s[2:3], exec, s[2:3]
	s_cbranch_execz .LBB68_101
; %bb.92:
	;; [unrolled: 5-line block ×4, first 2 shown]
	v_mov_b32_e32 v0, 0
	s_waitcnt lgkmcnt(0)
	global_store_dword v0, v11, s[6:7]
                                        ; implicit-def: $vgpr10_vgpr11
.LBB68_95:
	s_andn2_saveexec_b64 s[8:9], s[8:9]
	s_cbranch_execz .LBB68_97
; %bb.96:
	v_mov_b32_e32 v0, 0
	s_waitcnt lgkmcnt(0)
	global_store_dword v0, v10, s[6:7]
.LBB68_97:
	s_or_b64 exec, exec, s[8:9]
                                        ; implicit-def: $vgpr8_vgpr9
.LBB68_98:
	s_andn2_saveexec_b64 s[4:5], s[4:5]
	s_cbranch_execz .LBB68_100
; %bb.99:
	v_mov_b32_e32 v0, 0
	s_waitcnt lgkmcnt(1)
	global_store_dword v0, v9, s[6:7]
.LBB68_100:
	s_or_b64 exec, exec, s[4:5]
                                        ; implicit-def: $vgpr4_vgpr5
                                        ; implicit-def: $vgpr0_vgpr1
                                        ; implicit-def: $vgpr8_vgpr9
.LBB68_101:
	s_andn2_saveexec_b64 s[2:3], s[2:3]
	s_cbranch_execz .LBB68_107
; %bb.102:
	v_cmp_lt_i64_e32 vcc, 5, v[0:1]
	s_and_saveexec_b64 s[4:5], vcc
	s_xor_b64 s[4:5], exec, s[4:5]
	s_cbranch_execz .LBB68_104
; %bb.103:
	v_mov_b32_e32 v0, 0
	s_waitcnt lgkmcnt(1)
	global_store_dword v0, v8, s[6:7]
                                        ; implicit-def: $vgpr4_vgpr5
.LBB68_104:
	s_andn2_saveexec_b64 s[4:5], s[4:5]
	s_cbranch_execz .LBB68_106
; %bb.105:
	v_mov_b32_e32 v0, 0
	s_waitcnt lgkmcnt(2)
	global_store_dword v0, v5, s[6:7]
.LBB68_106:
	s_or_b64 exec, exec, s[4:5]
.LBB68_107:
	s_or_b64 exec, exec, s[2:3]
                                        ; implicit-def: $vgpr0_vgpr1
                                        ; implicit-def: $vgpr6_vgpr7
                                        ; implicit-def: $vgpr2_vgpr3
                                        ; implicit-def: $vgpr4_vgpr5
.LBB68_108:
	s_andn2_saveexec_b64 s[0:1], s[0:1]
	s_cbranch_execz .LBB68_123
; %bb.109:
	v_cmp_lt_i64_e32 vcc, 2, v[0:1]
	s_and_saveexec_b64 s[0:1], vcc
	s_xor_b64 s[0:1], exec, s[0:1]
	s_cbranch_execz .LBB68_115
; %bb.110:
	v_cmp_lt_i64_e32 vcc, 3, v[0:1]
	s_and_saveexec_b64 s[2:3], vcc
	s_xor_b64 s[2:3], exec, s[2:3]
	s_cbranch_execz .LBB68_112
; %bb.111:
	v_mov_b32_e32 v0, 0
	s_waitcnt lgkmcnt(2)
	global_store_dword v0, v4, s[6:7]
                                        ; implicit-def: $vgpr6_vgpr7
.LBB68_112:
	s_andn2_saveexec_b64 s[2:3], s[2:3]
	s_cbranch_execz .LBB68_114
; %bb.113:
	v_mov_b32_e32 v0, 0
	s_waitcnt lgkmcnt(3)
	global_store_dword v0, v7, s[6:7]
.LBB68_114:
	s_or_b64 exec, exec, s[2:3]
                                        ; implicit-def: $vgpr0_vgpr1
                                        ; implicit-def: $vgpr6_vgpr7
                                        ; implicit-def: $vgpr2_vgpr3
.LBB68_115:
	s_andn2_saveexec_b64 s[0:1], s[0:1]
	s_cbranch_execz .LBB68_123
; %bb.116:
	v_cmp_lt_i64_e32 vcc, 1, v[0:1]
	s_and_saveexec_b64 s[0:1], vcc
	s_xor_b64 s[0:1], exec, s[0:1]
	s_cbranch_execz .LBB68_118
; %bb.117:
	v_mov_b32_e32 v0, 0
	s_waitcnt lgkmcnt(3)
	global_store_dword v0, v6, s[6:7]
                                        ; implicit-def: $vgpr2_vgpr3
                                        ; implicit-def: $vgpr0_vgpr1
.LBB68_118:
	s_andn2_saveexec_b64 s[0:1], s[0:1]
	s_cbranch_execz .LBB68_123
; %bb.119:
	v_cmp_ne_u64_e32 vcc, 1, v[0:1]
	s_and_saveexec_b64 s[0:1], vcc
	s_xor_b64 s[0:1], exec, s[0:1]
	s_cbranch_execz .LBB68_121
; %bb.120:
	v_mov_b32_e32 v0, 0
	s_waitcnt lgkmcnt(4)
	global_store_dword v0, v2, s[6:7]
                                        ; implicit-def: $vgpr2_vgpr3
.LBB68_121:
	s_andn2_saveexec_b64 s[0:1], s[0:1]
	s_cbranch_execz .LBB68_123
; %bb.122:
	v_mov_b32_e32 v0, 0
	s_waitcnt lgkmcnt(4)
	global_store_dword v0, v3, s[6:7]
.LBB68_123:
	s_endpgm
	.section	.rodata,"a",@progbits
	.p2align	6, 0x0
	.amdhsa_kernel _ZN7rocprim17ROCPRIM_400000_NS6detail17trampoline_kernelINS0_14default_configENS1_20scan_config_selectorIiEEZZNS1_9scan_implILNS1_25lookback_scan_determinismE0ELb0ELb0ES3_PiS8_iN6thrust23THRUST_200600_302600_NS4plusIvEEiEEDaPvRmT3_T4_T5_mT6_P12ihipStream_tbENKUlT_T0_E_clISt17integral_constantIbLb1EESP_IbLb0EEEEDaSL_SM_EUlSL_E_NS1_11comp_targetILNS1_3genE4ELNS1_11target_archE910ELNS1_3gpuE8ELNS1_3repE0EEENS1_30default_config_static_selectorELNS0_4arch9wavefront6targetE1EEEvT1_
		.amdhsa_group_segment_fixed_size 5120
		.amdhsa_private_segment_fixed_size 0
		.amdhsa_kernarg_size 96
		.amdhsa_user_sgpr_count 6
		.amdhsa_user_sgpr_private_segment_buffer 1
		.amdhsa_user_sgpr_dispatch_ptr 0
		.amdhsa_user_sgpr_queue_ptr 0
		.amdhsa_user_sgpr_kernarg_segment_ptr 1
		.amdhsa_user_sgpr_dispatch_id 0
		.amdhsa_user_sgpr_flat_scratch_init 0
		.amdhsa_user_sgpr_kernarg_preload_length 0
		.amdhsa_user_sgpr_kernarg_preload_offset 0
		.amdhsa_user_sgpr_private_segment_size 0
		.amdhsa_uses_dynamic_stack 0
		.amdhsa_system_sgpr_private_segment_wavefront_offset 0
		.amdhsa_system_sgpr_workgroup_id_x 1
		.amdhsa_system_sgpr_workgroup_id_y 0
		.amdhsa_system_sgpr_workgroup_id_z 0
		.amdhsa_system_sgpr_workgroup_info 0
		.amdhsa_system_vgpr_workitem_id 0
		.amdhsa_next_free_vgpr 40
		.amdhsa_next_free_sgpr 32
		.amdhsa_accum_offset 40
		.amdhsa_reserve_vcc 1
		.amdhsa_reserve_flat_scratch 0
		.amdhsa_float_round_mode_32 0
		.amdhsa_float_round_mode_16_64 0
		.amdhsa_float_denorm_mode_32 3
		.amdhsa_float_denorm_mode_16_64 3
		.amdhsa_dx10_clamp 1
		.amdhsa_ieee_mode 1
		.amdhsa_fp16_overflow 0
		.amdhsa_tg_split 0
		.amdhsa_exception_fp_ieee_invalid_op 0
		.amdhsa_exception_fp_denorm_src 0
		.amdhsa_exception_fp_ieee_div_zero 0
		.amdhsa_exception_fp_ieee_overflow 0
		.amdhsa_exception_fp_ieee_underflow 0
		.amdhsa_exception_fp_ieee_inexact 0
		.amdhsa_exception_int_div_zero 0
	.end_amdhsa_kernel
	.section	.text._ZN7rocprim17ROCPRIM_400000_NS6detail17trampoline_kernelINS0_14default_configENS1_20scan_config_selectorIiEEZZNS1_9scan_implILNS1_25lookback_scan_determinismE0ELb0ELb0ES3_PiS8_iN6thrust23THRUST_200600_302600_NS4plusIvEEiEEDaPvRmT3_T4_T5_mT6_P12ihipStream_tbENKUlT_T0_E_clISt17integral_constantIbLb1EESP_IbLb0EEEEDaSL_SM_EUlSL_E_NS1_11comp_targetILNS1_3genE4ELNS1_11target_archE910ELNS1_3gpuE8ELNS1_3repE0EEENS1_30default_config_static_selectorELNS0_4arch9wavefront6targetE1EEEvT1_,"axG",@progbits,_ZN7rocprim17ROCPRIM_400000_NS6detail17trampoline_kernelINS0_14default_configENS1_20scan_config_selectorIiEEZZNS1_9scan_implILNS1_25lookback_scan_determinismE0ELb0ELb0ES3_PiS8_iN6thrust23THRUST_200600_302600_NS4plusIvEEiEEDaPvRmT3_T4_T5_mT6_P12ihipStream_tbENKUlT_T0_E_clISt17integral_constantIbLb1EESP_IbLb0EEEEDaSL_SM_EUlSL_E_NS1_11comp_targetILNS1_3genE4ELNS1_11target_archE910ELNS1_3gpuE8ELNS1_3repE0EEENS1_30default_config_static_selectorELNS0_4arch9wavefront6targetE1EEEvT1_,comdat
.Lfunc_end68:
	.size	_ZN7rocprim17ROCPRIM_400000_NS6detail17trampoline_kernelINS0_14default_configENS1_20scan_config_selectorIiEEZZNS1_9scan_implILNS1_25lookback_scan_determinismE0ELb0ELb0ES3_PiS8_iN6thrust23THRUST_200600_302600_NS4plusIvEEiEEDaPvRmT3_T4_T5_mT6_P12ihipStream_tbENKUlT_T0_E_clISt17integral_constantIbLb1EESP_IbLb0EEEEDaSL_SM_EUlSL_E_NS1_11comp_targetILNS1_3genE4ELNS1_11target_archE910ELNS1_3gpuE8ELNS1_3repE0EEENS1_30default_config_static_selectorELNS0_4arch9wavefront6targetE1EEEvT1_, .Lfunc_end68-_ZN7rocprim17ROCPRIM_400000_NS6detail17trampoline_kernelINS0_14default_configENS1_20scan_config_selectorIiEEZZNS1_9scan_implILNS1_25lookback_scan_determinismE0ELb0ELb0ES3_PiS8_iN6thrust23THRUST_200600_302600_NS4plusIvEEiEEDaPvRmT3_T4_T5_mT6_P12ihipStream_tbENKUlT_T0_E_clISt17integral_constantIbLb1EESP_IbLb0EEEEDaSL_SM_EUlSL_E_NS1_11comp_targetILNS1_3genE4ELNS1_11target_archE910ELNS1_3gpuE8ELNS1_3repE0EEENS1_30default_config_static_selectorELNS0_4arch9wavefront6targetE1EEEvT1_
                                        ; -- End function
	.section	.AMDGPU.csdata,"",@progbits
; Kernel info:
; codeLenInByte = 4588
; NumSgprs: 36
; NumVgprs: 40
; NumAgprs: 0
; TotalNumVgprs: 40
; ScratchSize: 0
; MemoryBound: 0
; FloatMode: 240
; IeeeMode: 1
; LDSByteSize: 5120 bytes/workgroup (compile time only)
; SGPRBlocks: 4
; VGPRBlocks: 4
; NumSGPRsForWavesPerEU: 36
; NumVGPRsForWavesPerEU: 40
; AccumOffset: 40
; Occupancy: 6
; WaveLimiterHint : 1
; COMPUTE_PGM_RSRC2:SCRATCH_EN: 0
; COMPUTE_PGM_RSRC2:USER_SGPR: 6
; COMPUTE_PGM_RSRC2:TRAP_HANDLER: 0
; COMPUTE_PGM_RSRC2:TGID_X_EN: 1
; COMPUTE_PGM_RSRC2:TGID_Y_EN: 0
; COMPUTE_PGM_RSRC2:TGID_Z_EN: 0
; COMPUTE_PGM_RSRC2:TIDIG_COMP_CNT: 0
; COMPUTE_PGM_RSRC3_GFX90A:ACCUM_OFFSET: 9
; COMPUTE_PGM_RSRC3_GFX90A:TG_SPLIT: 0
	.section	.text._ZN7rocprim17ROCPRIM_400000_NS6detail17trampoline_kernelINS0_14default_configENS1_20scan_config_selectorIiEEZZNS1_9scan_implILNS1_25lookback_scan_determinismE0ELb0ELb0ES3_PiS8_iN6thrust23THRUST_200600_302600_NS4plusIvEEiEEDaPvRmT3_T4_T5_mT6_P12ihipStream_tbENKUlT_T0_E_clISt17integral_constantIbLb1EESP_IbLb0EEEEDaSL_SM_EUlSL_E_NS1_11comp_targetILNS1_3genE3ELNS1_11target_archE908ELNS1_3gpuE7ELNS1_3repE0EEENS1_30default_config_static_selectorELNS0_4arch9wavefront6targetE1EEEvT1_,"axG",@progbits,_ZN7rocprim17ROCPRIM_400000_NS6detail17trampoline_kernelINS0_14default_configENS1_20scan_config_selectorIiEEZZNS1_9scan_implILNS1_25lookback_scan_determinismE0ELb0ELb0ES3_PiS8_iN6thrust23THRUST_200600_302600_NS4plusIvEEiEEDaPvRmT3_T4_T5_mT6_P12ihipStream_tbENKUlT_T0_E_clISt17integral_constantIbLb1EESP_IbLb0EEEEDaSL_SM_EUlSL_E_NS1_11comp_targetILNS1_3genE3ELNS1_11target_archE908ELNS1_3gpuE7ELNS1_3repE0EEENS1_30default_config_static_selectorELNS0_4arch9wavefront6targetE1EEEvT1_,comdat
	.protected	_ZN7rocprim17ROCPRIM_400000_NS6detail17trampoline_kernelINS0_14default_configENS1_20scan_config_selectorIiEEZZNS1_9scan_implILNS1_25lookback_scan_determinismE0ELb0ELb0ES3_PiS8_iN6thrust23THRUST_200600_302600_NS4plusIvEEiEEDaPvRmT3_T4_T5_mT6_P12ihipStream_tbENKUlT_T0_E_clISt17integral_constantIbLb1EESP_IbLb0EEEEDaSL_SM_EUlSL_E_NS1_11comp_targetILNS1_3genE3ELNS1_11target_archE908ELNS1_3gpuE7ELNS1_3repE0EEENS1_30default_config_static_selectorELNS0_4arch9wavefront6targetE1EEEvT1_ ; -- Begin function _ZN7rocprim17ROCPRIM_400000_NS6detail17trampoline_kernelINS0_14default_configENS1_20scan_config_selectorIiEEZZNS1_9scan_implILNS1_25lookback_scan_determinismE0ELb0ELb0ES3_PiS8_iN6thrust23THRUST_200600_302600_NS4plusIvEEiEEDaPvRmT3_T4_T5_mT6_P12ihipStream_tbENKUlT_T0_E_clISt17integral_constantIbLb1EESP_IbLb0EEEEDaSL_SM_EUlSL_E_NS1_11comp_targetILNS1_3genE3ELNS1_11target_archE908ELNS1_3gpuE7ELNS1_3repE0EEENS1_30default_config_static_selectorELNS0_4arch9wavefront6targetE1EEEvT1_
	.globl	_ZN7rocprim17ROCPRIM_400000_NS6detail17trampoline_kernelINS0_14default_configENS1_20scan_config_selectorIiEEZZNS1_9scan_implILNS1_25lookback_scan_determinismE0ELb0ELb0ES3_PiS8_iN6thrust23THRUST_200600_302600_NS4plusIvEEiEEDaPvRmT3_T4_T5_mT6_P12ihipStream_tbENKUlT_T0_E_clISt17integral_constantIbLb1EESP_IbLb0EEEEDaSL_SM_EUlSL_E_NS1_11comp_targetILNS1_3genE3ELNS1_11target_archE908ELNS1_3gpuE7ELNS1_3repE0EEENS1_30default_config_static_selectorELNS0_4arch9wavefront6targetE1EEEvT1_
	.p2align	8
	.type	_ZN7rocprim17ROCPRIM_400000_NS6detail17trampoline_kernelINS0_14default_configENS1_20scan_config_selectorIiEEZZNS1_9scan_implILNS1_25lookback_scan_determinismE0ELb0ELb0ES3_PiS8_iN6thrust23THRUST_200600_302600_NS4plusIvEEiEEDaPvRmT3_T4_T5_mT6_P12ihipStream_tbENKUlT_T0_E_clISt17integral_constantIbLb1EESP_IbLb0EEEEDaSL_SM_EUlSL_E_NS1_11comp_targetILNS1_3genE3ELNS1_11target_archE908ELNS1_3gpuE7ELNS1_3repE0EEENS1_30default_config_static_selectorELNS0_4arch9wavefront6targetE1EEEvT1_,@function
_ZN7rocprim17ROCPRIM_400000_NS6detail17trampoline_kernelINS0_14default_configENS1_20scan_config_selectorIiEEZZNS1_9scan_implILNS1_25lookback_scan_determinismE0ELb0ELb0ES3_PiS8_iN6thrust23THRUST_200600_302600_NS4plusIvEEiEEDaPvRmT3_T4_T5_mT6_P12ihipStream_tbENKUlT_T0_E_clISt17integral_constantIbLb1EESP_IbLb0EEEEDaSL_SM_EUlSL_E_NS1_11comp_targetILNS1_3genE3ELNS1_11target_archE908ELNS1_3gpuE7ELNS1_3repE0EEENS1_30default_config_static_selectorELNS0_4arch9wavefront6targetE1EEEvT1_: ; @_ZN7rocprim17ROCPRIM_400000_NS6detail17trampoline_kernelINS0_14default_configENS1_20scan_config_selectorIiEEZZNS1_9scan_implILNS1_25lookback_scan_determinismE0ELb0ELb0ES3_PiS8_iN6thrust23THRUST_200600_302600_NS4plusIvEEiEEDaPvRmT3_T4_T5_mT6_P12ihipStream_tbENKUlT_T0_E_clISt17integral_constantIbLb1EESP_IbLb0EEEEDaSL_SM_EUlSL_E_NS1_11comp_targetILNS1_3genE3ELNS1_11target_archE908ELNS1_3gpuE7ELNS1_3repE0EEENS1_30default_config_static_selectorELNS0_4arch9wavefront6targetE1EEEvT1_
; %bb.0:
	.section	.rodata,"a",@progbits
	.p2align	6, 0x0
	.amdhsa_kernel _ZN7rocprim17ROCPRIM_400000_NS6detail17trampoline_kernelINS0_14default_configENS1_20scan_config_selectorIiEEZZNS1_9scan_implILNS1_25lookback_scan_determinismE0ELb0ELb0ES3_PiS8_iN6thrust23THRUST_200600_302600_NS4plusIvEEiEEDaPvRmT3_T4_T5_mT6_P12ihipStream_tbENKUlT_T0_E_clISt17integral_constantIbLb1EESP_IbLb0EEEEDaSL_SM_EUlSL_E_NS1_11comp_targetILNS1_3genE3ELNS1_11target_archE908ELNS1_3gpuE7ELNS1_3repE0EEENS1_30default_config_static_selectorELNS0_4arch9wavefront6targetE1EEEvT1_
		.amdhsa_group_segment_fixed_size 0
		.amdhsa_private_segment_fixed_size 0
		.amdhsa_kernarg_size 96
		.amdhsa_user_sgpr_count 6
		.amdhsa_user_sgpr_private_segment_buffer 1
		.amdhsa_user_sgpr_dispatch_ptr 0
		.amdhsa_user_sgpr_queue_ptr 0
		.amdhsa_user_sgpr_kernarg_segment_ptr 1
		.amdhsa_user_sgpr_dispatch_id 0
		.amdhsa_user_sgpr_flat_scratch_init 0
		.amdhsa_user_sgpr_kernarg_preload_length 0
		.amdhsa_user_sgpr_kernarg_preload_offset 0
		.amdhsa_user_sgpr_private_segment_size 0
		.amdhsa_uses_dynamic_stack 0
		.amdhsa_system_sgpr_private_segment_wavefront_offset 0
		.amdhsa_system_sgpr_workgroup_id_x 1
		.amdhsa_system_sgpr_workgroup_id_y 0
		.amdhsa_system_sgpr_workgroup_id_z 0
		.amdhsa_system_sgpr_workgroup_info 0
		.amdhsa_system_vgpr_workitem_id 0
		.amdhsa_next_free_vgpr 1
		.amdhsa_next_free_sgpr 0
		.amdhsa_accum_offset 4
		.amdhsa_reserve_vcc 0
		.amdhsa_reserve_flat_scratch 0
		.amdhsa_float_round_mode_32 0
		.amdhsa_float_round_mode_16_64 0
		.amdhsa_float_denorm_mode_32 3
		.amdhsa_float_denorm_mode_16_64 3
		.amdhsa_dx10_clamp 1
		.amdhsa_ieee_mode 1
		.amdhsa_fp16_overflow 0
		.amdhsa_tg_split 0
		.amdhsa_exception_fp_ieee_invalid_op 0
		.amdhsa_exception_fp_denorm_src 0
		.amdhsa_exception_fp_ieee_div_zero 0
		.amdhsa_exception_fp_ieee_overflow 0
		.amdhsa_exception_fp_ieee_underflow 0
		.amdhsa_exception_fp_ieee_inexact 0
		.amdhsa_exception_int_div_zero 0
	.end_amdhsa_kernel
	.section	.text._ZN7rocprim17ROCPRIM_400000_NS6detail17trampoline_kernelINS0_14default_configENS1_20scan_config_selectorIiEEZZNS1_9scan_implILNS1_25lookback_scan_determinismE0ELb0ELb0ES3_PiS8_iN6thrust23THRUST_200600_302600_NS4plusIvEEiEEDaPvRmT3_T4_T5_mT6_P12ihipStream_tbENKUlT_T0_E_clISt17integral_constantIbLb1EESP_IbLb0EEEEDaSL_SM_EUlSL_E_NS1_11comp_targetILNS1_3genE3ELNS1_11target_archE908ELNS1_3gpuE7ELNS1_3repE0EEENS1_30default_config_static_selectorELNS0_4arch9wavefront6targetE1EEEvT1_,"axG",@progbits,_ZN7rocprim17ROCPRIM_400000_NS6detail17trampoline_kernelINS0_14default_configENS1_20scan_config_selectorIiEEZZNS1_9scan_implILNS1_25lookback_scan_determinismE0ELb0ELb0ES3_PiS8_iN6thrust23THRUST_200600_302600_NS4plusIvEEiEEDaPvRmT3_T4_T5_mT6_P12ihipStream_tbENKUlT_T0_E_clISt17integral_constantIbLb1EESP_IbLb0EEEEDaSL_SM_EUlSL_E_NS1_11comp_targetILNS1_3genE3ELNS1_11target_archE908ELNS1_3gpuE7ELNS1_3repE0EEENS1_30default_config_static_selectorELNS0_4arch9wavefront6targetE1EEEvT1_,comdat
.Lfunc_end69:
	.size	_ZN7rocprim17ROCPRIM_400000_NS6detail17trampoline_kernelINS0_14default_configENS1_20scan_config_selectorIiEEZZNS1_9scan_implILNS1_25lookback_scan_determinismE0ELb0ELb0ES3_PiS8_iN6thrust23THRUST_200600_302600_NS4plusIvEEiEEDaPvRmT3_T4_T5_mT6_P12ihipStream_tbENKUlT_T0_E_clISt17integral_constantIbLb1EESP_IbLb0EEEEDaSL_SM_EUlSL_E_NS1_11comp_targetILNS1_3genE3ELNS1_11target_archE908ELNS1_3gpuE7ELNS1_3repE0EEENS1_30default_config_static_selectorELNS0_4arch9wavefront6targetE1EEEvT1_, .Lfunc_end69-_ZN7rocprim17ROCPRIM_400000_NS6detail17trampoline_kernelINS0_14default_configENS1_20scan_config_selectorIiEEZZNS1_9scan_implILNS1_25lookback_scan_determinismE0ELb0ELb0ES3_PiS8_iN6thrust23THRUST_200600_302600_NS4plusIvEEiEEDaPvRmT3_T4_T5_mT6_P12ihipStream_tbENKUlT_T0_E_clISt17integral_constantIbLb1EESP_IbLb0EEEEDaSL_SM_EUlSL_E_NS1_11comp_targetILNS1_3genE3ELNS1_11target_archE908ELNS1_3gpuE7ELNS1_3repE0EEENS1_30default_config_static_selectorELNS0_4arch9wavefront6targetE1EEEvT1_
                                        ; -- End function
	.section	.AMDGPU.csdata,"",@progbits
; Kernel info:
; codeLenInByte = 0
; NumSgprs: 4
; NumVgprs: 0
; NumAgprs: 0
; TotalNumVgprs: 0
; ScratchSize: 0
; MemoryBound: 0
; FloatMode: 240
; IeeeMode: 1
; LDSByteSize: 0 bytes/workgroup (compile time only)
; SGPRBlocks: 0
; VGPRBlocks: 0
; NumSGPRsForWavesPerEU: 4
; NumVGPRsForWavesPerEU: 1
; AccumOffset: 4
; Occupancy: 8
; WaveLimiterHint : 0
; COMPUTE_PGM_RSRC2:SCRATCH_EN: 0
; COMPUTE_PGM_RSRC2:USER_SGPR: 6
; COMPUTE_PGM_RSRC2:TRAP_HANDLER: 0
; COMPUTE_PGM_RSRC2:TGID_X_EN: 1
; COMPUTE_PGM_RSRC2:TGID_Y_EN: 0
; COMPUTE_PGM_RSRC2:TGID_Z_EN: 0
; COMPUTE_PGM_RSRC2:TIDIG_COMP_CNT: 0
; COMPUTE_PGM_RSRC3_GFX90A:ACCUM_OFFSET: 0
; COMPUTE_PGM_RSRC3_GFX90A:TG_SPLIT: 0
	.section	.text._ZN7rocprim17ROCPRIM_400000_NS6detail17trampoline_kernelINS0_14default_configENS1_20scan_config_selectorIiEEZZNS1_9scan_implILNS1_25lookback_scan_determinismE0ELb0ELb0ES3_PiS8_iN6thrust23THRUST_200600_302600_NS4plusIvEEiEEDaPvRmT3_T4_T5_mT6_P12ihipStream_tbENKUlT_T0_E_clISt17integral_constantIbLb1EESP_IbLb0EEEEDaSL_SM_EUlSL_E_NS1_11comp_targetILNS1_3genE2ELNS1_11target_archE906ELNS1_3gpuE6ELNS1_3repE0EEENS1_30default_config_static_selectorELNS0_4arch9wavefront6targetE1EEEvT1_,"axG",@progbits,_ZN7rocprim17ROCPRIM_400000_NS6detail17trampoline_kernelINS0_14default_configENS1_20scan_config_selectorIiEEZZNS1_9scan_implILNS1_25lookback_scan_determinismE0ELb0ELb0ES3_PiS8_iN6thrust23THRUST_200600_302600_NS4plusIvEEiEEDaPvRmT3_T4_T5_mT6_P12ihipStream_tbENKUlT_T0_E_clISt17integral_constantIbLb1EESP_IbLb0EEEEDaSL_SM_EUlSL_E_NS1_11comp_targetILNS1_3genE2ELNS1_11target_archE906ELNS1_3gpuE6ELNS1_3repE0EEENS1_30default_config_static_selectorELNS0_4arch9wavefront6targetE1EEEvT1_,comdat
	.protected	_ZN7rocprim17ROCPRIM_400000_NS6detail17trampoline_kernelINS0_14default_configENS1_20scan_config_selectorIiEEZZNS1_9scan_implILNS1_25lookback_scan_determinismE0ELb0ELb0ES3_PiS8_iN6thrust23THRUST_200600_302600_NS4plusIvEEiEEDaPvRmT3_T4_T5_mT6_P12ihipStream_tbENKUlT_T0_E_clISt17integral_constantIbLb1EESP_IbLb0EEEEDaSL_SM_EUlSL_E_NS1_11comp_targetILNS1_3genE2ELNS1_11target_archE906ELNS1_3gpuE6ELNS1_3repE0EEENS1_30default_config_static_selectorELNS0_4arch9wavefront6targetE1EEEvT1_ ; -- Begin function _ZN7rocprim17ROCPRIM_400000_NS6detail17trampoline_kernelINS0_14default_configENS1_20scan_config_selectorIiEEZZNS1_9scan_implILNS1_25lookback_scan_determinismE0ELb0ELb0ES3_PiS8_iN6thrust23THRUST_200600_302600_NS4plusIvEEiEEDaPvRmT3_T4_T5_mT6_P12ihipStream_tbENKUlT_T0_E_clISt17integral_constantIbLb1EESP_IbLb0EEEEDaSL_SM_EUlSL_E_NS1_11comp_targetILNS1_3genE2ELNS1_11target_archE906ELNS1_3gpuE6ELNS1_3repE0EEENS1_30default_config_static_selectorELNS0_4arch9wavefront6targetE1EEEvT1_
	.globl	_ZN7rocprim17ROCPRIM_400000_NS6detail17trampoline_kernelINS0_14default_configENS1_20scan_config_selectorIiEEZZNS1_9scan_implILNS1_25lookback_scan_determinismE0ELb0ELb0ES3_PiS8_iN6thrust23THRUST_200600_302600_NS4plusIvEEiEEDaPvRmT3_T4_T5_mT6_P12ihipStream_tbENKUlT_T0_E_clISt17integral_constantIbLb1EESP_IbLb0EEEEDaSL_SM_EUlSL_E_NS1_11comp_targetILNS1_3genE2ELNS1_11target_archE906ELNS1_3gpuE6ELNS1_3repE0EEENS1_30default_config_static_selectorELNS0_4arch9wavefront6targetE1EEEvT1_
	.p2align	8
	.type	_ZN7rocprim17ROCPRIM_400000_NS6detail17trampoline_kernelINS0_14default_configENS1_20scan_config_selectorIiEEZZNS1_9scan_implILNS1_25lookback_scan_determinismE0ELb0ELb0ES3_PiS8_iN6thrust23THRUST_200600_302600_NS4plusIvEEiEEDaPvRmT3_T4_T5_mT6_P12ihipStream_tbENKUlT_T0_E_clISt17integral_constantIbLb1EESP_IbLb0EEEEDaSL_SM_EUlSL_E_NS1_11comp_targetILNS1_3genE2ELNS1_11target_archE906ELNS1_3gpuE6ELNS1_3repE0EEENS1_30default_config_static_selectorELNS0_4arch9wavefront6targetE1EEEvT1_,@function
_ZN7rocprim17ROCPRIM_400000_NS6detail17trampoline_kernelINS0_14default_configENS1_20scan_config_selectorIiEEZZNS1_9scan_implILNS1_25lookback_scan_determinismE0ELb0ELb0ES3_PiS8_iN6thrust23THRUST_200600_302600_NS4plusIvEEiEEDaPvRmT3_T4_T5_mT6_P12ihipStream_tbENKUlT_T0_E_clISt17integral_constantIbLb1EESP_IbLb0EEEEDaSL_SM_EUlSL_E_NS1_11comp_targetILNS1_3genE2ELNS1_11target_archE906ELNS1_3gpuE6ELNS1_3repE0EEENS1_30default_config_static_selectorELNS0_4arch9wavefront6targetE1EEEvT1_: ; @_ZN7rocprim17ROCPRIM_400000_NS6detail17trampoline_kernelINS0_14default_configENS1_20scan_config_selectorIiEEZZNS1_9scan_implILNS1_25lookback_scan_determinismE0ELb0ELb0ES3_PiS8_iN6thrust23THRUST_200600_302600_NS4plusIvEEiEEDaPvRmT3_T4_T5_mT6_P12ihipStream_tbENKUlT_T0_E_clISt17integral_constantIbLb1EESP_IbLb0EEEEDaSL_SM_EUlSL_E_NS1_11comp_targetILNS1_3genE2ELNS1_11target_archE906ELNS1_3gpuE6ELNS1_3repE0EEENS1_30default_config_static_selectorELNS0_4arch9wavefront6targetE1EEEvT1_
; %bb.0:
	.section	.rodata,"a",@progbits
	.p2align	6, 0x0
	.amdhsa_kernel _ZN7rocprim17ROCPRIM_400000_NS6detail17trampoline_kernelINS0_14default_configENS1_20scan_config_selectorIiEEZZNS1_9scan_implILNS1_25lookback_scan_determinismE0ELb0ELb0ES3_PiS8_iN6thrust23THRUST_200600_302600_NS4plusIvEEiEEDaPvRmT3_T4_T5_mT6_P12ihipStream_tbENKUlT_T0_E_clISt17integral_constantIbLb1EESP_IbLb0EEEEDaSL_SM_EUlSL_E_NS1_11comp_targetILNS1_3genE2ELNS1_11target_archE906ELNS1_3gpuE6ELNS1_3repE0EEENS1_30default_config_static_selectorELNS0_4arch9wavefront6targetE1EEEvT1_
		.amdhsa_group_segment_fixed_size 0
		.amdhsa_private_segment_fixed_size 0
		.amdhsa_kernarg_size 96
		.amdhsa_user_sgpr_count 6
		.amdhsa_user_sgpr_private_segment_buffer 1
		.amdhsa_user_sgpr_dispatch_ptr 0
		.amdhsa_user_sgpr_queue_ptr 0
		.amdhsa_user_sgpr_kernarg_segment_ptr 1
		.amdhsa_user_sgpr_dispatch_id 0
		.amdhsa_user_sgpr_flat_scratch_init 0
		.amdhsa_user_sgpr_kernarg_preload_length 0
		.amdhsa_user_sgpr_kernarg_preload_offset 0
		.amdhsa_user_sgpr_private_segment_size 0
		.amdhsa_uses_dynamic_stack 0
		.amdhsa_system_sgpr_private_segment_wavefront_offset 0
		.amdhsa_system_sgpr_workgroup_id_x 1
		.amdhsa_system_sgpr_workgroup_id_y 0
		.amdhsa_system_sgpr_workgroup_id_z 0
		.amdhsa_system_sgpr_workgroup_info 0
		.amdhsa_system_vgpr_workitem_id 0
		.amdhsa_next_free_vgpr 1
		.amdhsa_next_free_sgpr 0
		.amdhsa_accum_offset 4
		.amdhsa_reserve_vcc 0
		.amdhsa_reserve_flat_scratch 0
		.amdhsa_float_round_mode_32 0
		.amdhsa_float_round_mode_16_64 0
		.amdhsa_float_denorm_mode_32 3
		.amdhsa_float_denorm_mode_16_64 3
		.amdhsa_dx10_clamp 1
		.amdhsa_ieee_mode 1
		.amdhsa_fp16_overflow 0
		.amdhsa_tg_split 0
		.amdhsa_exception_fp_ieee_invalid_op 0
		.amdhsa_exception_fp_denorm_src 0
		.amdhsa_exception_fp_ieee_div_zero 0
		.amdhsa_exception_fp_ieee_overflow 0
		.amdhsa_exception_fp_ieee_underflow 0
		.amdhsa_exception_fp_ieee_inexact 0
		.amdhsa_exception_int_div_zero 0
	.end_amdhsa_kernel
	.section	.text._ZN7rocprim17ROCPRIM_400000_NS6detail17trampoline_kernelINS0_14default_configENS1_20scan_config_selectorIiEEZZNS1_9scan_implILNS1_25lookback_scan_determinismE0ELb0ELb0ES3_PiS8_iN6thrust23THRUST_200600_302600_NS4plusIvEEiEEDaPvRmT3_T4_T5_mT6_P12ihipStream_tbENKUlT_T0_E_clISt17integral_constantIbLb1EESP_IbLb0EEEEDaSL_SM_EUlSL_E_NS1_11comp_targetILNS1_3genE2ELNS1_11target_archE906ELNS1_3gpuE6ELNS1_3repE0EEENS1_30default_config_static_selectorELNS0_4arch9wavefront6targetE1EEEvT1_,"axG",@progbits,_ZN7rocprim17ROCPRIM_400000_NS6detail17trampoline_kernelINS0_14default_configENS1_20scan_config_selectorIiEEZZNS1_9scan_implILNS1_25lookback_scan_determinismE0ELb0ELb0ES3_PiS8_iN6thrust23THRUST_200600_302600_NS4plusIvEEiEEDaPvRmT3_T4_T5_mT6_P12ihipStream_tbENKUlT_T0_E_clISt17integral_constantIbLb1EESP_IbLb0EEEEDaSL_SM_EUlSL_E_NS1_11comp_targetILNS1_3genE2ELNS1_11target_archE906ELNS1_3gpuE6ELNS1_3repE0EEENS1_30default_config_static_selectorELNS0_4arch9wavefront6targetE1EEEvT1_,comdat
.Lfunc_end70:
	.size	_ZN7rocprim17ROCPRIM_400000_NS6detail17trampoline_kernelINS0_14default_configENS1_20scan_config_selectorIiEEZZNS1_9scan_implILNS1_25lookback_scan_determinismE0ELb0ELb0ES3_PiS8_iN6thrust23THRUST_200600_302600_NS4plusIvEEiEEDaPvRmT3_T4_T5_mT6_P12ihipStream_tbENKUlT_T0_E_clISt17integral_constantIbLb1EESP_IbLb0EEEEDaSL_SM_EUlSL_E_NS1_11comp_targetILNS1_3genE2ELNS1_11target_archE906ELNS1_3gpuE6ELNS1_3repE0EEENS1_30default_config_static_selectorELNS0_4arch9wavefront6targetE1EEEvT1_, .Lfunc_end70-_ZN7rocprim17ROCPRIM_400000_NS6detail17trampoline_kernelINS0_14default_configENS1_20scan_config_selectorIiEEZZNS1_9scan_implILNS1_25lookback_scan_determinismE0ELb0ELb0ES3_PiS8_iN6thrust23THRUST_200600_302600_NS4plusIvEEiEEDaPvRmT3_T4_T5_mT6_P12ihipStream_tbENKUlT_T0_E_clISt17integral_constantIbLb1EESP_IbLb0EEEEDaSL_SM_EUlSL_E_NS1_11comp_targetILNS1_3genE2ELNS1_11target_archE906ELNS1_3gpuE6ELNS1_3repE0EEENS1_30default_config_static_selectorELNS0_4arch9wavefront6targetE1EEEvT1_
                                        ; -- End function
	.section	.AMDGPU.csdata,"",@progbits
; Kernel info:
; codeLenInByte = 0
; NumSgprs: 4
; NumVgprs: 0
; NumAgprs: 0
; TotalNumVgprs: 0
; ScratchSize: 0
; MemoryBound: 0
; FloatMode: 240
; IeeeMode: 1
; LDSByteSize: 0 bytes/workgroup (compile time only)
; SGPRBlocks: 0
; VGPRBlocks: 0
; NumSGPRsForWavesPerEU: 4
; NumVGPRsForWavesPerEU: 1
; AccumOffset: 4
; Occupancy: 8
; WaveLimiterHint : 0
; COMPUTE_PGM_RSRC2:SCRATCH_EN: 0
; COMPUTE_PGM_RSRC2:USER_SGPR: 6
; COMPUTE_PGM_RSRC2:TRAP_HANDLER: 0
; COMPUTE_PGM_RSRC2:TGID_X_EN: 1
; COMPUTE_PGM_RSRC2:TGID_Y_EN: 0
; COMPUTE_PGM_RSRC2:TGID_Z_EN: 0
; COMPUTE_PGM_RSRC2:TIDIG_COMP_CNT: 0
; COMPUTE_PGM_RSRC3_GFX90A:ACCUM_OFFSET: 0
; COMPUTE_PGM_RSRC3_GFX90A:TG_SPLIT: 0
	.section	.text._ZN7rocprim17ROCPRIM_400000_NS6detail17trampoline_kernelINS0_14default_configENS1_20scan_config_selectorIiEEZZNS1_9scan_implILNS1_25lookback_scan_determinismE0ELb0ELb0ES3_PiS8_iN6thrust23THRUST_200600_302600_NS4plusIvEEiEEDaPvRmT3_T4_T5_mT6_P12ihipStream_tbENKUlT_T0_E_clISt17integral_constantIbLb1EESP_IbLb0EEEEDaSL_SM_EUlSL_E_NS1_11comp_targetILNS1_3genE10ELNS1_11target_archE1201ELNS1_3gpuE5ELNS1_3repE0EEENS1_30default_config_static_selectorELNS0_4arch9wavefront6targetE1EEEvT1_,"axG",@progbits,_ZN7rocprim17ROCPRIM_400000_NS6detail17trampoline_kernelINS0_14default_configENS1_20scan_config_selectorIiEEZZNS1_9scan_implILNS1_25lookback_scan_determinismE0ELb0ELb0ES3_PiS8_iN6thrust23THRUST_200600_302600_NS4plusIvEEiEEDaPvRmT3_T4_T5_mT6_P12ihipStream_tbENKUlT_T0_E_clISt17integral_constantIbLb1EESP_IbLb0EEEEDaSL_SM_EUlSL_E_NS1_11comp_targetILNS1_3genE10ELNS1_11target_archE1201ELNS1_3gpuE5ELNS1_3repE0EEENS1_30default_config_static_selectorELNS0_4arch9wavefront6targetE1EEEvT1_,comdat
	.protected	_ZN7rocprim17ROCPRIM_400000_NS6detail17trampoline_kernelINS0_14default_configENS1_20scan_config_selectorIiEEZZNS1_9scan_implILNS1_25lookback_scan_determinismE0ELb0ELb0ES3_PiS8_iN6thrust23THRUST_200600_302600_NS4plusIvEEiEEDaPvRmT3_T4_T5_mT6_P12ihipStream_tbENKUlT_T0_E_clISt17integral_constantIbLb1EESP_IbLb0EEEEDaSL_SM_EUlSL_E_NS1_11comp_targetILNS1_3genE10ELNS1_11target_archE1201ELNS1_3gpuE5ELNS1_3repE0EEENS1_30default_config_static_selectorELNS0_4arch9wavefront6targetE1EEEvT1_ ; -- Begin function _ZN7rocprim17ROCPRIM_400000_NS6detail17trampoline_kernelINS0_14default_configENS1_20scan_config_selectorIiEEZZNS1_9scan_implILNS1_25lookback_scan_determinismE0ELb0ELb0ES3_PiS8_iN6thrust23THRUST_200600_302600_NS4plusIvEEiEEDaPvRmT3_T4_T5_mT6_P12ihipStream_tbENKUlT_T0_E_clISt17integral_constantIbLb1EESP_IbLb0EEEEDaSL_SM_EUlSL_E_NS1_11comp_targetILNS1_3genE10ELNS1_11target_archE1201ELNS1_3gpuE5ELNS1_3repE0EEENS1_30default_config_static_selectorELNS0_4arch9wavefront6targetE1EEEvT1_
	.globl	_ZN7rocprim17ROCPRIM_400000_NS6detail17trampoline_kernelINS0_14default_configENS1_20scan_config_selectorIiEEZZNS1_9scan_implILNS1_25lookback_scan_determinismE0ELb0ELb0ES3_PiS8_iN6thrust23THRUST_200600_302600_NS4plusIvEEiEEDaPvRmT3_T4_T5_mT6_P12ihipStream_tbENKUlT_T0_E_clISt17integral_constantIbLb1EESP_IbLb0EEEEDaSL_SM_EUlSL_E_NS1_11comp_targetILNS1_3genE10ELNS1_11target_archE1201ELNS1_3gpuE5ELNS1_3repE0EEENS1_30default_config_static_selectorELNS0_4arch9wavefront6targetE1EEEvT1_
	.p2align	8
	.type	_ZN7rocprim17ROCPRIM_400000_NS6detail17trampoline_kernelINS0_14default_configENS1_20scan_config_selectorIiEEZZNS1_9scan_implILNS1_25lookback_scan_determinismE0ELb0ELb0ES3_PiS8_iN6thrust23THRUST_200600_302600_NS4plusIvEEiEEDaPvRmT3_T4_T5_mT6_P12ihipStream_tbENKUlT_T0_E_clISt17integral_constantIbLb1EESP_IbLb0EEEEDaSL_SM_EUlSL_E_NS1_11comp_targetILNS1_3genE10ELNS1_11target_archE1201ELNS1_3gpuE5ELNS1_3repE0EEENS1_30default_config_static_selectorELNS0_4arch9wavefront6targetE1EEEvT1_,@function
_ZN7rocprim17ROCPRIM_400000_NS6detail17trampoline_kernelINS0_14default_configENS1_20scan_config_selectorIiEEZZNS1_9scan_implILNS1_25lookback_scan_determinismE0ELb0ELb0ES3_PiS8_iN6thrust23THRUST_200600_302600_NS4plusIvEEiEEDaPvRmT3_T4_T5_mT6_P12ihipStream_tbENKUlT_T0_E_clISt17integral_constantIbLb1EESP_IbLb0EEEEDaSL_SM_EUlSL_E_NS1_11comp_targetILNS1_3genE10ELNS1_11target_archE1201ELNS1_3gpuE5ELNS1_3repE0EEENS1_30default_config_static_selectorELNS0_4arch9wavefront6targetE1EEEvT1_: ; @_ZN7rocprim17ROCPRIM_400000_NS6detail17trampoline_kernelINS0_14default_configENS1_20scan_config_selectorIiEEZZNS1_9scan_implILNS1_25lookback_scan_determinismE0ELb0ELb0ES3_PiS8_iN6thrust23THRUST_200600_302600_NS4plusIvEEiEEDaPvRmT3_T4_T5_mT6_P12ihipStream_tbENKUlT_T0_E_clISt17integral_constantIbLb1EESP_IbLb0EEEEDaSL_SM_EUlSL_E_NS1_11comp_targetILNS1_3genE10ELNS1_11target_archE1201ELNS1_3gpuE5ELNS1_3repE0EEENS1_30default_config_static_selectorELNS0_4arch9wavefront6targetE1EEEvT1_
; %bb.0:
	.section	.rodata,"a",@progbits
	.p2align	6, 0x0
	.amdhsa_kernel _ZN7rocprim17ROCPRIM_400000_NS6detail17trampoline_kernelINS0_14default_configENS1_20scan_config_selectorIiEEZZNS1_9scan_implILNS1_25lookback_scan_determinismE0ELb0ELb0ES3_PiS8_iN6thrust23THRUST_200600_302600_NS4plusIvEEiEEDaPvRmT3_T4_T5_mT6_P12ihipStream_tbENKUlT_T0_E_clISt17integral_constantIbLb1EESP_IbLb0EEEEDaSL_SM_EUlSL_E_NS1_11comp_targetILNS1_3genE10ELNS1_11target_archE1201ELNS1_3gpuE5ELNS1_3repE0EEENS1_30default_config_static_selectorELNS0_4arch9wavefront6targetE1EEEvT1_
		.amdhsa_group_segment_fixed_size 0
		.amdhsa_private_segment_fixed_size 0
		.amdhsa_kernarg_size 96
		.amdhsa_user_sgpr_count 6
		.amdhsa_user_sgpr_private_segment_buffer 1
		.amdhsa_user_sgpr_dispatch_ptr 0
		.amdhsa_user_sgpr_queue_ptr 0
		.amdhsa_user_sgpr_kernarg_segment_ptr 1
		.amdhsa_user_sgpr_dispatch_id 0
		.amdhsa_user_sgpr_flat_scratch_init 0
		.amdhsa_user_sgpr_kernarg_preload_length 0
		.amdhsa_user_sgpr_kernarg_preload_offset 0
		.amdhsa_user_sgpr_private_segment_size 0
		.amdhsa_uses_dynamic_stack 0
		.amdhsa_system_sgpr_private_segment_wavefront_offset 0
		.amdhsa_system_sgpr_workgroup_id_x 1
		.amdhsa_system_sgpr_workgroup_id_y 0
		.amdhsa_system_sgpr_workgroup_id_z 0
		.amdhsa_system_sgpr_workgroup_info 0
		.amdhsa_system_vgpr_workitem_id 0
		.amdhsa_next_free_vgpr 1
		.amdhsa_next_free_sgpr 0
		.amdhsa_accum_offset 4
		.amdhsa_reserve_vcc 0
		.amdhsa_reserve_flat_scratch 0
		.amdhsa_float_round_mode_32 0
		.amdhsa_float_round_mode_16_64 0
		.amdhsa_float_denorm_mode_32 3
		.amdhsa_float_denorm_mode_16_64 3
		.amdhsa_dx10_clamp 1
		.amdhsa_ieee_mode 1
		.amdhsa_fp16_overflow 0
		.amdhsa_tg_split 0
		.amdhsa_exception_fp_ieee_invalid_op 0
		.amdhsa_exception_fp_denorm_src 0
		.amdhsa_exception_fp_ieee_div_zero 0
		.amdhsa_exception_fp_ieee_overflow 0
		.amdhsa_exception_fp_ieee_underflow 0
		.amdhsa_exception_fp_ieee_inexact 0
		.amdhsa_exception_int_div_zero 0
	.end_amdhsa_kernel
	.section	.text._ZN7rocprim17ROCPRIM_400000_NS6detail17trampoline_kernelINS0_14default_configENS1_20scan_config_selectorIiEEZZNS1_9scan_implILNS1_25lookback_scan_determinismE0ELb0ELb0ES3_PiS8_iN6thrust23THRUST_200600_302600_NS4plusIvEEiEEDaPvRmT3_T4_T5_mT6_P12ihipStream_tbENKUlT_T0_E_clISt17integral_constantIbLb1EESP_IbLb0EEEEDaSL_SM_EUlSL_E_NS1_11comp_targetILNS1_3genE10ELNS1_11target_archE1201ELNS1_3gpuE5ELNS1_3repE0EEENS1_30default_config_static_selectorELNS0_4arch9wavefront6targetE1EEEvT1_,"axG",@progbits,_ZN7rocprim17ROCPRIM_400000_NS6detail17trampoline_kernelINS0_14default_configENS1_20scan_config_selectorIiEEZZNS1_9scan_implILNS1_25lookback_scan_determinismE0ELb0ELb0ES3_PiS8_iN6thrust23THRUST_200600_302600_NS4plusIvEEiEEDaPvRmT3_T4_T5_mT6_P12ihipStream_tbENKUlT_T0_E_clISt17integral_constantIbLb1EESP_IbLb0EEEEDaSL_SM_EUlSL_E_NS1_11comp_targetILNS1_3genE10ELNS1_11target_archE1201ELNS1_3gpuE5ELNS1_3repE0EEENS1_30default_config_static_selectorELNS0_4arch9wavefront6targetE1EEEvT1_,comdat
.Lfunc_end71:
	.size	_ZN7rocprim17ROCPRIM_400000_NS6detail17trampoline_kernelINS0_14default_configENS1_20scan_config_selectorIiEEZZNS1_9scan_implILNS1_25lookback_scan_determinismE0ELb0ELb0ES3_PiS8_iN6thrust23THRUST_200600_302600_NS4plusIvEEiEEDaPvRmT3_T4_T5_mT6_P12ihipStream_tbENKUlT_T0_E_clISt17integral_constantIbLb1EESP_IbLb0EEEEDaSL_SM_EUlSL_E_NS1_11comp_targetILNS1_3genE10ELNS1_11target_archE1201ELNS1_3gpuE5ELNS1_3repE0EEENS1_30default_config_static_selectorELNS0_4arch9wavefront6targetE1EEEvT1_, .Lfunc_end71-_ZN7rocprim17ROCPRIM_400000_NS6detail17trampoline_kernelINS0_14default_configENS1_20scan_config_selectorIiEEZZNS1_9scan_implILNS1_25lookback_scan_determinismE0ELb0ELb0ES3_PiS8_iN6thrust23THRUST_200600_302600_NS4plusIvEEiEEDaPvRmT3_T4_T5_mT6_P12ihipStream_tbENKUlT_T0_E_clISt17integral_constantIbLb1EESP_IbLb0EEEEDaSL_SM_EUlSL_E_NS1_11comp_targetILNS1_3genE10ELNS1_11target_archE1201ELNS1_3gpuE5ELNS1_3repE0EEENS1_30default_config_static_selectorELNS0_4arch9wavefront6targetE1EEEvT1_
                                        ; -- End function
	.section	.AMDGPU.csdata,"",@progbits
; Kernel info:
; codeLenInByte = 0
; NumSgprs: 4
; NumVgprs: 0
; NumAgprs: 0
; TotalNumVgprs: 0
; ScratchSize: 0
; MemoryBound: 0
; FloatMode: 240
; IeeeMode: 1
; LDSByteSize: 0 bytes/workgroup (compile time only)
; SGPRBlocks: 0
; VGPRBlocks: 0
; NumSGPRsForWavesPerEU: 4
; NumVGPRsForWavesPerEU: 1
; AccumOffset: 4
; Occupancy: 8
; WaveLimiterHint : 0
; COMPUTE_PGM_RSRC2:SCRATCH_EN: 0
; COMPUTE_PGM_RSRC2:USER_SGPR: 6
; COMPUTE_PGM_RSRC2:TRAP_HANDLER: 0
; COMPUTE_PGM_RSRC2:TGID_X_EN: 1
; COMPUTE_PGM_RSRC2:TGID_Y_EN: 0
; COMPUTE_PGM_RSRC2:TGID_Z_EN: 0
; COMPUTE_PGM_RSRC2:TIDIG_COMP_CNT: 0
; COMPUTE_PGM_RSRC3_GFX90A:ACCUM_OFFSET: 0
; COMPUTE_PGM_RSRC3_GFX90A:TG_SPLIT: 0
	.section	.text._ZN7rocprim17ROCPRIM_400000_NS6detail17trampoline_kernelINS0_14default_configENS1_20scan_config_selectorIiEEZZNS1_9scan_implILNS1_25lookback_scan_determinismE0ELb0ELb0ES3_PiS8_iN6thrust23THRUST_200600_302600_NS4plusIvEEiEEDaPvRmT3_T4_T5_mT6_P12ihipStream_tbENKUlT_T0_E_clISt17integral_constantIbLb1EESP_IbLb0EEEEDaSL_SM_EUlSL_E_NS1_11comp_targetILNS1_3genE10ELNS1_11target_archE1200ELNS1_3gpuE4ELNS1_3repE0EEENS1_30default_config_static_selectorELNS0_4arch9wavefront6targetE1EEEvT1_,"axG",@progbits,_ZN7rocprim17ROCPRIM_400000_NS6detail17trampoline_kernelINS0_14default_configENS1_20scan_config_selectorIiEEZZNS1_9scan_implILNS1_25lookback_scan_determinismE0ELb0ELb0ES3_PiS8_iN6thrust23THRUST_200600_302600_NS4plusIvEEiEEDaPvRmT3_T4_T5_mT6_P12ihipStream_tbENKUlT_T0_E_clISt17integral_constantIbLb1EESP_IbLb0EEEEDaSL_SM_EUlSL_E_NS1_11comp_targetILNS1_3genE10ELNS1_11target_archE1200ELNS1_3gpuE4ELNS1_3repE0EEENS1_30default_config_static_selectorELNS0_4arch9wavefront6targetE1EEEvT1_,comdat
	.protected	_ZN7rocprim17ROCPRIM_400000_NS6detail17trampoline_kernelINS0_14default_configENS1_20scan_config_selectorIiEEZZNS1_9scan_implILNS1_25lookback_scan_determinismE0ELb0ELb0ES3_PiS8_iN6thrust23THRUST_200600_302600_NS4plusIvEEiEEDaPvRmT3_T4_T5_mT6_P12ihipStream_tbENKUlT_T0_E_clISt17integral_constantIbLb1EESP_IbLb0EEEEDaSL_SM_EUlSL_E_NS1_11comp_targetILNS1_3genE10ELNS1_11target_archE1200ELNS1_3gpuE4ELNS1_3repE0EEENS1_30default_config_static_selectorELNS0_4arch9wavefront6targetE1EEEvT1_ ; -- Begin function _ZN7rocprim17ROCPRIM_400000_NS6detail17trampoline_kernelINS0_14default_configENS1_20scan_config_selectorIiEEZZNS1_9scan_implILNS1_25lookback_scan_determinismE0ELb0ELb0ES3_PiS8_iN6thrust23THRUST_200600_302600_NS4plusIvEEiEEDaPvRmT3_T4_T5_mT6_P12ihipStream_tbENKUlT_T0_E_clISt17integral_constantIbLb1EESP_IbLb0EEEEDaSL_SM_EUlSL_E_NS1_11comp_targetILNS1_3genE10ELNS1_11target_archE1200ELNS1_3gpuE4ELNS1_3repE0EEENS1_30default_config_static_selectorELNS0_4arch9wavefront6targetE1EEEvT1_
	.globl	_ZN7rocprim17ROCPRIM_400000_NS6detail17trampoline_kernelINS0_14default_configENS1_20scan_config_selectorIiEEZZNS1_9scan_implILNS1_25lookback_scan_determinismE0ELb0ELb0ES3_PiS8_iN6thrust23THRUST_200600_302600_NS4plusIvEEiEEDaPvRmT3_T4_T5_mT6_P12ihipStream_tbENKUlT_T0_E_clISt17integral_constantIbLb1EESP_IbLb0EEEEDaSL_SM_EUlSL_E_NS1_11comp_targetILNS1_3genE10ELNS1_11target_archE1200ELNS1_3gpuE4ELNS1_3repE0EEENS1_30default_config_static_selectorELNS0_4arch9wavefront6targetE1EEEvT1_
	.p2align	8
	.type	_ZN7rocprim17ROCPRIM_400000_NS6detail17trampoline_kernelINS0_14default_configENS1_20scan_config_selectorIiEEZZNS1_9scan_implILNS1_25lookback_scan_determinismE0ELb0ELb0ES3_PiS8_iN6thrust23THRUST_200600_302600_NS4plusIvEEiEEDaPvRmT3_T4_T5_mT6_P12ihipStream_tbENKUlT_T0_E_clISt17integral_constantIbLb1EESP_IbLb0EEEEDaSL_SM_EUlSL_E_NS1_11comp_targetILNS1_3genE10ELNS1_11target_archE1200ELNS1_3gpuE4ELNS1_3repE0EEENS1_30default_config_static_selectorELNS0_4arch9wavefront6targetE1EEEvT1_,@function
_ZN7rocprim17ROCPRIM_400000_NS6detail17trampoline_kernelINS0_14default_configENS1_20scan_config_selectorIiEEZZNS1_9scan_implILNS1_25lookback_scan_determinismE0ELb0ELb0ES3_PiS8_iN6thrust23THRUST_200600_302600_NS4plusIvEEiEEDaPvRmT3_T4_T5_mT6_P12ihipStream_tbENKUlT_T0_E_clISt17integral_constantIbLb1EESP_IbLb0EEEEDaSL_SM_EUlSL_E_NS1_11comp_targetILNS1_3genE10ELNS1_11target_archE1200ELNS1_3gpuE4ELNS1_3repE0EEENS1_30default_config_static_selectorELNS0_4arch9wavefront6targetE1EEEvT1_: ; @_ZN7rocprim17ROCPRIM_400000_NS6detail17trampoline_kernelINS0_14default_configENS1_20scan_config_selectorIiEEZZNS1_9scan_implILNS1_25lookback_scan_determinismE0ELb0ELb0ES3_PiS8_iN6thrust23THRUST_200600_302600_NS4plusIvEEiEEDaPvRmT3_T4_T5_mT6_P12ihipStream_tbENKUlT_T0_E_clISt17integral_constantIbLb1EESP_IbLb0EEEEDaSL_SM_EUlSL_E_NS1_11comp_targetILNS1_3genE10ELNS1_11target_archE1200ELNS1_3gpuE4ELNS1_3repE0EEENS1_30default_config_static_selectorELNS0_4arch9wavefront6targetE1EEEvT1_
; %bb.0:
	.section	.rodata,"a",@progbits
	.p2align	6, 0x0
	.amdhsa_kernel _ZN7rocprim17ROCPRIM_400000_NS6detail17trampoline_kernelINS0_14default_configENS1_20scan_config_selectorIiEEZZNS1_9scan_implILNS1_25lookback_scan_determinismE0ELb0ELb0ES3_PiS8_iN6thrust23THRUST_200600_302600_NS4plusIvEEiEEDaPvRmT3_T4_T5_mT6_P12ihipStream_tbENKUlT_T0_E_clISt17integral_constantIbLb1EESP_IbLb0EEEEDaSL_SM_EUlSL_E_NS1_11comp_targetILNS1_3genE10ELNS1_11target_archE1200ELNS1_3gpuE4ELNS1_3repE0EEENS1_30default_config_static_selectorELNS0_4arch9wavefront6targetE1EEEvT1_
		.amdhsa_group_segment_fixed_size 0
		.amdhsa_private_segment_fixed_size 0
		.amdhsa_kernarg_size 96
		.amdhsa_user_sgpr_count 6
		.amdhsa_user_sgpr_private_segment_buffer 1
		.amdhsa_user_sgpr_dispatch_ptr 0
		.amdhsa_user_sgpr_queue_ptr 0
		.amdhsa_user_sgpr_kernarg_segment_ptr 1
		.amdhsa_user_sgpr_dispatch_id 0
		.amdhsa_user_sgpr_flat_scratch_init 0
		.amdhsa_user_sgpr_kernarg_preload_length 0
		.amdhsa_user_sgpr_kernarg_preload_offset 0
		.amdhsa_user_sgpr_private_segment_size 0
		.amdhsa_uses_dynamic_stack 0
		.amdhsa_system_sgpr_private_segment_wavefront_offset 0
		.amdhsa_system_sgpr_workgroup_id_x 1
		.amdhsa_system_sgpr_workgroup_id_y 0
		.amdhsa_system_sgpr_workgroup_id_z 0
		.amdhsa_system_sgpr_workgroup_info 0
		.amdhsa_system_vgpr_workitem_id 0
		.amdhsa_next_free_vgpr 1
		.amdhsa_next_free_sgpr 0
		.amdhsa_accum_offset 4
		.amdhsa_reserve_vcc 0
		.amdhsa_reserve_flat_scratch 0
		.amdhsa_float_round_mode_32 0
		.amdhsa_float_round_mode_16_64 0
		.amdhsa_float_denorm_mode_32 3
		.amdhsa_float_denorm_mode_16_64 3
		.amdhsa_dx10_clamp 1
		.amdhsa_ieee_mode 1
		.amdhsa_fp16_overflow 0
		.amdhsa_tg_split 0
		.amdhsa_exception_fp_ieee_invalid_op 0
		.amdhsa_exception_fp_denorm_src 0
		.amdhsa_exception_fp_ieee_div_zero 0
		.amdhsa_exception_fp_ieee_overflow 0
		.amdhsa_exception_fp_ieee_underflow 0
		.amdhsa_exception_fp_ieee_inexact 0
		.amdhsa_exception_int_div_zero 0
	.end_amdhsa_kernel
	.section	.text._ZN7rocprim17ROCPRIM_400000_NS6detail17trampoline_kernelINS0_14default_configENS1_20scan_config_selectorIiEEZZNS1_9scan_implILNS1_25lookback_scan_determinismE0ELb0ELb0ES3_PiS8_iN6thrust23THRUST_200600_302600_NS4plusIvEEiEEDaPvRmT3_T4_T5_mT6_P12ihipStream_tbENKUlT_T0_E_clISt17integral_constantIbLb1EESP_IbLb0EEEEDaSL_SM_EUlSL_E_NS1_11comp_targetILNS1_3genE10ELNS1_11target_archE1200ELNS1_3gpuE4ELNS1_3repE0EEENS1_30default_config_static_selectorELNS0_4arch9wavefront6targetE1EEEvT1_,"axG",@progbits,_ZN7rocprim17ROCPRIM_400000_NS6detail17trampoline_kernelINS0_14default_configENS1_20scan_config_selectorIiEEZZNS1_9scan_implILNS1_25lookback_scan_determinismE0ELb0ELb0ES3_PiS8_iN6thrust23THRUST_200600_302600_NS4plusIvEEiEEDaPvRmT3_T4_T5_mT6_P12ihipStream_tbENKUlT_T0_E_clISt17integral_constantIbLb1EESP_IbLb0EEEEDaSL_SM_EUlSL_E_NS1_11comp_targetILNS1_3genE10ELNS1_11target_archE1200ELNS1_3gpuE4ELNS1_3repE0EEENS1_30default_config_static_selectorELNS0_4arch9wavefront6targetE1EEEvT1_,comdat
.Lfunc_end72:
	.size	_ZN7rocprim17ROCPRIM_400000_NS6detail17trampoline_kernelINS0_14default_configENS1_20scan_config_selectorIiEEZZNS1_9scan_implILNS1_25lookback_scan_determinismE0ELb0ELb0ES3_PiS8_iN6thrust23THRUST_200600_302600_NS4plusIvEEiEEDaPvRmT3_T4_T5_mT6_P12ihipStream_tbENKUlT_T0_E_clISt17integral_constantIbLb1EESP_IbLb0EEEEDaSL_SM_EUlSL_E_NS1_11comp_targetILNS1_3genE10ELNS1_11target_archE1200ELNS1_3gpuE4ELNS1_3repE0EEENS1_30default_config_static_selectorELNS0_4arch9wavefront6targetE1EEEvT1_, .Lfunc_end72-_ZN7rocprim17ROCPRIM_400000_NS6detail17trampoline_kernelINS0_14default_configENS1_20scan_config_selectorIiEEZZNS1_9scan_implILNS1_25lookback_scan_determinismE0ELb0ELb0ES3_PiS8_iN6thrust23THRUST_200600_302600_NS4plusIvEEiEEDaPvRmT3_T4_T5_mT6_P12ihipStream_tbENKUlT_T0_E_clISt17integral_constantIbLb1EESP_IbLb0EEEEDaSL_SM_EUlSL_E_NS1_11comp_targetILNS1_3genE10ELNS1_11target_archE1200ELNS1_3gpuE4ELNS1_3repE0EEENS1_30default_config_static_selectorELNS0_4arch9wavefront6targetE1EEEvT1_
                                        ; -- End function
	.section	.AMDGPU.csdata,"",@progbits
; Kernel info:
; codeLenInByte = 0
; NumSgprs: 4
; NumVgprs: 0
; NumAgprs: 0
; TotalNumVgprs: 0
; ScratchSize: 0
; MemoryBound: 0
; FloatMode: 240
; IeeeMode: 1
; LDSByteSize: 0 bytes/workgroup (compile time only)
; SGPRBlocks: 0
; VGPRBlocks: 0
; NumSGPRsForWavesPerEU: 4
; NumVGPRsForWavesPerEU: 1
; AccumOffset: 4
; Occupancy: 8
; WaveLimiterHint : 0
; COMPUTE_PGM_RSRC2:SCRATCH_EN: 0
; COMPUTE_PGM_RSRC2:USER_SGPR: 6
; COMPUTE_PGM_RSRC2:TRAP_HANDLER: 0
; COMPUTE_PGM_RSRC2:TGID_X_EN: 1
; COMPUTE_PGM_RSRC2:TGID_Y_EN: 0
; COMPUTE_PGM_RSRC2:TGID_Z_EN: 0
; COMPUTE_PGM_RSRC2:TIDIG_COMP_CNT: 0
; COMPUTE_PGM_RSRC3_GFX90A:ACCUM_OFFSET: 0
; COMPUTE_PGM_RSRC3_GFX90A:TG_SPLIT: 0
	.section	.text._ZN7rocprim17ROCPRIM_400000_NS6detail17trampoline_kernelINS0_14default_configENS1_20scan_config_selectorIiEEZZNS1_9scan_implILNS1_25lookback_scan_determinismE0ELb0ELb0ES3_PiS8_iN6thrust23THRUST_200600_302600_NS4plusIvEEiEEDaPvRmT3_T4_T5_mT6_P12ihipStream_tbENKUlT_T0_E_clISt17integral_constantIbLb1EESP_IbLb0EEEEDaSL_SM_EUlSL_E_NS1_11comp_targetILNS1_3genE9ELNS1_11target_archE1100ELNS1_3gpuE3ELNS1_3repE0EEENS1_30default_config_static_selectorELNS0_4arch9wavefront6targetE1EEEvT1_,"axG",@progbits,_ZN7rocprim17ROCPRIM_400000_NS6detail17trampoline_kernelINS0_14default_configENS1_20scan_config_selectorIiEEZZNS1_9scan_implILNS1_25lookback_scan_determinismE0ELb0ELb0ES3_PiS8_iN6thrust23THRUST_200600_302600_NS4plusIvEEiEEDaPvRmT3_T4_T5_mT6_P12ihipStream_tbENKUlT_T0_E_clISt17integral_constantIbLb1EESP_IbLb0EEEEDaSL_SM_EUlSL_E_NS1_11comp_targetILNS1_3genE9ELNS1_11target_archE1100ELNS1_3gpuE3ELNS1_3repE0EEENS1_30default_config_static_selectorELNS0_4arch9wavefront6targetE1EEEvT1_,comdat
	.protected	_ZN7rocprim17ROCPRIM_400000_NS6detail17trampoline_kernelINS0_14default_configENS1_20scan_config_selectorIiEEZZNS1_9scan_implILNS1_25lookback_scan_determinismE0ELb0ELb0ES3_PiS8_iN6thrust23THRUST_200600_302600_NS4plusIvEEiEEDaPvRmT3_T4_T5_mT6_P12ihipStream_tbENKUlT_T0_E_clISt17integral_constantIbLb1EESP_IbLb0EEEEDaSL_SM_EUlSL_E_NS1_11comp_targetILNS1_3genE9ELNS1_11target_archE1100ELNS1_3gpuE3ELNS1_3repE0EEENS1_30default_config_static_selectorELNS0_4arch9wavefront6targetE1EEEvT1_ ; -- Begin function _ZN7rocprim17ROCPRIM_400000_NS6detail17trampoline_kernelINS0_14default_configENS1_20scan_config_selectorIiEEZZNS1_9scan_implILNS1_25lookback_scan_determinismE0ELb0ELb0ES3_PiS8_iN6thrust23THRUST_200600_302600_NS4plusIvEEiEEDaPvRmT3_T4_T5_mT6_P12ihipStream_tbENKUlT_T0_E_clISt17integral_constantIbLb1EESP_IbLb0EEEEDaSL_SM_EUlSL_E_NS1_11comp_targetILNS1_3genE9ELNS1_11target_archE1100ELNS1_3gpuE3ELNS1_3repE0EEENS1_30default_config_static_selectorELNS0_4arch9wavefront6targetE1EEEvT1_
	.globl	_ZN7rocprim17ROCPRIM_400000_NS6detail17trampoline_kernelINS0_14default_configENS1_20scan_config_selectorIiEEZZNS1_9scan_implILNS1_25lookback_scan_determinismE0ELb0ELb0ES3_PiS8_iN6thrust23THRUST_200600_302600_NS4plusIvEEiEEDaPvRmT3_T4_T5_mT6_P12ihipStream_tbENKUlT_T0_E_clISt17integral_constantIbLb1EESP_IbLb0EEEEDaSL_SM_EUlSL_E_NS1_11comp_targetILNS1_3genE9ELNS1_11target_archE1100ELNS1_3gpuE3ELNS1_3repE0EEENS1_30default_config_static_selectorELNS0_4arch9wavefront6targetE1EEEvT1_
	.p2align	8
	.type	_ZN7rocprim17ROCPRIM_400000_NS6detail17trampoline_kernelINS0_14default_configENS1_20scan_config_selectorIiEEZZNS1_9scan_implILNS1_25lookback_scan_determinismE0ELb0ELb0ES3_PiS8_iN6thrust23THRUST_200600_302600_NS4plusIvEEiEEDaPvRmT3_T4_T5_mT6_P12ihipStream_tbENKUlT_T0_E_clISt17integral_constantIbLb1EESP_IbLb0EEEEDaSL_SM_EUlSL_E_NS1_11comp_targetILNS1_3genE9ELNS1_11target_archE1100ELNS1_3gpuE3ELNS1_3repE0EEENS1_30default_config_static_selectorELNS0_4arch9wavefront6targetE1EEEvT1_,@function
_ZN7rocprim17ROCPRIM_400000_NS6detail17trampoline_kernelINS0_14default_configENS1_20scan_config_selectorIiEEZZNS1_9scan_implILNS1_25lookback_scan_determinismE0ELb0ELb0ES3_PiS8_iN6thrust23THRUST_200600_302600_NS4plusIvEEiEEDaPvRmT3_T4_T5_mT6_P12ihipStream_tbENKUlT_T0_E_clISt17integral_constantIbLb1EESP_IbLb0EEEEDaSL_SM_EUlSL_E_NS1_11comp_targetILNS1_3genE9ELNS1_11target_archE1100ELNS1_3gpuE3ELNS1_3repE0EEENS1_30default_config_static_selectorELNS0_4arch9wavefront6targetE1EEEvT1_: ; @_ZN7rocprim17ROCPRIM_400000_NS6detail17trampoline_kernelINS0_14default_configENS1_20scan_config_selectorIiEEZZNS1_9scan_implILNS1_25lookback_scan_determinismE0ELb0ELb0ES3_PiS8_iN6thrust23THRUST_200600_302600_NS4plusIvEEiEEDaPvRmT3_T4_T5_mT6_P12ihipStream_tbENKUlT_T0_E_clISt17integral_constantIbLb1EESP_IbLb0EEEEDaSL_SM_EUlSL_E_NS1_11comp_targetILNS1_3genE9ELNS1_11target_archE1100ELNS1_3gpuE3ELNS1_3repE0EEENS1_30default_config_static_selectorELNS0_4arch9wavefront6targetE1EEEvT1_
; %bb.0:
	.section	.rodata,"a",@progbits
	.p2align	6, 0x0
	.amdhsa_kernel _ZN7rocprim17ROCPRIM_400000_NS6detail17trampoline_kernelINS0_14default_configENS1_20scan_config_selectorIiEEZZNS1_9scan_implILNS1_25lookback_scan_determinismE0ELb0ELb0ES3_PiS8_iN6thrust23THRUST_200600_302600_NS4plusIvEEiEEDaPvRmT3_T4_T5_mT6_P12ihipStream_tbENKUlT_T0_E_clISt17integral_constantIbLb1EESP_IbLb0EEEEDaSL_SM_EUlSL_E_NS1_11comp_targetILNS1_3genE9ELNS1_11target_archE1100ELNS1_3gpuE3ELNS1_3repE0EEENS1_30default_config_static_selectorELNS0_4arch9wavefront6targetE1EEEvT1_
		.amdhsa_group_segment_fixed_size 0
		.amdhsa_private_segment_fixed_size 0
		.amdhsa_kernarg_size 96
		.amdhsa_user_sgpr_count 6
		.amdhsa_user_sgpr_private_segment_buffer 1
		.amdhsa_user_sgpr_dispatch_ptr 0
		.amdhsa_user_sgpr_queue_ptr 0
		.amdhsa_user_sgpr_kernarg_segment_ptr 1
		.amdhsa_user_sgpr_dispatch_id 0
		.amdhsa_user_sgpr_flat_scratch_init 0
		.amdhsa_user_sgpr_kernarg_preload_length 0
		.amdhsa_user_sgpr_kernarg_preload_offset 0
		.amdhsa_user_sgpr_private_segment_size 0
		.amdhsa_uses_dynamic_stack 0
		.amdhsa_system_sgpr_private_segment_wavefront_offset 0
		.amdhsa_system_sgpr_workgroup_id_x 1
		.amdhsa_system_sgpr_workgroup_id_y 0
		.amdhsa_system_sgpr_workgroup_id_z 0
		.amdhsa_system_sgpr_workgroup_info 0
		.amdhsa_system_vgpr_workitem_id 0
		.amdhsa_next_free_vgpr 1
		.amdhsa_next_free_sgpr 0
		.amdhsa_accum_offset 4
		.amdhsa_reserve_vcc 0
		.amdhsa_reserve_flat_scratch 0
		.amdhsa_float_round_mode_32 0
		.amdhsa_float_round_mode_16_64 0
		.amdhsa_float_denorm_mode_32 3
		.amdhsa_float_denorm_mode_16_64 3
		.amdhsa_dx10_clamp 1
		.amdhsa_ieee_mode 1
		.amdhsa_fp16_overflow 0
		.amdhsa_tg_split 0
		.amdhsa_exception_fp_ieee_invalid_op 0
		.amdhsa_exception_fp_denorm_src 0
		.amdhsa_exception_fp_ieee_div_zero 0
		.amdhsa_exception_fp_ieee_overflow 0
		.amdhsa_exception_fp_ieee_underflow 0
		.amdhsa_exception_fp_ieee_inexact 0
		.amdhsa_exception_int_div_zero 0
	.end_amdhsa_kernel
	.section	.text._ZN7rocprim17ROCPRIM_400000_NS6detail17trampoline_kernelINS0_14default_configENS1_20scan_config_selectorIiEEZZNS1_9scan_implILNS1_25lookback_scan_determinismE0ELb0ELb0ES3_PiS8_iN6thrust23THRUST_200600_302600_NS4plusIvEEiEEDaPvRmT3_T4_T5_mT6_P12ihipStream_tbENKUlT_T0_E_clISt17integral_constantIbLb1EESP_IbLb0EEEEDaSL_SM_EUlSL_E_NS1_11comp_targetILNS1_3genE9ELNS1_11target_archE1100ELNS1_3gpuE3ELNS1_3repE0EEENS1_30default_config_static_selectorELNS0_4arch9wavefront6targetE1EEEvT1_,"axG",@progbits,_ZN7rocprim17ROCPRIM_400000_NS6detail17trampoline_kernelINS0_14default_configENS1_20scan_config_selectorIiEEZZNS1_9scan_implILNS1_25lookback_scan_determinismE0ELb0ELb0ES3_PiS8_iN6thrust23THRUST_200600_302600_NS4plusIvEEiEEDaPvRmT3_T4_T5_mT6_P12ihipStream_tbENKUlT_T0_E_clISt17integral_constantIbLb1EESP_IbLb0EEEEDaSL_SM_EUlSL_E_NS1_11comp_targetILNS1_3genE9ELNS1_11target_archE1100ELNS1_3gpuE3ELNS1_3repE0EEENS1_30default_config_static_selectorELNS0_4arch9wavefront6targetE1EEEvT1_,comdat
.Lfunc_end73:
	.size	_ZN7rocprim17ROCPRIM_400000_NS6detail17trampoline_kernelINS0_14default_configENS1_20scan_config_selectorIiEEZZNS1_9scan_implILNS1_25lookback_scan_determinismE0ELb0ELb0ES3_PiS8_iN6thrust23THRUST_200600_302600_NS4plusIvEEiEEDaPvRmT3_T4_T5_mT6_P12ihipStream_tbENKUlT_T0_E_clISt17integral_constantIbLb1EESP_IbLb0EEEEDaSL_SM_EUlSL_E_NS1_11comp_targetILNS1_3genE9ELNS1_11target_archE1100ELNS1_3gpuE3ELNS1_3repE0EEENS1_30default_config_static_selectorELNS0_4arch9wavefront6targetE1EEEvT1_, .Lfunc_end73-_ZN7rocprim17ROCPRIM_400000_NS6detail17trampoline_kernelINS0_14default_configENS1_20scan_config_selectorIiEEZZNS1_9scan_implILNS1_25lookback_scan_determinismE0ELb0ELb0ES3_PiS8_iN6thrust23THRUST_200600_302600_NS4plusIvEEiEEDaPvRmT3_T4_T5_mT6_P12ihipStream_tbENKUlT_T0_E_clISt17integral_constantIbLb1EESP_IbLb0EEEEDaSL_SM_EUlSL_E_NS1_11comp_targetILNS1_3genE9ELNS1_11target_archE1100ELNS1_3gpuE3ELNS1_3repE0EEENS1_30default_config_static_selectorELNS0_4arch9wavefront6targetE1EEEvT1_
                                        ; -- End function
	.section	.AMDGPU.csdata,"",@progbits
; Kernel info:
; codeLenInByte = 0
; NumSgprs: 4
; NumVgprs: 0
; NumAgprs: 0
; TotalNumVgprs: 0
; ScratchSize: 0
; MemoryBound: 0
; FloatMode: 240
; IeeeMode: 1
; LDSByteSize: 0 bytes/workgroup (compile time only)
; SGPRBlocks: 0
; VGPRBlocks: 0
; NumSGPRsForWavesPerEU: 4
; NumVGPRsForWavesPerEU: 1
; AccumOffset: 4
; Occupancy: 8
; WaveLimiterHint : 0
; COMPUTE_PGM_RSRC2:SCRATCH_EN: 0
; COMPUTE_PGM_RSRC2:USER_SGPR: 6
; COMPUTE_PGM_RSRC2:TRAP_HANDLER: 0
; COMPUTE_PGM_RSRC2:TGID_X_EN: 1
; COMPUTE_PGM_RSRC2:TGID_Y_EN: 0
; COMPUTE_PGM_RSRC2:TGID_Z_EN: 0
; COMPUTE_PGM_RSRC2:TIDIG_COMP_CNT: 0
; COMPUTE_PGM_RSRC3_GFX90A:ACCUM_OFFSET: 0
; COMPUTE_PGM_RSRC3_GFX90A:TG_SPLIT: 0
	.section	.text._ZN7rocprim17ROCPRIM_400000_NS6detail17trampoline_kernelINS0_14default_configENS1_20scan_config_selectorIiEEZZNS1_9scan_implILNS1_25lookback_scan_determinismE0ELb0ELb0ES3_PiS8_iN6thrust23THRUST_200600_302600_NS4plusIvEEiEEDaPvRmT3_T4_T5_mT6_P12ihipStream_tbENKUlT_T0_E_clISt17integral_constantIbLb1EESP_IbLb0EEEEDaSL_SM_EUlSL_E_NS1_11comp_targetILNS1_3genE8ELNS1_11target_archE1030ELNS1_3gpuE2ELNS1_3repE0EEENS1_30default_config_static_selectorELNS0_4arch9wavefront6targetE1EEEvT1_,"axG",@progbits,_ZN7rocprim17ROCPRIM_400000_NS6detail17trampoline_kernelINS0_14default_configENS1_20scan_config_selectorIiEEZZNS1_9scan_implILNS1_25lookback_scan_determinismE0ELb0ELb0ES3_PiS8_iN6thrust23THRUST_200600_302600_NS4plusIvEEiEEDaPvRmT3_T4_T5_mT6_P12ihipStream_tbENKUlT_T0_E_clISt17integral_constantIbLb1EESP_IbLb0EEEEDaSL_SM_EUlSL_E_NS1_11comp_targetILNS1_3genE8ELNS1_11target_archE1030ELNS1_3gpuE2ELNS1_3repE0EEENS1_30default_config_static_selectorELNS0_4arch9wavefront6targetE1EEEvT1_,comdat
	.protected	_ZN7rocprim17ROCPRIM_400000_NS6detail17trampoline_kernelINS0_14default_configENS1_20scan_config_selectorIiEEZZNS1_9scan_implILNS1_25lookback_scan_determinismE0ELb0ELb0ES3_PiS8_iN6thrust23THRUST_200600_302600_NS4plusIvEEiEEDaPvRmT3_T4_T5_mT6_P12ihipStream_tbENKUlT_T0_E_clISt17integral_constantIbLb1EESP_IbLb0EEEEDaSL_SM_EUlSL_E_NS1_11comp_targetILNS1_3genE8ELNS1_11target_archE1030ELNS1_3gpuE2ELNS1_3repE0EEENS1_30default_config_static_selectorELNS0_4arch9wavefront6targetE1EEEvT1_ ; -- Begin function _ZN7rocprim17ROCPRIM_400000_NS6detail17trampoline_kernelINS0_14default_configENS1_20scan_config_selectorIiEEZZNS1_9scan_implILNS1_25lookback_scan_determinismE0ELb0ELb0ES3_PiS8_iN6thrust23THRUST_200600_302600_NS4plusIvEEiEEDaPvRmT3_T4_T5_mT6_P12ihipStream_tbENKUlT_T0_E_clISt17integral_constantIbLb1EESP_IbLb0EEEEDaSL_SM_EUlSL_E_NS1_11comp_targetILNS1_3genE8ELNS1_11target_archE1030ELNS1_3gpuE2ELNS1_3repE0EEENS1_30default_config_static_selectorELNS0_4arch9wavefront6targetE1EEEvT1_
	.globl	_ZN7rocprim17ROCPRIM_400000_NS6detail17trampoline_kernelINS0_14default_configENS1_20scan_config_selectorIiEEZZNS1_9scan_implILNS1_25lookback_scan_determinismE0ELb0ELb0ES3_PiS8_iN6thrust23THRUST_200600_302600_NS4plusIvEEiEEDaPvRmT3_T4_T5_mT6_P12ihipStream_tbENKUlT_T0_E_clISt17integral_constantIbLb1EESP_IbLb0EEEEDaSL_SM_EUlSL_E_NS1_11comp_targetILNS1_3genE8ELNS1_11target_archE1030ELNS1_3gpuE2ELNS1_3repE0EEENS1_30default_config_static_selectorELNS0_4arch9wavefront6targetE1EEEvT1_
	.p2align	8
	.type	_ZN7rocprim17ROCPRIM_400000_NS6detail17trampoline_kernelINS0_14default_configENS1_20scan_config_selectorIiEEZZNS1_9scan_implILNS1_25lookback_scan_determinismE0ELb0ELb0ES3_PiS8_iN6thrust23THRUST_200600_302600_NS4plusIvEEiEEDaPvRmT3_T4_T5_mT6_P12ihipStream_tbENKUlT_T0_E_clISt17integral_constantIbLb1EESP_IbLb0EEEEDaSL_SM_EUlSL_E_NS1_11comp_targetILNS1_3genE8ELNS1_11target_archE1030ELNS1_3gpuE2ELNS1_3repE0EEENS1_30default_config_static_selectorELNS0_4arch9wavefront6targetE1EEEvT1_,@function
_ZN7rocprim17ROCPRIM_400000_NS6detail17trampoline_kernelINS0_14default_configENS1_20scan_config_selectorIiEEZZNS1_9scan_implILNS1_25lookback_scan_determinismE0ELb0ELb0ES3_PiS8_iN6thrust23THRUST_200600_302600_NS4plusIvEEiEEDaPvRmT3_T4_T5_mT6_P12ihipStream_tbENKUlT_T0_E_clISt17integral_constantIbLb1EESP_IbLb0EEEEDaSL_SM_EUlSL_E_NS1_11comp_targetILNS1_3genE8ELNS1_11target_archE1030ELNS1_3gpuE2ELNS1_3repE0EEENS1_30default_config_static_selectorELNS0_4arch9wavefront6targetE1EEEvT1_: ; @_ZN7rocprim17ROCPRIM_400000_NS6detail17trampoline_kernelINS0_14default_configENS1_20scan_config_selectorIiEEZZNS1_9scan_implILNS1_25lookback_scan_determinismE0ELb0ELb0ES3_PiS8_iN6thrust23THRUST_200600_302600_NS4plusIvEEiEEDaPvRmT3_T4_T5_mT6_P12ihipStream_tbENKUlT_T0_E_clISt17integral_constantIbLb1EESP_IbLb0EEEEDaSL_SM_EUlSL_E_NS1_11comp_targetILNS1_3genE8ELNS1_11target_archE1030ELNS1_3gpuE2ELNS1_3repE0EEENS1_30default_config_static_selectorELNS0_4arch9wavefront6targetE1EEEvT1_
; %bb.0:
	.section	.rodata,"a",@progbits
	.p2align	6, 0x0
	.amdhsa_kernel _ZN7rocprim17ROCPRIM_400000_NS6detail17trampoline_kernelINS0_14default_configENS1_20scan_config_selectorIiEEZZNS1_9scan_implILNS1_25lookback_scan_determinismE0ELb0ELb0ES3_PiS8_iN6thrust23THRUST_200600_302600_NS4plusIvEEiEEDaPvRmT3_T4_T5_mT6_P12ihipStream_tbENKUlT_T0_E_clISt17integral_constantIbLb1EESP_IbLb0EEEEDaSL_SM_EUlSL_E_NS1_11comp_targetILNS1_3genE8ELNS1_11target_archE1030ELNS1_3gpuE2ELNS1_3repE0EEENS1_30default_config_static_selectorELNS0_4arch9wavefront6targetE1EEEvT1_
		.amdhsa_group_segment_fixed_size 0
		.amdhsa_private_segment_fixed_size 0
		.amdhsa_kernarg_size 96
		.amdhsa_user_sgpr_count 6
		.amdhsa_user_sgpr_private_segment_buffer 1
		.amdhsa_user_sgpr_dispatch_ptr 0
		.amdhsa_user_sgpr_queue_ptr 0
		.amdhsa_user_sgpr_kernarg_segment_ptr 1
		.amdhsa_user_sgpr_dispatch_id 0
		.amdhsa_user_sgpr_flat_scratch_init 0
		.amdhsa_user_sgpr_kernarg_preload_length 0
		.amdhsa_user_sgpr_kernarg_preload_offset 0
		.amdhsa_user_sgpr_private_segment_size 0
		.amdhsa_uses_dynamic_stack 0
		.amdhsa_system_sgpr_private_segment_wavefront_offset 0
		.amdhsa_system_sgpr_workgroup_id_x 1
		.amdhsa_system_sgpr_workgroup_id_y 0
		.amdhsa_system_sgpr_workgroup_id_z 0
		.amdhsa_system_sgpr_workgroup_info 0
		.amdhsa_system_vgpr_workitem_id 0
		.amdhsa_next_free_vgpr 1
		.amdhsa_next_free_sgpr 0
		.amdhsa_accum_offset 4
		.amdhsa_reserve_vcc 0
		.amdhsa_reserve_flat_scratch 0
		.amdhsa_float_round_mode_32 0
		.amdhsa_float_round_mode_16_64 0
		.amdhsa_float_denorm_mode_32 3
		.amdhsa_float_denorm_mode_16_64 3
		.amdhsa_dx10_clamp 1
		.amdhsa_ieee_mode 1
		.amdhsa_fp16_overflow 0
		.amdhsa_tg_split 0
		.amdhsa_exception_fp_ieee_invalid_op 0
		.amdhsa_exception_fp_denorm_src 0
		.amdhsa_exception_fp_ieee_div_zero 0
		.amdhsa_exception_fp_ieee_overflow 0
		.amdhsa_exception_fp_ieee_underflow 0
		.amdhsa_exception_fp_ieee_inexact 0
		.amdhsa_exception_int_div_zero 0
	.end_amdhsa_kernel
	.section	.text._ZN7rocprim17ROCPRIM_400000_NS6detail17trampoline_kernelINS0_14default_configENS1_20scan_config_selectorIiEEZZNS1_9scan_implILNS1_25lookback_scan_determinismE0ELb0ELb0ES3_PiS8_iN6thrust23THRUST_200600_302600_NS4plusIvEEiEEDaPvRmT3_T4_T5_mT6_P12ihipStream_tbENKUlT_T0_E_clISt17integral_constantIbLb1EESP_IbLb0EEEEDaSL_SM_EUlSL_E_NS1_11comp_targetILNS1_3genE8ELNS1_11target_archE1030ELNS1_3gpuE2ELNS1_3repE0EEENS1_30default_config_static_selectorELNS0_4arch9wavefront6targetE1EEEvT1_,"axG",@progbits,_ZN7rocprim17ROCPRIM_400000_NS6detail17trampoline_kernelINS0_14default_configENS1_20scan_config_selectorIiEEZZNS1_9scan_implILNS1_25lookback_scan_determinismE0ELb0ELb0ES3_PiS8_iN6thrust23THRUST_200600_302600_NS4plusIvEEiEEDaPvRmT3_T4_T5_mT6_P12ihipStream_tbENKUlT_T0_E_clISt17integral_constantIbLb1EESP_IbLb0EEEEDaSL_SM_EUlSL_E_NS1_11comp_targetILNS1_3genE8ELNS1_11target_archE1030ELNS1_3gpuE2ELNS1_3repE0EEENS1_30default_config_static_selectorELNS0_4arch9wavefront6targetE1EEEvT1_,comdat
.Lfunc_end74:
	.size	_ZN7rocprim17ROCPRIM_400000_NS6detail17trampoline_kernelINS0_14default_configENS1_20scan_config_selectorIiEEZZNS1_9scan_implILNS1_25lookback_scan_determinismE0ELb0ELb0ES3_PiS8_iN6thrust23THRUST_200600_302600_NS4plusIvEEiEEDaPvRmT3_T4_T5_mT6_P12ihipStream_tbENKUlT_T0_E_clISt17integral_constantIbLb1EESP_IbLb0EEEEDaSL_SM_EUlSL_E_NS1_11comp_targetILNS1_3genE8ELNS1_11target_archE1030ELNS1_3gpuE2ELNS1_3repE0EEENS1_30default_config_static_selectorELNS0_4arch9wavefront6targetE1EEEvT1_, .Lfunc_end74-_ZN7rocprim17ROCPRIM_400000_NS6detail17trampoline_kernelINS0_14default_configENS1_20scan_config_selectorIiEEZZNS1_9scan_implILNS1_25lookback_scan_determinismE0ELb0ELb0ES3_PiS8_iN6thrust23THRUST_200600_302600_NS4plusIvEEiEEDaPvRmT3_T4_T5_mT6_P12ihipStream_tbENKUlT_T0_E_clISt17integral_constantIbLb1EESP_IbLb0EEEEDaSL_SM_EUlSL_E_NS1_11comp_targetILNS1_3genE8ELNS1_11target_archE1030ELNS1_3gpuE2ELNS1_3repE0EEENS1_30default_config_static_selectorELNS0_4arch9wavefront6targetE1EEEvT1_
                                        ; -- End function
	.section	.AMDGPU.csdata,"",@progbits
; Kernel info:
; codeLenInByte = 0
; NumSgprs: 4
; NumVgprs: 0
; NumAgprs: 0
; TotalNumVgprs: 0
; ScratchSize: 0
; MemoryBound: 0
; FloatMode: 240
; IeeeMode: 1
; LDSByteSize: 0 bytes/workgroup (compile time only)
; SGPRBlocks: 0
; VGPRBlocks: 0
; NumSGPRsForWavesPerEU: 4
; NumVGPRsForWavesPerEU: 1
; AccumOffset: 4
; Occupancy: 8
; WaveLimiterHint : 0
; COMPUTE_PGM_RSRC2:SCRATCH_EN: 0
; COMPUTE_PGM_RSRC2:USER_SGPR: 6
; COMPUTE_PGM_RSRC2:TRAP_HANDLER: 0
; COMPUTE_PGM_RSRC2:TGID_X_EN: 1
; COMPUTE_PGM_RSRC2:TGID_Y_EN: 0
; COMPUTE_PGM_RSRC2:TGID_Z_EN: 0
; COMPUTE_PGM_RSRC2:TIDIG_COMP_CNT: 0
; COMPUTE_PGM_RSRC3_GFX90A:ACCUM_OFFSET: 0
; COMPUTE_PGM_RSRC3_GFX90A:TG_SPLIT: 0
	.section	.text._ZN7rocprim17ROCPRIM_400000_NS6detail17trampoline_kernelINS0_14default_configENS1_20scan_config_selectorIiEEZZNS1_9scan_implILNS1_25lookback_scan_determinismE0ELb0ELb0ES3_PiS8_iN6thrust23THRUST_200600_302600_NS4plusIvEEiEEDaPvRmT3_T4_T5_mT6_P12ihipStream_tbENKUlT_T0_E_clISt17integral_constantIbLb1EESP_IbLb0EEEEDaSL_SM_EUlSL_E0_NS1_11comp_targetILNS1_3genE0ELNS1_11target_archE4294967295ELNS1_3gpuE0ELNS1_3repE0EEENS1_30default_config_static_selectorELNS0_4arch9wavefront6targetE1EEEvT1_,"axG",@progbits,_ZN7rocprim17ROCPRIM_400000_NS6detail17trampoline_kernelINS0_14default_configENS1_20scan_config_selectorIiEEZZNS1_9scan_implILNS1_25lookback_scan_determinismE0ELb0ELb0ES3_PiS8_iN6thrust23THRUST_200600_302600_NS4plusIvEEiEEDaPvRmT3_T4_T5_mT6_P12ihipStream_tbENKUlT_T0_E_clISt17integral_constantIbLb1EESP_IbLb0EEEEDaSL_SM_EUlSL_E0_NS1_11comp_targetILNS1_3genE0ELNS1_11target_archE4294967295ELNS1_3gpuE0ELNS1_3repE0EEENS1_30default_config_static_selectorELNS0_4arch9wavefront6targetE1EEEvT1_,comdat
	.protected	_ZN7rocprim17ROCPRIM_400000_NS6detail17trampoline_kernelINS0_14default_configENS1_20scan_config_selectorIiEEZZNS1_9scan_implILNS1_25lookback_scan_determinismE0ELb0ELb0ES3_PiS8_iN6thrust23THRUST_200600_302600_NS4plusIvEEiEEDaPvRmT3_T4_T5_mT6_P12ihipStream_tbENKUlT_T0_E_clISt17integral_constantIbLb1EESP_IbLb0EEEEDaSL_SM_EUlSL_E0_NS1_11comp_targetILNS1_3genE0ELNS1_11target_archE4294967295ELNS1_3gpuE0ELNS1_3repE0EEENS1_30default_config_static_selectorELNS0_4arch9wavefront6targetE1EEEvT1_ ; -- Begin function _ZN7rocprim17ROCPRIM_400000_NS6detail17trampoline_kernelINS0_14default_configENS1_20scan_config_selectorIiEEZZNS1_9scan_implILNS1_25lookback_scan_determinismE0ELb0ELb0ES3_PiS8_iN6thrust23THRUST_200600_302600_NS4plusIvEEiEEDaPvRmT3_T4_T5_mT6_P12ihipStream_tbENKUlT_T0_E_clISt17integral_constantIbLb1EESP_IbLb0EEEEDaSL_SM_EUlSL_E0_NS1_11comp_targetILNS1_3genE0ELNS1_11target_archE4294967295ELNS1_3gpuE0ELNS1_3repE0EEENS1_30default_config_static_selectorELNS0_4arch9wavefront6targetE1EEEvT1_
	.globl	_ZN7rocprim17ROCPRIM_400000_NS6detail17trampoline_kernelINS0_14default_configENS1_20scan_config_selectorIiEEZZNS1_9scan_implILNS1_25lookback_scan_determinismE0ELb0ELb0ES3_PiS8_iN6thrust23THRUST_200600_302600_NS4plusIvEEiEEDaPvRmT3_T4_T5_mT6_P12ihipStream_tbENKUlT_T0_E_clISt17integral_constantIbLb1EESP_IbLb0EEEEDaSL_SM_EUlSL_E0_NS1_11comp_targetILNS1_3genE0ELNS1_11target_archE4294967295ELNS1_3gpuE0ELNS1_3repE0EEENS1_30default_config_static_selectorELNS0_4arch9wavefront6targetE1EEEvT1_
	.p2align	8
	.type	_ZN7rocprim17ROCPRIM_400000_NS6detail17trampoline_kernelINS0_14default_configENS1_20scan_config_selectorIiEEZZNS1_9scan_implILNS1_25lookback_scan_determinismE0ELb0ELb0ES3_PiS8_iN6thrust23THRUST_200600_302600_NS4plusIvEEiEEDaPvRmT3_T4_T5_mT6_P12ihipStream_tbENKUlT_T0_E_clISt17integral_constantIbLb1EESP_IbLb0EEEEDaSL_SM_EUlSL_E0_NS1_11comp_targetILNS1_3genE0ELNS1_11target_archE4294967295ELNS1_3gpuE0ELNS1_3repE0EEENS1_30default_config_static_selectorELNS0_4arch9wavefront6targetE1EEEvT1_,@function
_ZN7rocprim17ROCPRIM_400000_NS6detail17trampoline_kernelINS0_14default_configENS1_20scan_config_selectorIiEEZZNS1_9scan_implILNS1_25lookback_scan_determinismE0ELb0ELb0ES3_PiS8_iN6thrust23THRUST_200600_302600_NS4plusIvEEiEEDaPvRmT3_T4_T5_mT6_P12ihipStream_tbENKUlT_T0_E_clISt17integral_constantIbLb1EESP_IbLb0EEEEDaSL_SM_EUlSL_E0_NS1_11comp_targetILNS1_3genE0ELNS1_11target_archE4294967295ELNS1_3gpuE0ELNS1_3repE0EEENS1_30default_config_static_selectorELNS0_4arch9wavefront6targetE1EEEvT1_: ; @_ZN7rocprim17ROCPRIM_400000_NS6detail17trampoline_kernelINS0_14default_configENS1_20scan_config_selectorIiEEZZNS1_9scan_implILNS1_25lookback_scan_determinismE0ELb0ELb0ES3_PiS8_iN6thrust23THRUST_200600_302600_NS4plusIvEEiEEDaPvRmT3_T4_T5_mT6_P12ihipStream_tbENKUlT_T0_E_clISt17integral_constantIbLb1EESP_IbLb0EEEEDaSL_SM_EUlSL_E0_NS1_11comp_targetILNS1_3genE0ELNS1_11target_archE4294967295ELNS1_3gpuE0ELNS1_3repE0EEENS1_30default_config_static_selectorELNS0_4arch9wavefront6targetE1EEEvT1_
; %bb.0:
	.section	.rodata,"a",@progbits
	.p2align	6, 0x0
	.amdhsa_kernel _ZN7rocprim17ROCPRIM_400000_NS6detail17trampoline_kernelINS0_14default_configENS1_20scan_config_selectorIiEEZZNS1_9scan_implILNS1_25lookback_scan_determinismE0ELb0ELb0ES3_PiS8_iN6thrust23THRUST_200600_302600_NS4plusIvEEiEEDaPvRmT3_T4_T5_mT6_P12ihipStream_tbENKUlT_T0_E_clISt17integral_constantIbLb1EESP_IbLb0EEEEDaSL_SM_EUlSL_E0_NS1_11comp_targetILNS1_3genE0ELNS1_11target_archE4294967295ELNS1_3gpuE0ELNS1_3repE0EEENS1_30default_config_static_selectorELNS0_4arch9wavefront6targetE1EEEvT1_
		.amdhsa_group_segment_fixed_size 0
		.amdhsa_private_segment_fixed_size 0
		.amdhsa_kernarg_size 32
		.amdhsa_user_sgpr_count 6
		.amdhsa_user_sgpr_private_segment_buffer 1
		.amdhsa_user_sgpr_dispatch_ptr 0
		.amdhsa_user_sgpr_queue_ptr 0
		.amdhsa_user_sgpr_kernarg_segment_ptr 1
		.amdhsa_user_sgpr_dispatch_id 0
		.amdhsa_user_sgpr_flat_scratch_init 0
		.amdhsa_user_sgpr_kernarg_preload_length 0
		.amdhsa_user_sgpr_kernarg_preload_offset 0
		.amdhsa_user_sgpr_private_segment_size 0
		.amdhsa_uses_dynamic_stack 0
		.amdhsa_system_sgpr_private_segment_wavefront_offset 0
		.amdhsa_system_sgpr_workgroup_id_x 1
		.amdhsa_system_sgpr_workgroup_id_y 0
		.amdhsa_system_sgpr_workgroup_id_z 0
		.amdhsa_system_sgpr_workgroup_info 0
		.amdhsa_system_vgpr_workitem_id 0
		.amdhsa_next_free_vgpr 1
		.amdhsa_next_free_sgpr 0
		.amdhsa_accum_offset 4
		.amdhsa_reserve_vcc 0
		.amdhsa_reserve_flat_scratch 0
		.amdhsa_float_round_mode_32 0
		.amdhsa_float_round_mode_16_64 0
		.amdhsa_float_denorm_mode_32 3
		.amdhsa_float_denorm_mode_16_64 3
		.amdhsa_dx10_clamp 1
		.amdhsa_ieee_mode 1
		.amdhsa_fp16_overflow 0
		.amdhsa_tg_split 0
		.amdhsa_exception_fp_ieee_invalid_op 0
		.amdhsa_exception_fp_denorm_src 0
		.amdhsa_exception_fp_ieee_div_zero 0
		.amdhsa_exception_fp_ieee_overflow 0
		.amdhsa_exception_fp_ieee_underflow 0
		.amdhsa_exception_fp_ieee_inexact 0
		.amdhsa_exception_int_div_zero 0
	.end_amdhsa_kernel
	.section	.text._ZN7rocprim17ROCPRIM_400000_NS6detail17trampoline_kernelINS0_14default_configENS1_20scan_config_selectorIiEEZZNS1_9scan_implILNS1_25lookback_scan_determinismE0ELb0ELb0ES3_PiS8_iN6thrust23THRUST_200600_302600_NS4plusIvEEiEEDaPvRmT3_T4_T5_mT6_P12ihipStream_tbENKUlT_T0_E_clISt17integral_constantIbLb1EESP_IbLb0EEEEDaSL_SM_EUlSL_E0_NS1_11comp_targetILNS1_3genE0ELNS1_11target_archE4294967295ELNS1_3gpuE0ELNS1_3repE0EEENS1_30default_config_static_selectorELNS0_4arch9wavefront6targetE1EEEvT1_,"axG",@progbits,_ZN7rocprim17ROCPRIM_400000_NS6detail17trampoline_kernelINS0_14default_configENS1_20scan_config_selectorIiEEZZNS1_9scan_implILNS1_25lookback_scan_determinismE0ELb0ELb0ES3_PiS8_iN6thrust23THRUST_200600_302600_NS4plusIvEEiEEDaPvRmT3_T4_T5_mT6_P12ihipStream_tbENKUlT_T0_E_clISt17integral_constantIbLb1EESP_IbLb0EEEEDaSL_SM_EUlSL_E0_NS1_11comp_targetILNS1_3genE0ELNS1_11target_archE4294967295ELNS1_3gpuE0ELNS1_3repE0EEENS1_30default_config_static_selectorELNS0_4arch9wavefront6targetE1EEEvT1_,comdat
.Lfunc_end75:
	.size	_ZN7rocprim17ROCPRIM_400000_NS6detail17trampoline_kernelINS0_14default_configENS1_20scan_config_selectorIiEEZZNS1_9scan_implILNS1_25lookback_scan_determinismE0ELb0ELb0ES3_PiS8_iN6thrust23THRUST_200600_302600_NS4plusIvEEiEEDaPvRmT3_T4_T5_mT6_P12ihipStream_tbENKUlT_T0_E_clISt17integral_constantIbLb1EESP_IbLb0EEEEDaSL_SM_EUlSL_E0_NS1_11comp_targetILNS1_3genE0ELNS1_11target_archE4294967295ELNS1_3gpuE0ELNS1_3repE0EEENS1_30default_config_static_selectorELNS0_4arch9wavefront6targetE1EEEvT1_, .Lfunc_end75-_ZN7rocprim17ROCPRIM_400000_NS6detail17trampoline_kernelINS0_14default_configENS1_20scan_config_selectorIiEEZZNS1_9scan_implILNS1_25lookback_scan_determinismE0ELb0ELb0ES3_PiS8_iN6thrust23THRUST_200600_302600_NS4plusIvEEiEEDaPvRmT3_T4_T5_mT6_P12ihipStream_tbENKUlT_T0_E_clISt17integral_constantIbLb1EESP_IbLb0EEEEDaSL_SM_EUlSL_E0_NS1_11comp_targetILNS1_3genE0ELNS1_11target_archE4294967295ELNS1_3gpuE0ELNS1_3repE0EEENS1_30default_config_static_selectorELNS0_4arch9wavefront6targetE1EEEvT1_
                                        ; -- End function
	.section	.AMDGPU.csdata,"",@progbits
; Kernel info:
; codeLenInByte = 0
; NumSgprs: 4
; NumVgprs: 0
; NumAgprs: 0
; TotalNumVgprs: 0
; ScratchSize: 0
; MemoryBound: 0
; FloatMode: 240
; IeeeMode: 1
; LDSByteSize: 0 bytes/workgroup (compile time only)
; SGPRBlocks: 0
; VGPRBlocks: 0
; NumSGPRsForWavesPerEU: 4
; NumVGPRsForWavesPerEU: 1
; AccumOffset: 4
; Occupancy: 8
; WaveLimiterHint : 0
; COMPUTE_PGM_RSRC2:SCRATCH_EN: 0
; COMPUTE_PGM_RSRC2:USER_SGPR: 6
; COMPUTE_PGM_RSRC2:TRAP_HANDLER: 0
; COMPUTE_PGM_RSRC2:TGID_X_EN: 1
; COMPUTE_PGM_RSRC2:TGID_Y_EN: 0
; COMPUTE_PGM_RSRC2:TGID_Z_EN: 0
; COMPUTE_PGM_RSRC2:TIDIG_COMP_CNT: 0
; COMPUTE_PGM_RSRC3_GFX90A:ACCUM_OFFSET: 0
; COMPUTE_PGM_RSRC3_GFX90A:TG_SPLIT: 0
	.section	.text._ZN7rocprim17ROCPRIM_400000_NS6detail17trampoline_kernelINS0_14default_configENS1_20scan_config_selectorIiEEZZNS1_9scan_implILNS1_25lookback_scan_determinismE0ELb0ELb0ES3_PiS8_iN6thrust23THRUST_200600_302600_NS4plusIvEEiEEDaPvRmT3_T4_T5_mT6_P12ihipStream_tbENKUlT_T0_E_clISt17integral_constantIbLb1EESP_IbLb0EEEEDaSL_SM_EUlSL_E0_NS1_11comp_targetILNS1_3genE5ELNS1_11target_archE942ELNS1_3gpuE9ELNS1_3repE0EEENS1_30default_config_static_selectorELNS0_4arch9wavefront6targetE1EEEvT1_,"axG",@progbits,_ZN7rocprim17ROCPRIM_400000_NS6detail17trampoline_kernelINS0_14default_configENS1_20scan_config_selectorIiEEZZNS1_9scan_implILNS1_25lookback_scan_determinismE0ELb0ELb0ES3_PiS8_iN6thrust23THRUST_200600_302600_NS4plusIvEEiEEDaPvRmT3_T4_T5_mT6_P12ihipStream_tbENKUlT_T0_E_clISt17integral_constantIbLb1EESP_IbLb0EEEEDaSL_SM_EUlSL_E0_NS1_11comp_targetILNS1_3genE5ELNS1_11target_archE942ELNS1_3gpuE9ELNS1_3repE0EEENS1_30default_config_static_selectorELNS0_4arch9wavefront6targetE1EEEvT1_,comdat
	.protected	_ZN7rocprim17ROCPRIM_400000_NS6detail17trampoline_kernelINS0_14default_configENS1_20scan_config_selectorIiEEZZNS1_9scan_implILNS1_25lookback_scan_determinismE0ELb0ELb0ES3_PiS8_iN6thrust23THRUST_200600_302600_NS4plusIvEEiEEDaPvRmT3_T4_T5_mT6_P12ihipStream_tbENKUlT_T0_E_clISt17integral_constantIbLb1EESP_IbLb0EEEEDaSL_SM_EUlSL_E0_NS1_11comp_targetILNS1_3genE5ELNS1_11target_archE942ELNS1_3gpuE9ELNS1_3repE0EEENS1_30default_config_static_selectorELNS0_4arch9wavefront6targetE1EEEvT1_ ; -- Begin function _ZN7rocprim17ROCPRIM_400000_NS6detail17trampoline_kernelINS0_14default_configENS1_20scan_config_selectorIiEEZZNS1_9scan_implILNS1_25lookback_scan_determinismE0ELb0ELb0ES3_PiS8_iN6thrust23THRUST_200600_302600_NS4plusIvEEiEEDaPvRmT3_T4_T5_mT6_P12ihipStream_tbENKUlT_T0_E_clISt17integral_constantIbLb1EESP_IbLb0EEEEDaSL_SM_EUlSL_E0_NS1_11comp_targetILNS1_3genE5ELNS1_11target_archE942ELNS1_3gpuE9ELNS1_3repE0EEENS1_30default_config_static_selectorELNS0_4arch9wavefront6targetE1EEEvT1_
	.globl	_ZN7rocprim17ROCPRIM_400000_NS6detail17trampoline_kernelINS0_14default_configENS1_20scan_config_selectorIiEEZZNS1_9scan_implILNS1_25lookback_scan_determinismE0ELb0ELb0ES3_PiS8_iN6thrust23THRUST_200600_302600_NS4plusIvEEiEEDaPvRmT3_T4_T5_mT6_P12ihipStream_tbENKUlT_T0_E_clISt17integral_constantIbLb1EESP_IbLb0EEEEDaSL_SM_EUlSL_E0_NS1_11comp_targetILNS1_3genE5ELNS1_11target_archE942ELNS1_3gpuE9ELNS1_3repE0EEENS1_30default_config_static_selectorELNS0_4arch9wavefront6targetE1EEEvT1_
	.p2align	8
	.type	_ZN7rocprim17ROCPRIM_400000_NS6detail17trampoline_kernelINS0_14default_configENS1_20scan_config_selectorIiEEZZNS1_9scan_implILNS1_25lookback_scan_determinismE0ELb0ELb0ES3_PiS8_iN6thrust23THRUST_200600_302600_NS4plusIvEEiEEDaPvRmT3_T4_T5_mT6_P12ihipStream_tbENKUlT_T0_E_clISt17integral_constantIbLb1EESP_IbLb0EEEEDaSL_SM_EUlSL_E0_NS1_11comp_targetILNS1_3genE5ELNS1_11target_archE942ELNS1_3gpuE9ELNS1_3repE0EEENS1_30default_config_static_selectorELNS0_4arch9wavefront6targetE1EEEvT1_,@function
_ZN7rocprim17ROCPRIM_400000_NS6detail17trampoline_kernelINS0_14default_configENS1_20scan_config_selectorIiEEZZNS1_9scan_implILNS1_25lookback_scan_determinismE0ELb0ELb0ES3_PiS8_iN6thrust23THRUST_200600_302600_NS4plusIvEEiEEDaPvRmT3_T4_T5_mT6_P12ihipStream_tbENKUlT_T0_E_clISt17integral_constantIbLb1EESP_IbLb0EEEEDaSL_SM_EUlSL_E0_NS1_11comp_targetILNS1_3genE5ELNS1_11target_archE942ELNS1_3gpuE9ELNS1_3repE0EEENS1_30default_config_static_selectorELNS0_4arch9wavefront6targetE1EEEvT1_: ; @_ZN7rocprim17ROCPRIM_400000_NS6detail17trampoline_kernelINS0_14default_configENS1_20scan_config_selectorIiEEZZNS1_9scan_implILNS1_25lookback_scan_determinismE0ELb0ELb0ES3_PiS8_iN6thrust23THRUST_200600_302600_NS4plusIvEEiEEDaPvRmT3_T4_T5_mT6_P12ihipStream_tbENKUlT_T0_E_clISt17integral_constantIbLb1EESP_IbLb0EEEEDaSL_SM_EUlSL_E0_NS1_11comp_targetILNS1_3genE5ELNS1_11target_archE942ELNS1_3gpuE9ELNS1_3repE0EEENS1_30default_config_static_selectorELNS0_4arch9wavefront6targetE1EEEvT1_
; %bb.0:
	.section	.rodata,"a",@progbits
	.p2align	6, 0x0
	.amdhsa_kernel _ZN7rocprim17ROCPRIM_400000_NS6detail17trampoline_kernelINS0_14default_configENS1_20scan_config_selectorIiEEZZNS1_9scan_implILNS1_25lookback_scan_determinismE0ELb0ELb0ES3_PiS8_iN6thrust23THRUST_200600_302600_NS4plusIvEEiEEDaPvRmT3_T4_T5_mT6_P12ihipStream_tbENKUlT_T0_E_clISt17integral_constantIbLb1EESP_IbLb0EEEEDaSL_SM_EUlSL_E0_NS1_11comp_targetILNS1_3genE5ELNS1_11target_archE942ELNS1_3gpuE9ELNS1_3repE0EEENS1_30default_config_static_selectorELNS0_4arch9wavefront6targetE1EEEvT1_
		.amdhsa_group_segment_fixed_size 0
		.amdhsa_private_segment_fixed_size 0
		.amdhsa_kernarg_size 32
		.amdhsa_user_sgpr_count 6
		.amdhsa_user_sgpr_private_segment_buffer 1
		.amdhsa_user_sgpr_dispatch_ptr 0
		.amdhsa_user_sgpr_queue_ptr 0
		.amdhsa_user_sgpr_kernarg_segment_ptr 1
		.amdhsa_user_sgpr_dispatch_id 0
		.amdhsa_user_sgpr_flat_scratch_init 0
		.amdhsa_user_sgpr_kernarg_preload_length 0
		.amdhsa_user_sgpr_kernarg_preload_offset 0
		.amdhsa_user_sgpr_private_segment_size 0
		.amdhsa_uses_dynamic_stack 0
		.amdhsa_system_sgpr_private_segment_wavefront_offset 0
		.amdhsa_system_sgpr_workgroup_id_x 1
		.amdhsa_system_sgpr_workgroup_id_y 0
		.amdhsa_system_sgpr_workgroup_id_z 0
		.amdhsa_system_sgpr_workgroup_info 0
		.amdhsa_system_vgpr_workitem_id 0
		.amdhsa_next_free_vgpr 1
		.amdhsa_next_free_sgpr 0
		.amdhsa_accum_offset 4
		.amdhsa_reserve_vcc 0
		.amdhsa_reserve_flat_scratch 0
		.amdhsa_float_round_mode_32 0
		.amdhsa_float_round_mode_16_64 0
		.amdhsa_float_denorm_mode_32 3
		.amdhsa_float_denorm_mode_16_64 3
		.amdhsa_dx10_clamp 1
		.amdhsa_ieee_mode 1
		.amdhsa_fp16_overflow 0
		.amdhsa_tg_split 0
		.amdhsa_exception_fp_ieee_invalid_op 0
		.amdhsa_exception_fp_denorm_src 0
		.amdhsa_exception_fp_ieee_div_zero 0
		.amdhsa_exception_fp_ieee_overflow 0
		.amdhsa_exception_fp_ieee_underflow 0
		.amdhsa_exception_fp_ieee_inexact 0
		.amdhsa_exception_int_div_zero 0
	.end_amdhsa_kernel
	.section	.text._ZN7rocprim17ROCPRIM_400000_NS6detail17trampoline_kernelINS0_14default_configENS1_20scan_config_selectorIiEEZZNS1_9scan_implILNS1_25lookback_scan_determinismE0ELb0ELb0ES3_PiS8_iN6thrust23THRUST_200600_302600_NS4plusIvEEiEEDaPvRmT3_T4_T5_mT6_P12ihipStream_tbENKUlT_T0_E_clISt17integral_constantIbLb1EESP_IbLb0EEEEDaSL_SM_EUlSL_E0_NS1_11comp_targetILNS1_3genE5ELNS1_11target_archE942ELNS1_3gpuE9ELNS1_3repE0EEENS1_30default_config_static_selectorELNS0_4arch9wavefront6targetE1EEEvT1_,"axG",@progbits,_ZN7rocprim17ROCPRIM_400000_NS6detail17trampoline_kernelINS0_14default_configENS1_20scan_config_selectorIiEEZZNS1_9scan_implILNS1_25lookback_scan_determinismE0ELb0ELb0ES3_PiS8_iN6thrust23THRUST_200600_302600_NS4plusIvEEiEEDaPvRmT3_T4_T5_mT6_P12ihipStream_tbENKUlT_T0_E_clISt17integral_constantIbLb1EESP_IbLb0EEEEDaSL_SM_EUlSL_E0_NS1_11comp_targetILNS1_3genE5ELNS1_11target_archE942ELNS1_3gpuE9ELNS1_3repE0EEENS1_30default_config_static_selectorELNS0_4arch9wavefront6targetE1EEEvT1_,comdat
.Lfunc_end76:
	.size	_ZN7rocprim17ROCPRIM_400000_NS6detail17trampoline_kernelINS0_14default_configENS1_20scan_config_selectorIiEEZZNS1_9scan_implILNS1_25lookback_scan_determinismE0ELb0ELb0ES3_PiS8_iN6thrust23THRUST_200600_302600_NS4plusIvEEiEEDaPvRmT3_T4_T5_mT6_P12ihipStream_tbENKUlT_T0_E_clISt17integral_constantIbLb1EESP_IbLb0EEEEDaSL_SM_EUlSL_E0_NS1_11comp_targetILNS1_3genE5ELNS1_11target_archE942ELNS1_3gpuE9ELNS1_3repE0EEENS1_30default_config_static_selectorELNS0_4arch9wavefront6targetE1EEEvT1_, .Lfunc_end76-_ZN7rocprim17ROCPRIM_400000_NS6detail17trampoline_kernelINS0_14default_configENS1_20scan_config_selectorIiEEZZNS1_9scan_implILNS1_25lookback_scan_determinismE0ELb0ELb0ES3_PiS8_iN6thrust23THRUST_200600_302600_NS4plusIvEEiEEDaPvRmT3_T4_T5_mT6_P12ihipStream_tbENKUlT_T0_E_clISt17integral_constantIbLb1EESP_IbLb0EEEEDaSL_SM_EUlSL_E0_NS1_11comp_targetILNS1_3genE5ELNS1_11target_archE942ELNS1_3gpuE9ELNS1_3repE0EEENS1_30default_config_static_selectorELNS0_4arch9wavefront6targetE1EEEvT1_
                                        ; -- End function
	.section	.AMDGPU.csdata,"",@progbits
; Kernel info:
; codeLenInByte = 0
; NumSgprs: 4
; NumVgprs: 0
; NumAgprs: 0
; TotalNumVgprs: 0
; ScratchSize: 0
; MemoryBound: 0
; FloatMode: 240
; IeeeMode: 1
; LDSByteSize: 0 bytes/workgroup (compile time only)
; SGPRBlocks: 0
; VGPRBlocks: 0
; NumSGPRsForWavesPerEU: 4
; NumVGPRsForWavesPerEU: 1
; AccumOffset: 4
; Occupancy: 8
; WaveLimiterHint : 0
; COMPUTE_PGM_RSRC2:SCRATCH_EN: 0
; COMPUTE_PGM_RSRC2:USER_SGPR: 6
; COMPUTE_PGM_RSRC2:TRAP_HANDLER: 0
; COMPUTE_PGM_RSRC2:TGID_X_EN: 1
; COMPUTE_PGM_RSRC2:TGID_Y_EN: 0
; COMPUTE_PGM_RSRC2:TGID_Z_EN: 0
; COMPUTE_PGM_RSRC2:TIDIG_COMP_CNT: 0
; COMPUTE_PGM_RSRC3_GFX90A:ACCUM_OFFSET: 0
; COMPUTE_PGM_RSRC3_GFX90A:TG_SPLIT: 0
	.section	.text._ZN7rocprim17ROCPRIM_400000_NS6detail17trampoline_kernelINS0_14default_configENS1_20scan_config_selectorIiEEZZNS1_9scan_implILNS1_25lookback_scan_determinismE0ELb0ELb0ES3_PiS8_iN6thrust23THRUST_200600_302600_NS4plusIvEEiEEDaPvRmT3_T4_T5_mT6_P12ihipStream_tbENKUlT_T0_E_clISt17integral_constantIbLb1EESP_IbLb0EEEEDaSL_SM_EUlSL_E0_NS1_11comp_targetILNS1_3genE4ELNS1_11target_archE910ELNS1_3gpuE8ELNS1_3repE0EEENS1_30default_config_static_selectorELNS0_4arch9wavefront6targetE1EEEvT1_,"axG",@progbits,_ZN7rocprim17ROCPRIM_400000_NS6detail17trampoline_kernelINS0_14default_configENS1_20scan_config_selectorIiEEZZNS1_9scan_implILNS1_25lookback_scan_determinismE0ELb0ELb0ES3_PiS8_iN6thrust23THRUST_200600_302600_NS4plusIvEEiEEDaPvRmT3_T4_T5_mT6_P12ihipStream_tbENKUlT_T0_E_clISt17integral_constantIbLb1EESP_IbLb0EEEEDaSL_SM_EUlSL_E0_NS1_11comp_targetILNS1_3genE4ELNS1_11target_archE910ELNS1_3gpuE8ELNS1_3repE0EEENS1_30default_config_static_selectorELNS0_4arch9wavefront6targetE1EEEvT1_,comdat
	.protected	_ZN7rocprim17ROCPRIM_400000_NS6detail17trampoline_kernelINS0_14default_configENS1_20scan_config_selectorIiEEZZNS1_9scan_implILNS1_25lookback_scan_determinismE0ELb0ELb0ES3_PiS8_iN6thrust23THRUST_200600_302600_NS4plusIvEEiEEDaPvRmT3_T4_T5_mT6_P12ihipStream_tbENKUlT_T0_E_clISt17integral_constantIbLb1EESP_IbLb0EEEEDaSL_SM_EUlSL_E0_NS1_11comp_targetILNS1_3genE4ELNS1_11target_archE910ELNS1_3gpuE8ELNS1_3repE0EEENS1_30default_config_static_selectorELNS0_4arch9wavefront6targetE1EEEvT1_ ; -- Begin function _ZN7rocprim17ROCPRIM_400000_NS6detail17trampoline_kernelINS0_14default_configENS1_20scan_config_selectorIiEEZZNS1_9scan_implILNS1_25lookback_scan_determinismE0ELb0ELb0ES3_PiS8_iN6thrust23THRUST_200600_302600_NS4plusIvEEiEEDaPvRmT3_T4_T5_mT6_P12ihipStream_tbENKUlT_T0_E_clISt17integral_constantIbLb1EESP_IbLb0EEEEDaSL_SM_EUlSL_E0_NS1_11comp_targetILNS1_3genE4ELNS1_11target_archE910ELNS1_3gpuE8ELNS1_3repE0EEENS1_30default_config_static_selectorELNS0_4arch9wavefront6targetE1EEEvT1_
	.globl	_ZN7rocprim17ROCPRIM_400000_NS6detail17trampoline_kernelINS0_14default_configENS1_20scan_config_selectorIiEEZZNS1_9scan_implILNS1_25lookback_scan_determinismE0ELb0ELb0ES3_PiS8_iN6thrust23THRUST_200600_302600_NS4plusIvEEiEEDaPvRmT3_T4_T5_mT6_P12ihipStream_tbENKUlT_T0_E_clISt17integral_constantIbLb1EESP_IbLb0EEEEDaSL_SM_EUlSL_E0_NS1_11comp_targetILNS1_3genE4ELNS1_11target_archE910ELNS1_3gpuE8ELNS1_3repE0EEENS1_30default_config_static_selectorELNS0_4arch9wavefront6targetE1EEEvT1_
	.p2align	8
	.type	_ZN7rocprim17ROCPRIM_400000_NS6detail17trampoline_kernelINS0_14default_configENS1_20scan_config_selectorIiEEZZNS1_9scan_implILNS1_25lookback_scan_determinismE0ELb0ELb0ES3_PiS8_iN6thrust23THRUST_200600_302600_NS4plusIvEEiEEDaPvRmT3_T4_T5_mT6_P12ihipStream_tbENKUlT_T0_E_clISt17integral_constantIbLb1EESP_IbLb0EEEEDaSL_SM_EUlSL_E0_NS1_11comp_targetILNS1_3genE4ELNS1_11target_archE910ELNS1_3gpuE8ELNS1_3repE0EEENS1_30default_config_static_selectorELNS0_4arch9wavefront6targetE1EEEvT1_,@function
_ZN7rocprim17ROCPRIM_400000_NS6detail17trampoline_kernelINS0_14default_configENS1_20scan_config_selectorIiEEZZNS1_9scan_implILNS1_25lookback_scan_determinismE0ELb0ELb0ES3_PiS8_iN6thrust23THRUST_200600_302600_NS4plusIvEEiEEDaPvRmT3_T4_T5_mT6_P12ihipStream_tbENKUlT_T0_E_clISt17integral_constantIbLb1EESP_IbLb0EEEEDaSL_SM_EUlSL_E0_NS1_11comp_targetILNS1_3genE4ELNS1_11target_archE910ELNS1_3gpuE8ELNS1_3repE0EEENS1_30default_config_static_selectorELNS0_4arch9wavefront6targetE1EEEvT1_: ; @_ZN7rocprim17ROCPRIM_400000_NS6detail17trampoline_kernelINS0_14default_configENS1_20scan_config_selectorIiEEZZNS1_9scan_implILNS1_25lookback_scan_determinismE0ELb0ELb0ES3_PiS8_iN6thrust23THRUST_200600_302600_NS4plusIvEEiEEDaPvRmT3_T4_T5_mT6_P12ihipStream_tbENKUlT_T0_E_clISt17integral_constantIbLb1EESP_IbLb0EEEEDaSL_SM_EUlSL_E0_NS1_11comp_targetILNS1_3genE4ELNS1_11target_archE910ELNS1_3gpuE8ELNS1_3repE0EEENS1_30default_config_static_selectorELNS0_4arch9wavefront6targetE1EEEvT1_
; %bb.0:
	s_load_dwordx4 s[20:23], s[4:5], 0x0
	v_lshlrev_b32_e32 v20, 2, v0
	s_waitcnt lgkmcnt(0)
	s_load_dword s23, s[20:21], 0x0
	v_cmp_gt_u32_e32 vcc, s22, v0
	s_waitcnt lgkmcnt(0)
	v_mov_b32_e32 v1, s23
	s_and_saveexec_b64 s[0:1], vcc
	s_cbranch_execz .LBB77_2
; %bb.1:
	global_load_dword v1, v20, s[20:21]
.LBB77_2:
	s_or_b64 exec, exec, s[0:1]
	v_or_b32_e32 v2, 0x80, v0
	v_cmp_gt_u32_e64 s[0:1], s22, v2
	v_mov_b32_e32 v2, s23
	s_and_saveexec_b64 s[2:3], s[0:1]
	s_cbranch_execz .LBB77_4
; %bb.3:
	global_load_dword v2, v20, s[20:21] offset:512
.LBB77_4:
	s_or_b64 exec, exec, s[2:3]
	v_or_b32_e32 v3, 0x100, v0
	v_cmp_gt_u32_e64 s[2:3], s22, v3
	v_mov_b32_e32 v3, s23
	s_and_saveexec_b64 s[6:7], s[2:3]
	s_cbranch_execz .LBB77_6
; %bb.5:
	global_load_dword v3, v20, s[20:21] offset:1024
.LBB77_6:
	;; [unrolled: 9-line block ×7, first 2 shown]
	s_or_b64 exec, exec, s[14:15]
	v_or_b32_e32 v10, 0x400, v0
	v_cmp_gt_u32_e64 s[14:15], s22, v10
	v_mov_b32_e32 v9, s23
	s_and_saveexec_b64 s[16:17], s[14:15]
	s_cbranch_execz .LBB77_18
; %bb.17:
	v_lshlrev_b32_e32 v9, 2, v10
	global_load_dword v9, v9, s[20:21]
.LBB77_18:
	s_or_b64 exec, exec, s[16:17]
	v_or_b32_e32 v11, 0x480, v0
	v_cmp_gt_u32_e64 s[16:17], s22, v11
	v_mov_b32_e32 v10, s23
	s_and_saveexec_b64 s[22:23], s[16:17]
	s_cbranch_execz .LBB77_20
; %bb.19:
	v_lshlrev_b32_e32 v10, 2, v11
	global_load_dword v10, v10, s[20:21]
.LBB77_20:
	s_or_b64 exec, exec, s[22:23]
	s_waitcnt vmcnt(0)
	ds_write2st64_b32 v20, v1, v2 offset1:2
	ds_write2st64_b32 v20, v3, v4 offset0:4 offset1:6
	ds_write2st64_b32 v20, v5, v6 offset0:8 offset1:10
	;; [unrolled: 1-line block ×4, first 2 shown]
	v_mad_u32_u24 v1, v0, 36, v20
	s_waitcnt lgkmcnt(0)
	s_barrier
	ds_read2_b64 v[6:9], v1 offset1:1
	ds_read2_b64 v[2:5], v1 offset0:2 offset1:3
	ds_read_b64 v[18:19], v1 offset:32
	v_lshrrev_b32_e32 v21, 3, v0
	v_and_b32_e32 v21, 12, v21
	s_waitcnt lgkmcnt(2)
	v_add_u32_e32 v1, v7, v6
	v_add_u32_e32 v14, v1, v8
	;; [unrolled: 1-line block ×3, first 2 shown]
	s_waitcnt lgkmcnt(1)
	v_add_u32_e32 v10, v15, v2
	v_add_u32_e32 v11, v10, v3
	;; [unrolled: 1-line block ×4, first 2 shown]
	s_waitcnt lgkmcnt(0)
	v_add_u32_e32 v16, v13, v18
	v_add_u32_e32 v17, v16, v19
	;; [unrolled: 1-line block ×3, first 2 shown]
	v_cmp_gt_u32_e64 s[20:21], 64, v0
	s_barrier
	ds_write_b32 v21, v17
	s_waitcnt lgkmcnt(0)
	s_barrier
	s_and_saveexec_b64 s[22:23], s[20:21]
	s_cbranch_execz .LBB77_22
; %bb.21:
	v_lshlrev_b32_e32 v21, 1, v0
	v_lshrrev_b32_e32 v22, 4, v0
	v_add_lshl_u32 v21, v22, v21, 2
	ds_read2_b32 v[22:23], v21 offset1:1
	v_mbcnt_lo_u32_b32 v24, -1, 0
	v_mbcnt_hi_u32_b32 v24, -1, v24
	v_and_b32_e32 v25, 15, v24
	v_cmp_ne_u32_e64 s[20:21], 0, v25
	s_waitcnt lgkmcnt(0)
	v_add_u32_e32 v23, v23, v22
	; wave barrier
	s_nop 1
	v_mov_b32_dpp v26, v23 row_shr:1 row_mask:0xf bank_mask:0xf
	v_cndmask_b32_e64 v26, 0, v26, s[20:21]
	v_add_u32_e32 v23, v26, v23
	v_cmp_lt_u32_e64 s[20:21], 1, v25
	s_nop 0
	v_mov_b32_dpp v26, v23 row_shr:2 row_mask:0xf bank_mask:0xf
	v_cndmask_b32_e64 v26, 0, v26, s[20:21]
	v_add_u32_e32 v23, v23, v26
	v_cmp_lt_u32_e64 s[20:21], 3, v25
	;; [unrolled: 5-line block ×3, first 2 shown]
	s_nop 0
	v_mov_b32_dpp v26, v23 row_shr:8 row_mask:0xf bank_mask:0xf
	v_cndmask_b32_e64 v25, 0, v26, s[20:21]
	v_add_u32_e32 v23, v23, v25
	v_bfe_i32 v26, v24, 4, 1
	v_cmp_lt_u32_e64 s[20:21], 31, v24
	v_mov_b32_dpp v25, v23 row_bcast:15 row_mask:0xf bank_mask:0xf
	v_and_b32_e32 v25, v26, v25
	v_add_u32_e32 v23, v23, v25
	v_and_b32_e32 v26, 64, v24
	s_nop 0
	v_mov_b32_dpp v25, v23 row_bcast:31 row_mask:0xf bank_mask:0xf
	v_cndmask_b32_e64 v25, 0, v25, s[20:21]
	v_add_u32_e32 v23, v23, v25
	v_add_u32_e32 v25, -1, v24
	v_cmp_lt_i32_e64 s[20:21], v25, v26
	v_cndmask_b32_e64 v24, v25, v24, s[20:21]
	v_lshlrev_b32_e32 v24, 2, v24
	ds_bpermute_b32 v23, v24, v23
	v_cmp_eq_u32_e64 s[20:21], 0, v0
	s_waitcnt lgkmcnt(0)
	v_add_u32_e32 v22, v23, v22
	v_cndmask_b32_e64 v22, v22, v17, s[20:21]
	ds_write_b32 v21, v22
	; wave barrier
	ds_read_b32 v23, v21 offset:4
	s_waitcnt lgkmcnt(0)
	v_add_u32_e32 v22, v23, v22
	ds_write_b32 v21, v22 offset:4
.LBB77_22:
	s_or_b64 exec, exec, s[22:23]
	s_load_dwordx2 s[20:21], s[4:5], 0x18
	v_cmp_ne_u32_e64 s[4:5], 0, v0
	v_mov_b32_e32 v22, v17
	s_waitcnt lgkmcnt(0)
	s_barrier
	s_and_saveexec_b64 s[22:23], s[4:5]
	s_cbranch_execz .LBB77_24
; %bb.23:
	v_add_u32_e32 v21, -1, v0
	v_lshrrev_b32_e32 v22, 5, v21
	v_add_lshl_u32 v21, v22, v21, 2
	ds_read_b32 v22, v21
.LBB77_24:
	s_or_b64 exec, exec, s[22:23]
	v_mul_u32_u24_e32 v21, 36, v0
	v_mov_b32_e32 v0, v6
	s_and_saveexec_b64 s[22:23], s[4:5]
	s_cbranch_execz .LBB77_26
; %bb.25:
	s_waitcnt lgkmcnt(0)
	v_add_u32_e32 v0, v22, v6
	v_add_u32_e32 v1, v0, v7
	;; [unrolled: 1-line block ×10, first 2 shown]
	;;#ASMSTART
	;;#ASMEND
.LBB77_26:
	s_or_b64 exec, exec, s[22:23]
	v_add_u32_e32 v2, v20, v21
	s_waitcnt lgkmcnt(0)
	s_barrier
	ds_write2_b64 v2, v[0:1], v[14:15] offset1:1
	ds_write2_b64 v2, v[10:11], v[12:13] offset0:2 offset1:3
	ds_write_b64 v2, v[16:17] offset:32
	s_waitcnt lgkmcnt(0)
	s_barrier
	ds_read2st64_b32 v[8:9], v20 offset0:2 offset1:4
	ds_read2st64_b32 v[6:7], v20 offset0:6 offset1:8
	;; [unrolled: 1-line block ×4, first 2 shown]
	ds_read_b32 v10, v20 offset:4608
	v_mov_b32_e32 v1, s21
	v_add_co_u32_e64 v0, s[4:5], s20, v20
	v_addc_co_u32_e64 v1, s[4:5], 0, v1, s[4:5]
	s_and_saveexec_b64 s[4:5], vcc
	s_cbranch_execnz .LBB77_37
; %bb.27:
	s_or_b64 exec, exec, s[4:5]
	s_and_saveexec_b64 s[4:5], s[0:1]
	s_cbranch_execnz .LBB77_38
.LBB77_28:
	s_or_b64 exec, exec, s[4:5]
	s_and_saveexec_b64 s[0:1], s[2:3]
	s_cbranch_execnz .LBB77_39
.LBB77_29:
	s_or_b64 exec, exec, s[0:1]
	s_and_saveexec_b64 s[0:1], s[18:19]
	s_cbranch_execnz .LBB77_40
.LBB77_30:
	s_or_b64 exec, exec, s[0:1]
	s_and_saveexec_b64 s[0:1], s[6:7]
	s_cbranch_execnz .LBB77_41
.LBB77_31:
	s_or_b64 exec, exec, s[0:1]
	s_and_saveexec_b64 s[0:1], s[8:9]
	s_cbranch_execnz .LBB77_42
.LBB77_32:
	s_or_b64 exec, exec, s[0:1]
	s_and_saveexec_b64 s[0:1], s[10:11]
	s_cbranch_execnz .LBB77_43
.LBB77_33:
	s_or_b64 exec, exec, s[0:1]
	s_and_saveexec_b64 s[0:1], s[12:13]
	s_cbranch_execnz .LBB77_44
.LBB77_34:
	s_or_b64 exec, exec, s[0:1]
	s_and_saveexec_b64 s[0:1], s[14:15]
	s_cbranch_execnz .LBB77_45
.LBB77_35:
	s_or_b64 exec, exec, s[0:1]
	s_and_saveexec_b64 s[0:1], s[16:17]
	s_cbranch_execnz .LBB77_46
.LBB77_36:
	s_endpgm
.LBB77_37:
	ds_read_b32 v11, v20
	s_waitcnt lgkmcnt(0)
	global_store_dword v[0:1], v11, off
	s_or_b64 exec, exec, s[4:5]
	s_and_saveexec_b64 s[4:5], s[0:1]
	s_cbranch_execz .LBB77_28
.LBB77_38:
	s_waitcnt lgkmcnt(4)
	global_store_dword v[0:1], v8, off offset:512
	s_or_b64 exec, exec, s[4:5]
	s_and_saveexec_b64 s[0:1], s[2:3]
	s_cbranch_execz .LBB77_29
.LBB77_39:
	s_waitcnt lgkmcnt(4)
	global_store_dword v[0:1], v9, off offset:1024
	s_or_b64 exec, exec, s[0:1]
	s_and_saveexec_b64 s[0:1], s[18:19]
	s_cbranch_execz .LBB77_30
.LBB77_40:
	s_waitcnt lgkmcnt(3)
	global_store_dword v[0:1], v6, off offset:1536
	s_or_b64 exec, exec, s[0:1]
	s_and_saveexec_b64 s[0:1], s[6:7]
	s_cbranch_execz .LBB77_31
.LBB77_41:
	s_waitcnt lgkmcnt(3)
	global_store_dword v[0:1], v7, off offset:2048
	s_or_b64 exec, exec, s[0:1]
	s_and_saveexec_b64 s[0:1], s[8:9]
	s_cbranch_execz .LBB77_32
.LBB77_42:
	s_waitcnt lgkmcnt(2)
	global_store_dword v[0:1], v4, off offset:2560
	s_or_b64 exec, exec, s[0:1]
	s_and_saveexec_b64 s[0:1], s[10:11]
	s_cbranch_execz .LBB77_33
.LBB77_43:
	s_waitcnt lgkmcnt(2)
	global_store_dword v[0:1], v5, off offset:3072
	s_or_b64 exec, exec, s[0:1]
	s_and_saveexec_b64 s[0:1], s[12:13]
	s_cbranch_execz .LBB77_34
.LBB77_44:
	s_waitcnt lgkmcnt(1)
	global_store_dword v[0:1], v2, off offset:3584
	s_or_b64 exec, exec, s[0:1]
	s_and_saveexec_b64 s[0:1], s[14:15]
	s_cbranch_execz .LBB77_35
.LBB77_45:
	s_waitcnt lgkmcnt(2)
	v_add_co_u32_e32 v4, vcc, 0x1000, v0
	v_addc_co_u32_e32 v5, vcc, 0, v1, vcc
	s_waitcnt lgkmcnt(1)
	global_store_dword v[4:5], v3, off
	s_or_b64 exec, exec, s[0:1]
	s_and_saveexec_b64 s[0:1], s[16:17]
	s_cbranch_execz .LBB77_36
.LBB77_46:
	v_add_co_u32_e32 v0, vcc, 0x1000, v0
	v_addc_co_u32_e32 v1, vcc, 0, v1, vcc
	s_waitcnt lgkmcnt(0)
	global_store_dword v[0:1], v10, off offset:512
	s_endpgm
	.section	.rodata,"a",@progbits
	.p2align	6, 0x0
	.amdhsa_kernel _ZN7rocprim17ROCPRIM_400000_NS6detail17trampoline_kernelINS0_14default_configENS1_20scan_config_selectorIiEEZZNS1_9scan_implILNS1_25lookback_scan_determinismE0ELb0ELb0ES3_PiS8_iN6thrust23THRUST_200600_302600_NS4plusIvEEiEEDaPvRmT3_T4_T5_mT6_P12ihipStream_tbENKUlT_T0_E_clISt17integral_constantIbLb1EESP_IbLb0EEEEDaSL_SM_EUlSL_E0_NS1_11comp_targetILNS1_3genE4ELNS1_11target_archE910ELNS1_3gpuE8ELNS1_3repE0EEENS1_30default_config_static_selectorELNS0_4arch9wavefront6targetE1EEEvT1_
		.amdhsa_group_segment_fixed_size 5120
		.amdhsa_private_segment_fixed_size 0
		.amdhsa_kernarg_size 32
		.amdhsa_user_sgpr_count 6
		.amdhsa_user_sgpr_private_segment_buffer 1
		.amdhsa_user_sgpr_dispatch_ptr 0
		.amdhsa_user_sgpr_queue_ptr 0
		.amdhsa_user_sgpr_kernarg_segment_ptr 1
		.amdhsa_user_sgpr_dispatch_id 0
		.amdhsa_user_sgpr_flat_scratch_init 0
		.amdhsa_user_sgpr_kernarg_preload_length 0
		.amdhsa_user_sgpr_kernarg_preload_offset 0
		.amdhsa_user_sgpr_private_segment_size 0
		.amdhsa_uses_dynamic_stack 0
		.amdhsa_system_sgpr_private_segment_wavefront_offset 0
		.amdhsa_system_sgpr_workgroup_id_x 1
		.amdhsa_system_sgpr_workgroup_id_y 0
		.amdhsa_system_sgpr_workgroup_id_z 0
		.amdhsa_system_sgpr_workgroup_info 0
		.amdhsa_system_vgpr_workitem_id 0
		.amdhsa_next_free_vgpr 27
		.amdhsa_next_free_sgpr 24
		.amdhsa_accum_offset 28
		.amdhsa_reserve_vcc 1
		.amdhsa_reserve_flat_scratch 0
		.amdhsa_float_round_mode_32 0
		.amdhsa_float_round_mode_16_64 0
		.amdhsa_float_denorm_mode_32 3
		.amdhsa_float_denorm_mode_16_64 3
		.amdhsa_dx10_clamp 1
		.amdhsa_ieee_mode 1
		.amdhsa_fp16_overflow 0
		.amdhsa_tg_split 0
		.amdhsa_exception_fp_ieee_invalid_op 0
		.amdhsa_exception_fp_denorm_src 0
		.amdhsa_exception_fp_ieee_div_zero 0
		.amdhsa_exception_fp_ieee_overflow 0
		.amdhsa_exception_fp_ieee_underflow 0
		.amdhsa_exception_fp_ieee_inexact 0
		.amdhsa_exception_int_div_zero 0
	.end_amdhsa_kernel
	.section	.text._ZN7rocprim17ROCPRIM_400000_NS6detail17trampoline_kernelINS0_14default_configENS1_20scan_config_selectorIiEEZZNS1_9scan_implILNS1_25lookback_scan_determinismE0ELb0ELb0ES3_PiS8_iN6thrust23THRUST_200600_302600_NS4plusIvEEiEEDaPvRmT3_T4_T5_mT6_P12ihipStream_tbENKUlT_T0_E_clISt17integral_constantIbLb1EESP_IbLb0EEEEDaSL_SM_EUlSL_E0_NS1_11comp_targetILNS1_3genE4ELNS1_11target_archE910ELNS1_3gpuE8ELNS1_3repE0EEENS1_30default_config_static_selectorELNS0_4arch9wavefront6targetE1EEEvT1_,"axG",@progbits,_ZN7rocprim17ROCPRIM_400000_NS6detail17trampoline_kernelINS0_14default_configENS1_20scan_config_selectorIiEEZZNS1_9scan_implILNS1_25lookback_scan_determinismE0ELb0ELb0ES3_PiS8_iN6thrust23THRUST_200600_302600_NS4plusIvEEiEEDaPvRmT3_T4_T5_mT6_P12ihipStream_tbENKUlT_T0_E_clISt17integral_constantIbLb1EESP_IbLb0EEEEDaSL_SM_EUlSL_E0_NS1_11comp_targetILNS1_3genE4ELNS1_11target_archE910ELNS1_3gpuE8ELNS1_3repE0EEENS1_30default_config_static_selectorELNS0_4arch9wavefront6targetE1EEEvT1_,comdat
.Lfunc_end77:
	.size	_ZN7rocprim17ROCPRIM_400000_NS6detail17trampoline_kernelINS0_14default_configENS1_20scan_config_selectorIiEEZZNS1_9scan_implILNS1_25lookback_scan_determinismE0ELb0ELb0ES3_PiS8_iN6thrust23THRUST_200600_302600_NS4plusIvEEiEEDaPvRmT3_T4_T5_mT6_P12ihipStream_tbENKUlT_T0_E_clISt17integral_constantIbLb1EESP_IbLb0EEEEDaSL_SM_EUlSL_E0_NS1_11comp_targetILNS1_3genE4ELNS1_11target_archE910ELNS1_3gpuE8ELNS1_3repE0EEENS1_30default_config_static_selectorELNS0_4arch9wavefront6targetE1EEEvT1_, .Lfunc_end77-_ZN7rocprim17ROCPRIM_400000_NS6detail17trampoline_kernelINS0_14default_configENS1_20scan_config_selectorIiEEZZNS1_9scan_implILNS1_25lookback_scan_determinismE0ELb0ELb0ES3_PiS8_iN6thrust23THRUST_200600_302600_NS4plusIvEEiEEDaPvRmT3_T4_T5_mT6_P12ihipStream_tbENKUlT_T0_E_clISt17integral_constantIbLb1EESP_IbLb0EEEEDaSL_SM_EUlSL_E0_NS1_11comp_targetILNS1_3genE4ELNS1_11target_archE910ELNS1_3gpuE8ELNS1_3repE0EEENS1_30default_config_static_selectorELNS0_4arch9wavefront6targetE1EEEvT1_
                                        ; -- End function
	.section	.AMDGPU.csdata,"",@progbits
; Kernel info:
; codeLenInByte = 1556
; NumSgprs: 28
; NumVgprs: 27
; NumAgprs: 0
; TotalNumVgprs: 27
; ScratchSize: 0
; MemoryBound: 0
; FloatMode: 240
; IeeeMode: 1
; LDSByteSize: 5120 bytes/workgroup (compile time only)
; SGPRBlocks: 3
; VGPRBlocks: 3
; NumSGPRsForWavesPerEU: 28
; NumVGPRsForWavesPerEU: 27
; AccumOffset: 28
; Occupancy: 6
; WaveLimiterHint : 0
; COMPUTE_PGM_RSRC2:SCRATCH_EN: 0
; COMPUTE_PGM_RSRC2:USER_SGPR: 6
; COMPUTE_PGM_RSRC2:TRAP_HANDLER: 0
; COMPUTE_PGM_RSRC2:TGID_X_EN: 1
; COMPUTE_PGM_RSRC2:TGID_Y_EN: 0
; COMPUTE_PGM_RSRC2:TGID_Z_EN: 0
; COMPUTE_PGM_RSRC2:TIDIG_COMP_CNT: 0
; COMPUTE_PGM_RSRC3_GFX90A:ACCUM_OFFSET: 6
; COMPUTE_PGM_RSRC3_GFX90A:TG_SPLIT: 0
	.section	.text._ZN7rocprim17ROCPRIM_400000_NS6detail17trampoline_kernelINS0_14default_configENS1_20scan_config_selectorIiEEZZNS1_9scan_implILNS1_25lookback_scan_determinismE0ELb0ELb0ES3_PiS8_iN6thrust23THRUST_200600_302600_NS4plusIvEEiEEDaPvRmT3_T4_T5_mT6_P12ihipStream_tbENKUlT_T0_E_clISt17integral_constantIbLb1EESP_IbLb0EEEEDaSL_SM_EUlSL_E0_NS1_11comp_targetILNS1_3genE3ELNS1_11target_archE908ELNS1_3gpuE7ELNS1_3repE0EEENS1_30default_config_static_selectorELNS0_4arch9wavefront6targetE1EEEvT1_,"axG",@progbits,_ZN7rocprim17ROCPRIM_400000_NS6detail17trampoline_kernelINS0_14default_configENS1_20scan_config_selectorIiEEZZNS1_9scan_implILNS1_25lookback_scan_determinismE0ELb0ELb0ES3_PiS8_iN6thrust23THRUST_200600_302600_NS4plusIvEEiEEDaPvRmT3_T4_T5_mT6_P12ihipStream_tbENKUlT_T0_E_clISt17integral_constantIbLb1EESP_IbLb0EEEEDaSL_SM_EUlSL_E0_NS1_11comp_targetILNS1_3genE3ELNS1_11target_archE908ELNS1_3gpuE7ELNS1_3repE0EEENS1_30default_config_static_selectorELNS0_4arch9wavefront6targetE1EEEvT1_,comdat
	.protected	_ZN7rocprim17ROCPRIM_400000_NS6detail17trampoline_kernelINS0_14default_configENS1_20scan_config_selectorIiEEZZNS1_9scan_implILNS1_25lookback_scan_determinismE0ELb0ELb0ES3_PiS8_iN6thrust23THRUST_200600_302600_NS4plusIvEEiEEDaPvRmT3_T4_T5_mT6_P12ihipStream_tbENKUlT_T0_E_clISt17integral_constantIbLb1EESP_IbLb0EEEEDaSL_SM_EUlSL_E0_NS1_11comp_targetILNS1_3genE3ELNS1_11target_archE908ELNS1_3gpuE7ELNS1_3repE0EEENS1_30default_config_static_selectorELNS0_4arch9wavefront6targetE1EEEvT1_ ; -- Begin function _ZN7rocprim17ROCPRIM_400000_NS6detail17trampoline_kernelINS0_14default_configENS1_20scan_config_selectorIiEEZZNS1_9scan_implILNS1_25lookback_scan_determinismE0ELb0ELb0ES3_PiS8_iN6thrust23THRUST_200600_302600_NS4plusIvEEiEEDaPvRmT3_T4_T5_mT6_P12ihipStream_tbENKUlT_T0_E_clISt17integral_constantIbLb1EESP_IbLb0EEEEDaSL_SM_EUlSL_E0_NS1_11comp_targetILNS1_3genE3ELNS1_11target_archE908ELNS1_3gpuE7ELNS1_3repE0EEENS1_30default_config_static_selectorELNS0_4arch9wavefront6targetE1EEEvT1_
	.globl	_ZN7rocprim17ROCPRIM_400000_NS6detail17trampoline_kernelINS0_14default_configENS1_20scan_config_selectorIiEEZZNS1_9scan_implILNS1_25lookback_scan_determinismE0ELb0ELb0ES3_PiS8_iN6thrust23THRUST_200600_302600_NS4plusIvEEiEEDaPvRmT3_T4_T5_mT6_P12ihipStream_tbENKUlT_T0_E_clISt17integral_constantIbLb1EESP_IbLb0EEEEDaSL_SM_EUlSL_E0_NS1_11comp_targetILNS1_3genE3ELNS1_11target_archE908ELNS1_3gpuE7ELNS1_3repE0EEENS1_30default_config_static_selectorELNS0_4arch9wavefront6targetE1EEEvT1_
	.p2align	8
	.type	_ZN7rocprim17ROCPRIM_400000_NS6detail17trampoline_kernelINS0_14default_configENS1_20scan_config_selectorIiEEZZNS1_9scan_implILNS1_25lookback_scan_determinismE0ELb0ELb0ES3_PiS8_iN6thrust23THRUST_200600_302600_NS4plusIvEEiEEDaPvRmT3_T4_T5_mT6_P12ihipStream_tbENKUlT_T0_E_clISt17integral_constantIbLb1EESP_IbLb0EEEEDaSL_SM_EUlSL_E0_NS1_11comp_targetILNS1_3genE3ELNS1_11target_archE908ELNS1_3gpuE7ELNS1_3repE0EEENS1_30default_config_static_selectorELNS0_4arch9wavefront6targetE1EEEvT1_,@function
_ZN7rocprim17ROCPRIM_400000_NS6detail17trampoline_kernelINS0_14default_configENS1_20scan_config_selectorIiEEZZNS1_9scan_implILNS1_25lookback_scan_determinismE0ELb0ELb0ES3_PiS8_iN6thrust23THRUST_200600_302600_NS4plusIvEEiEEDaPvRmT3_T4_T5_mT6_P12ihipStream_tbENKUlT_T0_E_clISt17integral_constantIbLb1EESP_IbLb0EEEEDaSL_SM_EUlSL_E0_NS1_11comp_targetILNS1_3genE3ELNS1_11target_archE908ELNS1_3gpuE7ELNS1_3repE0EEENS1_30default_config_static_selectorELNS0_4arch9wavefront6targetE1EEEvT1_: ; @_ZN7rocprim17ROCPRIM_400000_NS6detail17trampoline_kernelINS0_14default_configENS1_20scan_config_selectorIiEEZZNS1_9scan_implILNS1_25lookback_scan_determinismE0ELb0ELb0ES3_PiS8_iN6thrust23THRUST_200600_302600_NS4plusIvEEiEEDaPvRmT3_T4_T5_mT6_P12ihipStream_tbENKUlT_T0_E_clISt17integral_constantIbLb1EESP_IbLb0EEEEDaSL_SM_EUlSL_E0_NS1_11comp_targetILNS1_3genE3ELNS1_11target_archE908ELNS1_3gpuE7ELNS1_3repE0EEENS1_30default_config_static_selectorELNS0_4arch9wavefront6targetE1EEEvT1_
; %bb.0:
	.section	.rodata,"a",@progbits
	.p2align	6, 0x0
	.amdhsa_kernel _ZN7rocprim17ROCPRIM_400000_NS6detail17trampoline_kernelINS0_14default_configENS1_20scan_config_selectorIiEEZZNS1_9scan_implILNS1_25lookback_scan_determinismE0ELb0ELb0ES3_PiS8_iN6thrust23THRUST_200600_302600_NS4plusIvEEiEEDaPvRmT3_T4_T5_mT6_P12ihipStream_tbENKUlT_T0_E_clISt17integral_constantIbLb1EESP_IbLb0EEEEDaSL_SM_EUlSL_E0_NS1_11comp_targetILNS1_3genE3ELNS1_11target_archE908ELNS1_3gpuE7ELNS1_3repE0EEENS1_30default_config_static_selectorELNS0_4arch9wavefront6targetE1EEEvT1_
		.amdhsa_group_segment_fixed_size 0
		.amdhsa_private_segment_fixed_size 0
		.amdhsa_kernarg_size 32
		.amdhsa_user_sgpr_count 6
		.amdhsa_user_sgpr_private_segment_buffer 1
		.amdhsa_user_sgpr_dispatch_ptr 0
		.amdhsa_user_sgpr_queue_ptr 0
		.amdhsa_user_sgpr_kernarg_segment_ptr 1
		.amdhsa_user_sgpr_dispatch_id 0
		.amdhsa_user_sgpr_flat_scratch_init 0
		.amdhsa_user_sgpr_kernarg_preload_length 0
		.amdhsa_user_sgpr_kernarg_preload_offset 0
		.amdhsa_user_sgpr_private_segment_size 0
		.amdhsa_uses_dynamic_stack 0
		.amdhsa_system_sgpr_private_segment_wavefront_offset 0
		.amdhsa_system_sgpr_workgroup_id_x 1
		.amdhsa_system_sgpr_workgroup_id_y 0
		.amdhsa_system_sgpr_workgroup_id_z 0
		.amdhsa_system_sgpr_workgroup_info 0
		.amdhsa_system_vgpr_workitem_id 0
		.amdhsa_next_free_vgpr 1
		.amdhsa_next_free_sgpr 0
		.amdhsa_accum_offset 4
		.amdhsa_reserve_vcc 0
		.amdhsa_reserve_flat_scratch 0
		.amdhsa_float_round_mode_32 0
		.amdhsa_float_round_mode_16_64 0
		.amdhsa_float_denorm_mode_32 3
		.amdhsa_float_denorm_mode_16_64 3
		.amdhsa_dx10_clamp 1
		.amdhsa_ieee_mode 1
		.amdhsa_fp16_overflow 0
		.amdhsa_tg_split 0
		.amdhsa_exception_fp_ieee_invalid_op 0
		.amdhsa_exception_fp_denorm_src 0
		.amdhsa_exception_fp_ieee_div_zero 0
		.amdhsa_exception_fp_ieee_overflow 0
		.amdhsa_exception_fp_ieee_underflow 0
		.amdhsa_exception_fp_ieee_inexact 0
		.amdhsa_exception_int_div_zero 0
	.end_amdhsa_kernel
	.section	.text._ZN7rocprim17ROCPRIM_400000_NS6detail17trampoline_kernelINS0_14default_configENS1_20scan_config_selectorIiEEZZNS1_9scan_implILNS1_25lookback_scan_determinismE0ELb0ELb0ES3_PiS8_iN6thrust23THRUST_200600_302600_NS4plusIvEEiEEDaPvRmT3_T4_T5_mT6_P12ihipStream_tbENKUlT_T0_E_clISt17integral_constantIbLb1EESP_IbLb0EEEEDaSL_SM_EUlSL_E0_NS1_11comp_targetILNS1_3genE3ELNS1_11target_archE908ELNS1_3gpuE7ELNS1_3repE0EEENS1_30default_config_static_selectorELNS0_4arch9wavefront6targetE1EEEvT1_,"axG",@progbits,_ZN7rocprim17ROCPRIM_400000_NS6detail17trampoline_kernelINS0_14default_configENS1_20scan_config_selectorIiEEZZNS1_9scan_implILNS1_25lookback_scan_determinismE0ELb0ELb0ES3_PiS8_iN6thrust23THRUST_200600_302600_NS4plusIvEEiEEDaPvRmT3_T4_T5_mT6_P12ihipStream_tbENKUlT_T0_E_clISt17integral_constantIbLb1EESP_IbLb0EEEEDaSL_SM_EUlSL_E0_NS1_11comp_targetILNS1_3genE3ELNS1_11target_archE908ELNS1_3gpuE7ELNS1_3repE0EEENS1_30default_config_static_selectorELNS0_4arch9wavefront6targetE1EEEvT1_,comdat
.Lfunc_end78:
	.size	_ZN7rocprim17ROCPRIM_400000_NS6detail17trampoline_kernelINS0_14default_configENS1_20scan_config_selectorIiEEZZNS1_9scan_implILNS1_25lookback_scan_determinismE0ELb0ELb0ES3_PiS8_iN6thrust23THRUST_200600_302600_NS4plusIvEEiEEDaPvRmT3_T4_T5_mT6_P12ihipStream_tbENKUlT_T0_E_clISt17integral_constantIbLb1EESP_IbLb0EEEEDaSL_SM_EUlSL_E0_NS1_11comp_targetILNS1_3genE3ELNS1_11target_archE908ELNS1_3gpuE7ELNS1_3repE0EEENS1_30default_config_static_selectorELNS0_4arch9wavefront6targetE1EEEvT1_, .Lfunc_end78-_ZN7rocprim17ROCPRIM_400000_NS6detail17trampoline_kernelINS0_14default_configENS1_20scan_config_selectorIiEEZZNS1_9scan_implILNS1_25lookback_scan_determinismE0ELb0ELb0ES3_PiS8_iN6thrust23THRUST_200600_302600_NS4plusIvEEiEEDaPvRmT3_T4_T5_mT6_P12ihipStream_tbENKUlT_T0_E_clISt17integral_constantIbLb1EESP_IbLb0EEEEDaSL_SM_EUlSL_E0_NS1_11comp_targetILNS1_3genE3ELNS1_11target_archE908ELNS1_3gpuE7ELNS1_3repE0EEENS1_30default_config_static_selectorELNS0_4arch9wavefront6targetE1EEEvT1_
                                        ; -- End function
	.section	.AMDGPU.csdata,"",@progbits
; Kernel info:
; codeLenInByte = 0
; NumSgprs: 4
; NumVgprs: 0
; NumAgprs: 0
; TotalNumVgprs: 0
; ScratchSize: 0
; MemoryBound: 0
; FloatMode: 240
; IeeeMode: 1
; LDSByteSize: 0 bytes/workgroup (compile time only)
; SGPRBlocks: 0
; VGPRBlocks: 0
; NumSGPRsForWavesPerEU: 4
; NumVGPRsForWavesPerEU: 1
; AccumOffset: 4
; Occupancy: 8
; WaveLimiterHint : 0
; COMPUTE_PGM_RSRC2:SCRATCH_EN: 0
; COMPUTE_PGM_RSRC2:USER_SGPR: 6
; COMPUTE_PGM_RSRC2:TRAP_HANDLER: 0
; COMPUTE_PGM_RSRC2:TGID_X_EN: 1
; COMPUTE_PGM_RSRC2:TGID_Y_EN: 0
; COMPUTE_PGM_RSRC2:TGID_Z_EN: 0
; COMPUTE_PGM_RSRC2:TIDIG_COMP_CNT: 0
; COMPUTE_PGM_RSRC3_GFX90A:ACCUM_OFFSET: 0
; COMPUTE_PGM_RSRC3_GFX90A:TG_SPLIT: 0
	.section	.text._ZN7rocprim17ROCPRIM_400000_NS6detail17trampoline_kernelINS0_14default_configENS1_20scan_config_selectorIiEEZZNS1_9scan_implILNS1_25lookback_scan_determinismE0ELb0ELb0ES3_PiS8_iN6thrust23THRUST_200600_302600_NS4plusIvEEiEEDaPvRmT3_T4_T5_mT6_P12ihipStream_tbENKUlT_T0_E_clISt17integral_constantIbLb1EESP_IbLb0EEEEDaSL_SM_EUlSL_E0_NS1_11comp_targetILNS1_3genE2ELNS1_11target_archE906ELNS1_3gpuE6ELNS1_3repE0EEENS1_30default_config_static_selectorELNS0_4arch9wavefront6targetE1EEEvT1_,"axG",@progbits,_ZN7rocprim17ROCPRIM_400000_NS6detail17trampoline_kernelINS0_14default_configENS1_20scan_config_selectorIiEEZZNS1_9scan_implILNS1_25lookback_scan_determinismE0ELb0ELb0ES3_PiS8_iN6thrust23THRUST_200600_302600_NS4plusIvEEiEEDaPvRmT3_T4_T5_mT6_P12ihipStream_tbENKUlT_T0_E_clISt17integral_constantIbLb1EESP_IbLb0EEEEDaSL_SM_EUlSL_E0_NS1_11comp_targetILNS1_3genE2ELNS1_11target_archE906ELNS1_3gpuE6ELNS1_3repE0EEENS1_30default_config_static_selectorELNS0_4arch9wavefront6targetE1EEEvT1_,comdat
	.protected	_ZN7rocprim17ROCPRIM_400000_NS6detail17trampoline_kernelINS0_14default_configENS1_20scan_config_selectorIiEEZZNS1_9scan_implILNS1_25lookback_scan_determinismE0ELb0ELb0ES3_PiS8_iN6thrust23THRUST_200600_302600_NS4plusIvEEiEEDaPvRmT3_T4_T5_mT6_P12ihipStream_tbENKUlT_T0_E_clISt17integral_constantIbLb1EESP_IbLb0EEEEDaSL_SM_EUlSL_E0_NS1_11comp_targetILNS1_3genE2ELNS1_11target_archE906ELNS1_3gpuE6ELNS1_3repE0EEENS1_30default_config_static_selectorELNS0_4arch9wavefront6targetE1EEEvT1_ ; -- Begin function _ZN7rocprim17ROCPRIM_400000_NS6detail17trampoline_kernelINS0_14default_configENS1_20scan_config_selectorIiEEZZNS1_9scan_implILNS1_25lookback_scan_determinismE0ELb0ELb0ES3_PiS8_iN6thrust23THRUST_200600_302600_NS4plusIvEEiEEDaPvRmT3_T4_T5_mT6_P12ihipStream_tbENKUlT_T0_E_clISt17integral_constantIbLb1EESP_IbLb0EEEEDaSL_SM_EUlSL_E0_NS1_11comp_targetILNS1_3genE2ELNS1_11target_archE906ELNS1_3gpuE6ELNS1_3repE0EEENS1_30default_config_static_selectorELNS0_4arch9wavefront6targetE1EEEvT1_
	.globl	_ZN7rocprim17ROCPRIM_400000_NS6detail17trampoline_kernelINS0_14default_configENS1_20scan_config_selectorIiEEZZNS1_9scan_implILNS1_25lookback_scan_determinismE0ELb0ELb0ES3_PiS8_iN6thrust23THRUST_200600_302600_NS4plusIvEEiEEDaPvRmT3_T4_T5_mT6_P12ihipStream_tbENKUlT_T0_E_clISt17integral_constantIbLb1EESP_IbLb0EEEEDaSL_SM_EUlSL_E0_NS1_11comp_targetILNS1_3genE2ELNS1_11target_archE906ELNS1_3gpuE6ELNS1_3repE0EEENS1_30default_config_static_selectorELNS0_4arch9wavefront6targetE1EEEvT1_
	.p2align	8
	.type	_ZN7rocprim17ROCPRIM_400000_NS6detail17trampoline_kernelINS0_14default_configENS1_20scan_config_selectorIiEEZZNS1_9scan_implILNS1_25lookback_scan_determinismE0ELb0ELb0ES3_PiS8_iN6thrust23THRUST_200600_302600_NS4plusIvEEiEEDaPvRmT3_T4_T5_mT6_P12ihipStream_tbENKUlT_T0_E_clISt17integral_constantIbLb1EESP_IbLb0EEEEDaSL_SM_EUlSL_E0_NS1_11comp_targetILNS1_3genE2ELNS1_11target_archE906ELNS1_3gpuE6ELNS1_3repE0EEENS1_30default_config_static_selectorELNS0_4arch9wavefront6targetE1EEEvT1_,@function
_ZN7rocprim17ROCPRIM_400000_NS6detail17trampoline_kernelINS0_14default_configENS1_20scan_config_selectorIiEEZZNS1_9scan_implILNS1_25lookback_scan_determinismE0ELb0ELb0ES3_PiS8_iN6thrust23THRUST_200600_302600_NS4plusIvEEiEEDaPvRmT3_T4_T5_mT6_P12ihipStream_tbENKUlT_T0_E_clISt17integral_constantIbLb1EESP_IbLb0EEEEDaSL_SM_EUlSL_E0_NS1_11comp_targetILNS1_3genE2ELNS1_11target_archE906ELNS1_3gpuE6ELNS1_3repE0EEENS1_30default_config_static_selectorELNS0_4arch9wavefront6targetE1EEEvT1_: ; @_ZN7rocprim17ROCPRIM_400000_NS6detail17trampoline_kernelINS0_14default_configENS1_20scan_config_selectorIiEEZZNS1_9scan_implILNS1_25lookback_scan_determinismE0ELb0ELb0ES3_PiS8_iN6thrust23THRUST_200600_302600_NS4plusIvEEiEEDaPvRmT3_T4_T5_mT6_P12ihipStream_tbENKUlT_T0_E_clISt17integral_constantIbLb1EESP_IbLb0EEEEDaSL_SM_EUlSL_E0_NS1_11comp_targetILNS1_3genE2ELNS1_11target_archE906ELNS1_3gpuE6ELNS1_3repE0EEENS1_30default_config_static_selectorELNS0_4arch9wavefront6targetE1EEEvT1_
; %bb.0:
	.section	.rodata,"a",@progbits
	.p2align	6, 0x0
	.amdhsa_kernel _ZN7rocprim17ROCPRIM_400000_NS6detail17trampoline_kernelINS0_14default_configENS1_20scan_config_selectorIiEEZZNS1_9scan_implILNS1_25lookback_scan_determinismE0ELb0ELb0ES3_PiS8_iN6thrust23THRUST_200600_302600_NS4plusIvEEiEEDaPvRmT3_T4_T5_mT6_P12ihipStream_tbENKUlT_T0_E_clISt17integral_constantIbLb1EESP_IbLb0EEEEDaSL_SM_EUlSL_E0_NS1_11comp_targetILNS1_3genE2ELNS1_11target_archE906ELNS1_3gpuE6ELNS1_3repE0EEENS1_30default_config_static_selectorELNS0_4arch9wavefront6targetE1EEEvT1_
		.amdhsa_group_segment_fixed_size 0
		.amdhsa_private_segment_fixed_size 0
		.amdhsa_kernarg_size 32
		.amdhsa_user_sgpr_count 6
		.amdhsa_user_sgpr_private_segment_buffer 1
		.amdhsa_user_sgpr_dispatch_ptr 0
		.amdhsa_user_sgpr_queue_ptr 0
		.amdhsa_user_sgpr_kernarg_segment_ptr 1
		.amdhsa_user_sgpr_dispatch_id 0
		.amdhsa_user_sgpr_flat_scratch_init 0
		.amdhsa_user_sgpr_kernarg_preload_length 0
		.amdhsa_user_sgpr_kernarg_preload_offset 0
		.amdhsa_user_sgpr_private_segment_size 0
		.amdhsa_uses_dynamic_stack 0
		.amdhsa_system_sgpr_private_segment_wavefront_offset 0
		.amdhsa_system_sgpr_workgroup_id_x 1
		.amdhsa_system_sgpr_workgroup_id_y 0
		.amdhsa_system_sgpr_workgroup_id_z 0
		.amdhsa_system_sgpr_workgroup_info 0
		.amdhsa_system_vgpr_workitem_id 0
		.amdhsa_next_free_vgpr 1
		.amdhsa_next_free_sgpr 0
		.amdhsa_accum_offset 4
		.amdhsa_reserve_vcc 0
		.amdhsa_reserve_flat_scratch 0
		.amdhsa_float_round_mode_32 0
		.amdhsa_float_round_mode_16_64 0
		.amdhsa_float_denorm_mode_32 3
		.amdhsa_float_denorm_mode_16_64 3
		.amdhsa_dx10_clamp 1
		.amdhsa_ieee_mode 1
		.amdhsa_fp16_overflow 0
		.amdhsa_tg_split 0
		.amdhsa_exception_fp_ieee_invalid_op 0
		.amdhsa_exception_fp_denorm_src 0
		.amdhsa_exception_fp_ieee_div_zero 0
		.amdhsa_exception_fp_ieee_overflow 0
		.amdhsa_exception_fp_ieee_underflow 0
		.amdhsa_exception_fp_ieee_inexact 0
		.amdhsa_exception_int_div_zero 0
	.end_amdhsa_kernel
	.section	.text._ZN7rocprim17ROCPRIM_400000_NS6detail17trampoline_kernelINS0_14default_configENS1_20scan_config_selectorIiEEZZNS1_9scan_implILNS1_25lookback_scan_determinismE0ELb0ELb0ES3_PiS8_iN6thrust23THRUST_200600_302600_NS4plusIvEEiEEDaPvRmT3_T4_T5_mT6_P12ihipStream_tbENKUlT_T0_E_clISt17integral_constantIbLb1EESP_IbLb0EEEEDaSL_SM_EUlSL_E0_NS1_11comp_targetILNS1_3genE2ELNS1_11target_archE906ELNS1_3gpuE6ELNS1_3repE0EEENS1_30default_config_static_selectorELNS0_4arch9wavefront6targetE1EEEvT1_,"axG",@progbits,_ZN7rocprim17ROCPRIM_400000_NS6detail17trampoline_kernelINS0_14default_configENS1_20scan_config_selectorIiEEZZNS1_9scan_implILNS1_25lookback_scan_determinismE0ELb0ELb0ES3_PiS8_iN6thrust23THRUST_200600_302600_NS4plusIvEEiEEDaPvRmT3_T4_T5_mT6_P12ihipStream_tbENKUlT_T0_E_clISt17integral_constantIbLb1EESP_IbLb0EEEEDaSL_SM_EUlSL_E0_NS1_11comp_targetILNS1_3genE2ELNS1_11target_archE906ELNS1_3gpuE6ELNS1_3repE0EEENS1_30default_config_static_selectorELNS0_4arch9wavefront6targetE1EEEvT1_,comdat
.Lfunc_end79:
	.size	_ZN7rocprim17ROCPRIM_400000_NS6detail17trampoline_kernelINS0_14default_configENS1_20scan_config_selectorIiEEZZNS1_9scan_implILNS1_25lookback_scan_determinismE0ELb0ELb0ES3_PiS8_iN6thrust23THRUST_200600_302600_NS4plusIvEEiEEDaPvRmT3_T4_T5_mT6_P12ihipStream_tbENKUlT_T0_E_clISt17integral_constantIbLb1EESP_IbLb0EEEEDaSL_SM_EUlSL_E0_NS1_11comp_targetILNS1_3genE2ELNS1_11target_archE906ELNS1_3gpuE6ELNS1_3repE0EEENS1_30default_config_static_selectorELNS0_4arch9wavefront6targetE1EEEvT1_, .Lfunc_end79-_ZN7rocprim17ROCPRIM_400000_NS6detail17trampoline_kernelINS0_14default_configENS1_20scan_config_selectorIiEEZZNS1_9scan_implILNS1_25lookback_scan_determinismE0ELb0ELb0ES3_PiS8_iN6thrust23THRUST_200600_302600_NS4plusIvEEiEEDaPvRmT3_T4_T5_mT6_P12ihipStream_tbENKUlT_T0_E_clISt17integral_constantIbLb1EESP_IbLb0EEEEDaSL_SM_EUlSL_E0_NS1_11comp_targetILNS1_3genE2ELNS1_11target_archE906ELNS1_3gpuE6ELNS1_3repE0EEENS1_30default_config_static_selectorELNS0_4arch9wavefront6targetE1EEEvT1_
                                        ; -- End function
	.section	.AMDGPU.csdata,"",@progbits
; Kernel info:
; codeLenInByte = 0
; NumSgprs: 4
; NumVgprs: 0
; NumAgprs: 0
; TotalNumVgprs: 0
; ScratchSize: 0
; MemoryBound: 0
; FloatMode: 240
; IeeeMode: 1
; LDSByteSize: 0 bytes/workgroup (compile time only)
; SGPRBlocks: 0
; VGPRBlocks: 0
; NumSGPRsForWavesPerEU: 4
; NumVGPRsForWavesPerEU: 1
; AccumOffset: 4
; Occupancy: 8
; WaveLimiterHint : 0
; COMPUTE_PGM_RSRC2:SCRATCH_EN: 0
; COMPUTE_PGM_RSRC2:USER_SGPR: 6
; COMPUTE_PGM_RSRC2:TRAP_HANDLER: 0
; COMPUTE_PGM_RSRC2:TGID_X_EN: 1
; COMPUTE_PGM_RSRC2:TGID_Y_EN: 0
; COMPUTE_PGM_RSRC2:TGID_Z_EN: 0
; COMPUTE_PGM_RSRC2:TIDIG_COMP_CNT: 0
; COMPUTE_PGM_RSRC3_GFX90A:ACCUM_OFFSET: 0
; COMPUTE_PGM_RSRC3_GFX90A:TG_SPLIT: 0
	.section	.text._ZN7rocprim17ROCPRIM_400000_NS6detail17trampoline_kernelINS0_14default_configENS1_20scan_config_selectorIiEEZZNS1_9scan_implILNS1_25lookback_scan_determinismE0ELb0ELb0ES3_PiS8_iN6thrust23THRUST_200600_302600_NS4plusIvEEiEEDaPvRmT3_T4_T5_mT6_P12ihipStream_tbENKUlT_T0_E_clISt17integral_constantIbLb1EESP_IbLb0EEEEDaSL_SM_EUlSL_E0_NS1_11comp_targetILNS1_3genE10ELNS1_11target_archE1201ELNS1_3gpuE5ELNS1_3repE0EEENS1_30default_config_static_selectorELNS0_4arch9wavefront6targetE1EEEvT1_,"axG",@progbits,_ZN7rocprim17ROCPRIM_400000_NS6detail17trampoline_kernelINS0_14default_configENS1_20scan_config_selectorIiEEZZNS1_9scan_implILNS1_25lookback_scan_determinismE0ELb0ELb0ES3_PiS8_iN6thrust23THRUST_200600_302600_NS4plusIvEEiEEDaPvRmT3_T4_T5_mT6_P12ihipStream_tbENKUlT_T0_E_clISt17integral_constantIbLb1EESP_IbLb0EEEEDaSL_SM_EUlSL_E0_NS1_11comp_targetILNS1_3genE10ELNS1_11target_archE1201ELNS1_3gpuE5ELNS1_3repE0EEENS1_30default_config_static_selectorELNS0_4arch9wavefront6targetE1EEEvT1_,comdat
	.protected	_ZN7rocprim17ROCPRIM_400000_NS6detail17trampoline_kernelINS0_14default_configENS1_20scan_config_selectorIiEEZZNS1_9scan_implILNS1_25lookback_scan_determinismE0ELb0ELb0ES3_PiS8_iN6thrust23THRUST_200600_302600_NS4plusIvEEiEEDaPvRmT3_T4_T5_mT6_P12ihipStream_tbENKUlT_T0_E_clISt17integral_constantIbLb1EESP_IbLb0EEEEDaSL_SM_EUlSL_E0_NS1_11comp_targetILNS1_3genE10ELNS1_11target_archE1201ELNS1_3gpuE5ELNS1_3repE0EEENS1_30default_config_static_selectorELNS0_4arch9wavefront6targetE1EEEvT1_ ; -- Begin function _ZN7rocprim17ROCPRIM_400000_NS6detail17trampoline_kernelINS0_14default_configENS1_20scan_config_selectorIiEEZZNS1_9scan_implILNS1_25lookback_scan_determinismE0ELb0ELb0ES3_PiS8_iN6thrust23THRUST_200600_302600_NS4plusIvEEiEEDaPvRmT3_T4_T5_mT6_P12ihipStream_tbENKUlT_T0_E_clISt17integral_constantIbLb1EESP_IbLb0EEEEDaSL_SM_EUlSL_E0_NS1_11comp_targetILNS1_3genE10ELNS1_11target_archE1201ELNS1_3gpuE5ELNS1_3repE0EEENS1_30default_config_static_selectorELNS0_4arch9wavefront6targetE1EEEvT1_
	.globl	_ZN7rocprim17ROCPRIM_400000_NS6detail17trampoline_kernelINS0_14default_configENS1_20scan_config_selectorIiEEZZNS1_9scan_implILNS1_25lookback_scan_determinismE0ELb0ELb0ES3_PiS8_iN6thrust23THRUST_200600_302600_NS4plusIvEEiEEDaPvRmT3_T4_T5_mT6_P12ihipStream_tbENKUlT_T0_E_clISt17integral_constantIbLb1EESP_IbLb0EEEEDaSL_SM_EUlSL_E0_NS1_11comp_targetILNS1_3genE10ELNS1_11target_archE1201ELNS1_3gpuE5ELNS1_3repE0EEENS1_30default_config_static_selectorELNS0_4arch9wavefront6targetE1EEEvT1_
	.p2align	8
	.type	_ZN7rocprim17ROCPRIM_400000_NS6detail17trampoline_kernelINS0_14default_configENS1_20scan_config_selectorIiEEZZNS1_9scan_implILNS1_25lookback_scan_determinismE0ELb0ELb0ES3_PiS8_iN6thrust23THRUST_200600_302600_NS4plusIvEEiEEDaPvRmT3_T4_T5_mT6_P12ihipStream_tbENKUlT_T0_E_clISt17integral_constantIbLb1EESP_IbLb0EEEEDaSL_SM_EUlSL_E0_NS1_11comp_targetILNS1_3genE10ELNS1_11target_archE1201ELNS1_3gpuE5ELNS1_3repE0EEENS1_30default_config_static_selectorELNS0_4arch9wavefront6targetE1EEEvT1_,@function
_ZN7rocprim17ROCPRIM_400000_NS6detail17trampoline_kernelINS0_14default_configENS1_20scan_config_selectorIiEEZZNS1_9scan_implILNS1_25lookback_scan_determinismE0ELb0ELb0ES3_PiS8_iN6thrust23THRUST_200600_302600_NS4plusIvEEiEEDaPvRmT3_T4_T5_mT6_P12ihipStream_tbENKUlT_T0_E_clISt17integral_constantIbLb1EESP_IbLb0EEEEDaSL_SM_EUlSL_E0_NS1_11comp_targetILNS1_3genE10ELNS1_11target_archE1201ELNS1_3gpuE5ELNS1_3repE0EEENS1_30default_config_static_selectorELNS0_4arch9wavefront6targetE1EEEvT1_: ; @_ZN7rocprim17ROCPRIM_400000_NS6detail17trampoline_kernelINS0_14default_configENS1_20scan_config_selectorIiEEZZNS1_9scan_implILNS1_25lookback_scan_determinismE0ELb0ELb0ES3_PiS8_iN6thrust23THRUST_200600_302600_NS4plusIvEEiEEDaPvRmT3_T4_T5_mT6_P12ihipStream_tbENKUlT_T0_E_clISt17integral_constantIbLb1EESP_IbLb0EEEEDaSL_SM_EUlSL_E0_NS1_11comp_targetILNS1_3genE10ELNS1_11target_archE1201ELNS1_3gpuE5ELNS1_3repE0EEENS1_30default_config_static_selectorELNS0_4arch9wavefront6targetE1EEEvT1_
; %bb.0:
	.section	.rodata,"a",@progbits
	.p2align	6, 0x0
	.amdhsa_kernel _ZN7rocprim17ROCPRIM_400000_NS6detail17trampoline_kernelINS0_14default_configENS1_20scan_config_selectorIiEEZZNS1_9scan_implILNS1_25lookback_scan_determinismE0ELb0ELb0ES3_PiS8_iN6thrust23THRUST_200600_302600_NS4plusIvEEiEEDaPvRmT3_T4_T5_mT6_P12ihipStream_tbENKUlT_T0_E_clISt17integral_constantIbLb1EESP_IbLb0EEEEDaSL_SM_EUlSL_E0_NS1_11comp_targetILNS1_3genE10ELNS1_11target_archE1201ELNS1_3gpuE5ELNS1_3repE0EEENS1_30default_config_static_selectorELNS0_4arch9wavefront6targetE1EEEvT1_
		.amdhsa_group_segment_fixed_size 0
		.amdhsa_private_segment_fixed_size 0
		.amdhsa_kernarg_size 32
		.amdhsa_user_sgpr_count 6
		.amdhsa_user_sgpr_private_segment_buffer 1
		.amdhsa_user_sgpr_dispatch_ptr 0
		.amdhsa_user_sgpr_queue_ptr 0
		.amdhsa_user_sgpr_kernarg_segment_ptr 1
		.amdhsa_user_sgpr_dispatch_id 0
		.amdhsa_user_sgpr_flat_scratch_init 0
		.amdhsa_user_sgpr_kernarg_preload_length 0
		.amdhsa_user_sgpr_kernarg_preload_offset 0
		.amdhsa_user_sgpr_private_segment_size 0
		.amdhsa_uses_dynamic_stack 0
		.amdhsa_system_sgpr_private_segment_wavefront_offset 0
		.amdhsa_system_sgpr_workgroup_id_x 1
		.amdhsa_system_sgpr_workgroup_id_y 0
		.amdhsa_system_sgpr_workgroup_id_z 0
		.amdhsa_system_sgpr_workgroup_info 0
		.amdhsa_system_vgpr_workitem_id 0
		.amdhsa_next_free_vgpr 1
		.amdhsa_next_free_sgpr 0
		.amdhsa_accum_offset 4
		.amdhsa_reserve_vcc 0
		.amdhsa_reserve_flat_scratch 0
		.amdhsa_float_round_mode_32 0
		.amdhsa_float_round_mode_16_64 0
		.amdhsa_float_denorm_mode_32 3
		.amdhsa_float_denorm_mode_16_64 3
		.amdhsa_dx10_clamp 1
		.amdhsa_ieee_mode 1
		.amdhsa_fp16_overflow 0
		.amdhsa_tg_split 0
		.amdhsa_exception_fp_ieee_invalid_op 0
		.amdhsa_exception_fp_denorm_src 0
		.amdhsa_exception_fp_ieee_div_zero 0
		.amdhsa_exception_fp_ieee_overflow 0
		.amdhsa_exception_fp_ieee_underflow 0
		.amdhsa_exception_fp_ieee_inexact 0
		.amdhsa_exception_int_div_zero 0
	.end_amdhsa_kernel
	.section	.text._ZN7rocprim17ROCPRIM_400000_NS6detail17trampoline_kernelINS0_14default_configENS1_20scan_config_selectorIiEEZZNS1_9scan_implILNS1_25lookback_scan_determinismE0ELb0ELb0ES3_PiS8_iN6thrust23THRUST_200600_302600_NS4plusIvEEiEEDaPvRmT3_T4_T5_mT6_P12ihipStream_tbENKUlT_T0_E_clISt17integral_constantIbLb1EESP_IbLb0EEEEDaSL_SM_EUlSL_E0_NS1_11comp_targetILNS1_3genE10ELNS1_11target_archE1201ELNS1_3gpuE5ELNS1_3repE0EEENS1_30default_config_static_selectorELNS0_4arch9wavefront6targetE1EEEvT1_,"axG",@progbits,_ZN7rocprim17ROCPRIM_400000_NS6detail17trampoline_kernelINS0_14default_configENS1_20scan_config_selectorIiEEZZNS1_9scan_implILNS1_25lookback_scan_determinismE0ELb0ELb0ES3_PiS8_iN6thrust23THRUST_200600_302600_NS4plusIvEEiEEDaPvRmT3_T4_T5_mT6_P12ihipStream_tbENKUlT_T0_E_clISt17integral_constantIbLb1EESP_IbLb0EEEEDaSL_SM_EUlSL_E0_NS1_11comp_targetILNS1_3genE10ELNS1_11target_archE1201ELNS1_3gpuE5ELNS1_3repE0EEENS1_30default_config_static_selectorELNS0_4arch9wavefront6targetE1EEEvT1_,comdat
.Lfunc_end80:
	.size	_ZN7rocprim17ROCPRIM_400000_NS6detail17trampoline_kernelINS0_14default_configENS1_20scan_config_selectorIiEEZZNS1_9scan_implILNS1_25lookback_scan_determinismE0ELb0ELb0ES3_PiS8_iN6thrust23THRUST_200600_302600_NS4plusIvEEiEEDaPvRmT3_T4_T5_mT6_P12ihipStream_tbENKUlT_T0_E_clISt17integral_constantIbLb1EESP_IbLb0EEEEDaSL_SM_EUlSL_E0_NS1_11comp_targetILNS1_3genE10ELNS1_11target_archE1201ELNS1_3gpuE5ELNS1_3repE0EEENS1_30default_config_static_selectorELNS0_4arch9wavefront6targetE1EEEvT1_, .Lfunc_end80-_ZN7rocprim17ROCPRIM_400000_NS6detail17trampoline_kernelINS0_14default_configENS1_20scan_config_selectorIiEEZZNS1_9scan_implILNS1_25lookback_scan_determinismE0ELb0ELb0ES3_PiS8_iN6thrust23THRUST_200600_302600_NS4plusIvEEiEEDaPvRmT3_T4_T5_mT6_P12ihipStream_tbENKUlT_T0_E_clISt17integral_constantIbLb1EESP_IbLb0EEEEDaSL_SM_EUlSL_E0_NS1_11comp_targetILNS1_3genE10ELNS1_11target_archE1201ELNS1_3gpuE5ELNS1_3repE0EEENS1_30default_config_static_selectorELNS0_4arch9wavefront6targetE1EEEvT1_
                                        ; -- End function
	.section	.AMDGPU.csdata,"",@progbits
; Kernel info:
; codeLenInByte = 0
; NumSgprs: 4
; NumVgprs: 0
; NumAgprs: 0
; TotalNumVgprs: 0
; ScratchSize: 0
; MemoryBound: 0
; FloatMode: 240
; IeeeMode: 1
; LDSByteSize: 0 bytes/workgroup (compile time only)
; SGPRBlocks: 0
; VGPRBlocks: 0
; NumSGPRsForWavesPerEU: 4
; NumVGPRsForWavesPerEU: 1
; AccumOffset: 4
; Occupancy: 8
; WaveLimiterHint : 0
; COMPUTE_PGM_RSRC2:SCRATCH_EN: 0
; COMPUTE_PGM_RSRC2:USER_SGPR: 6
; COMPUTE_PGM_RSRC2:TRAP_HANDLER: 0
; COMPUTE_PGM_RSRC2:TGID_X_EN: 1
; COMPUTE_PGM_RSRC2:TGID_Y_EN: 0
; COMPUTE_PGM_RSRC2:TGID_Z_EN: 0
; COMPUTE_PGM_RSRC2:TIDIG_COMP_CNT: 0
; COMPUTE_PGM_RSRC3_GFX90A:ACCUM_OFFSET: 0
; COMPUTE_PGM_RSRC3_GFX90A:TG_SPLIT: 0
	.section	.text._ZN7rocprim17ROCPRIM_400000_NS6detail17trampoline_kernelINS0_14default_configENS1_20scan_config_selectorIiEEZZNS1_9scan_implILNS1_25lookback_scan_determinismE0ELb0ELb0ES3_PiS8_iN6thrust23THRUST_200600_302600_NS4plusIvEEiEEDaPvRmT3_T4_T5_mT6_P12ihipStream_tbENKUlT_T0_E_clISt17integral_constantIbLb1EESP_IbLb0EEEEDaSL_SM_EUlSL_E0_NS1_11comp_targetILNS1_3genE10ELNS1_11target_archE1200ELNS1_3gpuE4ELNS1_3repE0EEENS1_30default_config_static_selectorELNS0_4arch9wavefront6targetE1EEEvT1_,"axG",@progbits,_ZN7rocprim17ROCPRIM_400000_NS6detail17trampoline_kernelINS0_14default_configENS1_20scan_config_selectorIiEEZZNS1_9scan_implILNS1_25lookback_scan_determinismE0ELb0ELb0ES3_PiS8_iN6thrust23THRUST_200600_302600_NS4plusIvEEiEEDaPvRmT3_T4_T5_mT6_P12ihipStream_tbENKUlT_T0_E_clISt17integral_constantIbLb1EESP_IbLb0EEEEDaSL_SM_EUlSL_E0_NS1_11comp_targetILNS1_3genE10ELNS1_11target_archE1200ELNS1_3gpuE4ELNS1_3repE0EEENS1_30default_config_static_selectorELNS0_4arch9wavefront6targetE1EEEvT1_,comdat
	.protected	_ZN7rocprim17ROCPRIM_400000_NS6detail17trampoline_kernelINS0_14default_configENS1_20scan_config_selectorIiEEZZNS1_9scan_implILNS1_25lookback_scan_determinismE0ELb0ELb0ES3_PiS8_iN6thrust23THRUST_200600_302600_NS4plusIvEEiEEDaPvRmT3_T4_T5_mT6_P12ihipStream_tbENKUlT_T0_E_clISt17integral_constantIbLb1EESP_IbLb0EEEEDaSL_SM_EUlSL_E0_NS1_11comp_targetILNS1_3genE10ELNS1_11target_archE1200ELNS1_3gpuE4ELNS1_3repE0EEENS1_30default_config_static_selectorELNS0_4arch9wavefront6targetE1EEEvT1_ ; -- Begin function _ZN7rocprim17ROCPRIM_400000_NS6detail17trampoline_kernelINS0_14default_configENS1_20scan_config_selectorIiEEZZNS1_9scan_implILNS1_25lookback_scan_determinismE0ELb0ELb0ES3_PiS8_iN6thrust23THRUST_200600_302600_NS4plusIvEEiEEDaPvRmT3_T4_T5_mT6_P12ihipStream_tbENKUlT_T0_E_clISt17integral_constantIbLb1EESP_IbLb0EEEEDaSL_SM_EUlSL_E0_NS1_11comp_targetILNS1_3genE10ELNS1_11target_archE1200ELNS1_3gpuE4ELNS1_3repE0EEENS1_30default_config_static_selectorELNS0_4arch9wavefront6targetE1EEEvT1_
	.globl	_ZN7rocprim17ROCPRIM_400000_NS6detail17trampoline_kernelINS0_14default_configENS1_20scan_config_selectorIiEEZZNS1_9scan_implILNS1_25lookback_scan_determinismE0ELb0ELb0ES3_PiS8_iN6thrust23THRUST_200600_302600_NS4plusIvEEiEEDaPvRmT3_T4_T5_mT6_P12ihipStream_tbENKUlT_T0_E_clISt17integral_constantIbLb1EESP_IbLb0EEEEDaSL_SM_EUlSL_E0_NS1_11comp_targetILNS1_3genE10ELNS1_11target_archE1200ELNS1_3gpuE4ELNS1_3repE0EEENS1_30default_config_static_selectorELNS0_4arch9wavefront6targetE1EEEvT1_
	.p2align	8
	.type	_ZN7rocprim17ROCPRIM_400000_NS6detail17trampoline_kernelINS0_14default_configENS1_20scan_config_selectorIiEEZZNS1_9scan_implILNS1_25lookback_scan_determinismE0ELb0ELb0ES3_PiS8_iN6thrust23THRUST_200600_302600_NS4plusIvEEiEEDaPvRmT3_T4_T5_mT6_P12ihipStream_tbENKUlT_T0_E_clISt17integral_constantIbLb1EESP_IbLb0EEEEDaSL_SM_EUlSL_E0_NS1_11comp_targetILNS1_3genE10ELNS1_11target_archE1200ELNS1_3gpuE4ELNS1_3repE0EEENS1_30default_config_static_selectorELNS0_4arch9wavefront6targetE1EEEvT1_,@function
_ZN7rocprim17ROCPRIM_400000_NS6detail17trampoline_kernelINS0_14default_configENS1_20scan_config_selectorIiEEZZNS1_9scan_implILNS1_25lookback_scan_determinismE0ELb0ELb0ES3_PiS8_iN6thrust23THRUST_200600_302600_NS4plusIvEEiEEDaPvRmT3_T4_T5_mT6_P12ihipStream_tbENKUlT_T0_E_clISt17integral_constantIbLb1EESP_IbLb0EEEEDaSL_SM_EUlSL_E0_NS1_11comp_targetILNS1_3genE10ELNS1_11target_archE1200ELNS1_3gpuE4ELNS1_3repE0EEENS1_30default_config_static_selectorELNS0_4arch9wavefront6targetE1EEEvT1_: ; @_ZN7rocprim17ROCPRIM_400000_NS6detail17trampoline_kernelINS0_14default_configENS1_20scan_config_selectorIiEEZZNS1_9scan_implILNS1_25lookback_scan_determinismE0ELb0ELb0ES3_PiS8_iN6thrust23THRUST_200600_302600_NS4plusIvEEiEEDaPvRmT3_T4_T5_mT6_P12ihipStream_tbENKUlT_T0_E_clISt17integral_constantIbLb1EESP_IbLb0EEEEDaSL_SM_EUlSL_E0_NS1_11comp_targetILNS1_3genE10ELNS1_11target_archE1200ELNS1_3gpuE4ELNS1_3repE0EEENS1_30default_config_static_selectorELNS0_4arch9wavefront6targetE1EEEvT1_
; %bb.0:
	.section	.rodata,"a",@progbits
	.p2align	6, 0x0
	.amdhsa_kernel _ZN7rocprim17ROCPRIM_400000_NS6detail17trampoline_kernelINS0_14default_configENS1_20scan_config_selectorIiEEZZNS1_9scan_implILNS1_25lookback_scan_determinismE0ELb0ELb0ES3_PiS8_iN6thrust23THRUST_200600_302600_NS4plusIvEEiEEDaPvRmT3_T4_T5_mT6_P12ihipStream_tbENKUlT_T0_E_clISt17integral_constantIbLb1EESP_IbLb0EEEEDaSL_SM_EUlSL_E0_NS1_11comp_targetILNS1_3genE10ELNS1_11target_archE1200ELNS1_3gpuE4ELNS1_3repE0EEENS1_30default_config_static_selectorELNS0_4arch9wavefront6targetE1EEEvT1_
		.amdhsa_group_segment_fixed_size 0
		.amdhsa_private_segment_fixed_size 0
		.amdhsa_kernarg_size 32
		.amdhsa_user_sgpr_count 6
		.amdhsa_user_sgpr_private_segment_buffer 1
		.amdhsa_user_sgpr_dispatch_ptr 0
		.amdhsa_user_sgpr_queue_ptr 0
		.amdhsa_user_sgpr_kernarg_segment_ptr 1
		.amdhsa_user_sgpr_dispatch_id 0
		.amdhsa_user_sgpr_flat_scratch_init 0
		.amdhsa_user_sgpr_kernarg_preload_length 0
		.amdhsa_user_sgpr_kernarg_preload_offset 0
		.amdhsa_user_sgpr_private_segment_size 0
		.amdhsa_uses_dynamic_stack 0
		.amdhsa_system_sgpr_private_segment_wavefront_offset 0
		.amdhsa_system_sgpr_workgroup_id_x 1
		.amdhsa_system_sgpr_workgroup_id_y 0
		.amdhsa_system_sgpr_workgroup_id_z 0
		.amdhsa_system_sgpr_workgroup_info 0
		.amdhsa_system_vgpr_workitem_id 0
		.amdhsa_next_free_vgpr 1
		.amdhsa_next_free_sgpr 0
		.amdhsa_accum_offset 4
		.amdhsa_reserve_vcc 0
		.amdhsa_reserve_flat_scratch 0
		.amdhsa_float_round_mode_32 0
		.amdhsa_float_round_mode_16_64 0
		.amdhsa_float_denorm_mode_32 3
		.amdhsa_float_denorm_mode_16_64 3
		.amdhsa_dx10_clamp 1
		.amdhsa_ieee_mode 1
		.amdhsa_fp16_overflow 0
		.amdhsa_tg_split 0
		.amdhsa_exception_fp_ieee_invalid_op 0
		.amdhsa_exception_fp_denorm_src 0
		.amdhsa_exception_fp_ieee_div_zero 0
		.amdhsa_exception_fp_ieee_overflow 0
		.amdhsa_exception_fp_ieee_underflow 0
		.amdhsa_exception_fp_ieee_inexact 0
		.amdhsa_exception_int_div_zero 0
	.end_amdhsa_kernel
	.section	.text._ZN7rocprim17ROCPRIM_400000_NS6detail17trampoline_kernelINS0_14default_configENS1_20scan_config_selectorIiEEZZNS1_9scan_implILNS1_25lookback_scan_determinismE0ELb0ELb0ES3_PiS8_iN6thrust23THRUST_200600_302600_NS4plusIvEEiEEDaPvRmT3_T4_T5_mT6_P12ihipStream_tbENKUlT_T0_E_clISt17integral_constantIbLb1EESP_IbLb0EEEEDaSL_SM_EUlSL_E0_NS1_11comp_targetILNS1_3genE10ELNS1_11target_archE1200ELNS1_3gpuE4ELNS1_3repE0EEENS1_30default_config_static_selectorELNS0_4arch9wavefront6targetE1EEEvT1_,"axG",@progbits,_ZN7rocprim17ROCPRIM_400000_NS6detail17trampoline_kernelINS0_14default_configENS1_20scan_config_selectorIiEEZZNS1_9scan_implILNS1_25lookback_scan_determinismE0ELb0ELb0ES3_PiS8_iN6thrust23THRUST_200600_302600_NS4plusIvEEiEEDaPvRmT3_T4_T5_mT6_P12ihipStream_tbENKUlT_T0_E_clISt17integral_constantIbLb1EESP_IbLb0EEEEDaSL_SM_EUlSL_E0_NS1_11comp_targetILNS1_3genE10ELNS1_11target_archE1200ELNS1_3gpuE4ELNS1_3repE0EEENS1_30default_config_static_selectorELNS0_4arch9wavefront6targetE1EEEvT1_,comdat
.Lfunc_end81:
	.size	_ZN7rocprim17ROCPRIM_400000_NS6detail17trampoline_kernelINS0_14default_configENS1_20scan_config_selectorIiEEZZNS1_9scan_implILNS1_25lookback_scan_determinismE0ELb0ELb0ES3_PiS8_iN6thrust23THRUST_200600_302600_NS4plusIvEEiEEDaPvRmT3_T4_T5_mT6_P12ihipStream_tbENKUlT_T0_E_clISt17integral_constantIbLb1EESP_IbLb0EEEEDaSL_SM_EUlSL_E0_NS1_11comp_targetILNS1_3genE10ELNS1_11target_archE1200ELNS1_3gpuE4ELNS1_3repE0EEENS1_30default_config_static_selectorELNS0_4arch9wavefront6targetE1EEEvT1_, .Lfunc_end81-_ZN7rocprim17ROCPRIM_400000_NS6detail17trampoline_kernelINS0_14default_configENS1_20scan_config_selectorIiEEZZNS1_9scan_implILNS1_25lookback_scan_determinismE0ELb0ELb0ES3_PiS8_iN6thrust23THRUST_200600_302600_NS4plusIvEEiEEDaPvRmT3_T4_T5_mT6_P12ihipStream_tbENKUlT_T0_E_clISt17integral_constantIbLb1EESP_IbLb0EEEEDaSL_SM_EUlSL_E0_NS1_11comp_targetILNS1_3genE10ELNS1_11target_archE1200ELNS1_3gpuE4ELNS1_3repE0EEENS1_30default_config_static_selectorELNS0_4arch9wavefront6targetE1EEEvT1_
                                        ; -- End function
	.section	.AMDGPU.csdata,"",@progbits
; Kernel info:
; codeLenInByte = 0
; NumSgprs: 4
; NumVgprs: 0
; NumAgprs: 0
; TotalNumVgprs: 0
; ScratchSize: 0
; MemoryBound: 0
; FloatMode: 240
; IeeeMode: 1
; LDSByteSize: 0 bytes/workgroup (compile time only)
; SGPRBlocks: 0
; VGPRBlocks: 0
; NumSGPRsForWavesPerEU: 4
; NumVGPRsForWavesPerEU: 1
; AccumOffset: 4
; Occupancy: 8
; WaveLimiterHint : 0
; COMPUTE_PGM_RSRC2:SCRATCH_EN: 0
; COMPUTE_PGM_RSRC2:USER_SGPR: 6
; COMPUTE_PGM_RSRC2:TRAP_HANDLER: 0
; COMPUTE_PGM_RSRC2:TGID_X_EN: 1
; COMPUTE_PGM_RSRC2:TGID_Y_EN: 0
; COMPUTE_PGM_RSRC2:TGID_Z_EN: 0
; COMPUTE_PGM_RSRC2:TIDIG_COMP_CNT: 0
; COMPUTE_PGM_RSRC3_GFX90A:ACCUM_OFFSET: 0
; COMPUTE_PGM_RSRC3_GFX90A:TG_SPLIT: 0
	.section	.text._ZN7rocprim17ROCPRIM_400000_NS6detail17trampoline_kernelINS0_14default_configENS1_20scan_config_selectorIiEEZZNS1_9scan_implILNS1_25lookback_scan_determinismE0ELb0ELb0ES3_PiS8_iN6thrust23THRUST_200600_302600_NS4plusIvEEiEEDaPvRmT3_T4_T5_mT6_P12ihipStream_tbENKUlT_T0_E_clISt17integral_constantIbLb1EESP_IbLb0EEEEDaSL_SM_EUlSL_E0_NS1_11comp_targetILNS1_3genE9ELNS1_11target_archE1100ELNS1_3gpuE3ELNS1_3repE0EEENS1_30default_config_static_selectorELNS0_4arch9wavefront6targetE1EEEvT1_,"axG",@progbits,_ZN7rocprim17ROCPRIM_400000_NS6detail17trampoline_kernelINS0_14default_configENS1_20scan_config_selectorIiEEZZNS1_9scan_implILNS1_25lookback_scan_determinismE0ELb0ELb0ES3_PiS8_iN6thrust23THRUST_200600_302600_NS4plusIvEEiEEDaPvRmT3_T4_T5_mT6_P12ihipStream_tbENKUlT_T0_E_clISt17integral_constantIbLb1EESP_IbLb0EEEEDaSL_SM_EUlSL_E0_NS1_11comp_targetILNS1_3genE9ELNS1_11target_archE1100ELNS1_3gpuE3ELNS1_3repE0EEENS1_30default_config_static_selectorELNS0_4arch9wavefront6targetE1EEEvT1_,comdat
	.protected	_ZN7rocprim17ROCPRIM_400000_NS6detail17trampoline_kernelINS0_14default_configENS1_20scan_config_selectorIiEEZZNS1_9scan_implILNS1_25lookback_scan_determinismE0ELb0ELb0ES3_PiS8_iN6thrust23THRUST_200600_302600_NS4plusIvEEiEEDaPvRmT3_T4_T5_mT6_P12ihipStream_tbENKUlT_T0_E_clISt17integral_constantIbLb1EESP_IbLb0EEEEDaSL_SM_EUlSL_E0_NS1_11comp_targetILNS1_3genE9ELNS1_11target_archE1100ELNS1_3gpuE3ELNS1_3repE0EEENS1_30default_config_static_selectorELNS0_4arch9wavefront6targetE1EEEvT1_ ; -- Begin function _ZN7rocprim17ROCPRIM_400000_NS6detail17trampoline_kernelINS0_14default_configENS1_20scan_config_selectorIiEEZZNS1_9scan_implILNS1_25lookback_scan_determinismE0ELb0ELb0ES3_PiS8_iN6thrust23THRUST_200600_302600_NS4plusIvEEiEEDaPvRmT3_T4_T5_mT6_P12ihipStream_tbENKUlT_T0_E_clISt17integral_constantIbLb1EESP_IbLb0EEEEDaSL_SM_EUlSL_E0_NS1_11comp_targetILNS1_3genE9ELNS1_11target_archE1100ELNS1_3gpuE3ELNS1_3repE0EEENS1_30default_config_static_selectorELNS0_4arch9wavefront6targetE1EEEvT1_
	.globl	_ZN7rocprim17ROCPRIM_400000_NS6detail17trampoline_kernelINS0_14default_configENS1_20scan_config_selectorIiEEZZNS1_9scan_implILNS1_25lookback_scan_determinismE0ELb0ELb0ES3_PiS8_iN6thrust23THRUST_200600_302600_NS4plusIvEEiEEDaPvRmT3_T4_T5_mT6_P12ihipStream_tbENKUlT_T0_E_clISt17integral_constantIbLb1EESP_IbLb0EEEEDaSL_SM_EUlSL_E0_NS1_11comp_targetILNS1_3genE9ELNS1_11target_archE1100ELNS1_3gpuE3ELNS1_3repE0EEENS1_30default_config_static_selectorELNS0_4arch9wavefront6targetE1EEEvT1_
	.p2align	8
	.type	_ZN7rocprim17ROCPRIM_400000_NS6detail17trampoline_kernelINS0_14default_configENS1_20scan_config_selectorIiEEZZNS1_9scan_implILNS1_25lookback_scan_determinismE0ELb0ELb0ES3_PiS8_iN6thrust23THRUST_200600_302600_NS4plusIvEEiEEDaPvRmT3_T4_T5_mT6_P12ihipStream_tbENKUlT_T0_E_clISt17integral_constantIbLb1EESP_IbLb0EEEEDaSL_SM_EUlSL_E0_NS1_11comp_targetILNS1_3genE9ELNS1_11target_archE1100ELNS1_3gpuE3ELNS1_3repE0EEENS1_30default_config_static_selectorELNS0_4arch9wavefront6targetE1EEEvT1_,@function
_ZN7rocprim17ROCPRIM_400000_NS6detail17trampoline_kernelINS0_14default_configENS1_20scan_config_selectorIiEEZZNS1_9scan_implILNS1_25lookback_scan_determinismE0ELb0ELb0ES3_PiS8_iN6thrust23THRUST_200600_302600_NS4plusIvEEiEEDaPvRmT3_T4_T5_mT6_P12ihipStream_tbENKUlT_T0_E_clISt17integral_constantIbLb1EESP_IbLb0EEEEDaSL_SM_EUlSL_E0_NS1_11comp_targetILNS1_3genE9ELNS1_11target_archE1100ELNS1_3gpuE3ELNS1_3repE0EEENS1_30default_config_static_selectorELNS0_4arch9wavefront6targetE1EEEvT1_: ; @_ZN7rocprim17ROCPRIM_400000_NS6detail17trampoline_kernelINS0_14default_configENS1_20scan_config_selectorIiEEZZNS1_9scan_implILNS1_25lookback_scan_determinismE0ELb0ELb0ES3_PiS8_iN6thrust23THRUST_200600_302600_NS4plusIvEEiEEDaPvRmT3_T4_T5_mT6_P12ihipStream_tbENKUlT_T0_E_clISt17integral_constantIbLb1EESP_IbLb0EEEEDaSL_SM_EUlSL_E0_NS1_11comp_targetILNS1_3genE9ELNS1_11target_archE1100ELNS1_3gpuE3ELNS1_3repE0EEENS1_30default_config_static_selectorELNS0_4arch9wavefront6targetE1EEEvT1_
; %bb.0:
	.section	.rodata,"a",@progbits
	.p2align	6, 0x0
	.amdhsa_kernel _ZN7rocprim17ROCPRIM_400000_NS6detail17trampoline_kernelINS0_14default_configENS1_20scan_config_selectorIiEEZZNS1_9scan_implILNS1_25lookback_scan_determinismE0ELb0ELb0ES3_PiS8_iN6thrust23THRUST_200600_302600_NS4plusIvEEiEEDaPvRmT3_T4_T5_mT6_P12ihipStream_tbENKUlT_T0_E_clISt17integral_constantIbLb1EESP_IbLb0EEEEDaSL_SM_EUlSL_E0_NS1_11comp_targetILNS1_3genE9ELNS1_11target_archE1100ELNS1_3gpuE3ELNS1_3repE0EEENS1_30default_config_static_selectorELNS0_4arch9wavefront6targetE1EEEvT1_
		.amdhsa_group_segment_fixed_size 0
		.amdhsa_private_segment_fixed_size 0
		.amdhsa_kernarg_size 32
		.amdhsa_user_sgpr_count 6
		.amdhsa_user_sgpr_private_segment_buffer 1
		.amdhsa_user_sgpr_dispatch_ptr 0
		.amdhsa_user_sgpr_queue_ptr 0
		.amdhsa_user_sgpr_kernarg_segment_ptr 1
		.amdhsa_user_sgpr_dispatch_id 0
		.amdhsa_user_sgpr_flat_scratch_init 0
		.amdhsa_user_sgpr_kernarg_preload_length 0
		.amdhsa_user_sgpr_kernarg_preload_offset 0
		.amdhsa_user_sgpr_private_segment_size 0
		.amdhsa_uses_dynamic_stack 0
		.amdhsa_system_sgpr_private_segment_wavefront_offset 0
		.amdhsa_system_sgpr_workgroup_id_x 1
		.amdhsa_system_sgpr_workgroup_id_y 0
		.amdhsa_system_sgpr_workgroup_id_z 0
		.amdhsa_system_sgpr_workgroup_info 0
		.amdhsa_system_vgpr_workitem_id 0
		.amdhsa_next_free_vgpr 1
		.amdhsa_next_free_sgpr 0
		.amdhsa_accum_offset 4
		.amdhsa_reserve_vcc 0
		.amdhsa_reserve_flat_scratch 0
		.amdhsa_float_round_mode_32 0
		.amdhsa_float_round_mode_16_64 0
		.amdhsa_float_denorm_mode_32 3
		.amdhsa_float_denorm_mode_16_64 3
		.amdhsa_dx10_clamp 1
		.amdhsa_ieee_mode 1
		.amdhsa_fp16_overflow 0
		.amdhsa_tg_split 0
		.amdhsa_exception_fp_ieee_invalid_op 0
		.amdhsa_exception_fp_denorm_src 0
		.amdhsa_exception_fp_ieee_div_zero 0
		.amdhsa_exception_fp_ieee_overflow 0
		.amdhsa_exception_fp_ieee_underflow 0
		.amdhsa_exception_fp_ieee_inexact 0
		.amdhsa_exception_int_div_zero 0
	.end_amdhsa_kernel
	.section	.text._ZN7rocprim17ROCPRIM_400000_NS6detail17trampoline_kernelINS0_14default_configENS1_20scan_config_selectorIiEEZZNS1_9scan_implILNS1_25lookback_scan_determinismE0ELb0ELb0ES3_PiS8_iN6thrust23THRUST_200600_302600_NS4plusIvEEiEEDaPvRmT3_T4_T5_mT6_P12ihipStream_tbENKUlT_T0_E_clISt17integral_constantIbLb1EESP_IbLb0EEEEDaSL_SM_EUlSL_E0_NS1_11comp_targetILNS1_3genE9ELNS1_11target_archE1100ELNS1_3gpuE3ELNS1_3repE0EEENS1_30default_config_static_selectorELNS0_4arch9wavefront6targetE1EEEvT1_,"axG",@progbits,_ZN7rocprim17ROCPRIM_400000_NS6detail17trampoline_kernelINS0_14default_configENS1_20scan_config_selectorIiEEZZNS1_9scan_implILNS1_25lookback_scan_determinismE0ELb0ELb0ES3_PiS8_iN6thrust23THRUST_200600_302600_NS4plusIvEEiEEDaPvRmT3_T4_T5_mT6_P12ihipStream_tbENKUlT_T0_E_clISt17integral_constantIbLb1EESP_IbLb0EEEEDaSL_SM_EUlSL_E0_NS1_11comp_targetILNS1_3genE9ELNS1_11target_archE1100ELNS1_3gpuE3ELNS1_3repE0EEENS1_30default_config_static_selectorELNS0_4arch9wavefront6targetE1EEEvT1_,comdat
.Lfunc_end82:
	.size	_ZN7rocprim17ROCPRIM_400000_NS6detail17trampoline_kernelINS0_14default_configENS1_20scan_config_selectorIiEEZZNS1_9scan_implILNS1_25lookback_scan_determinismE0ELb0ELb0ES3_PiS8_iN6thrust23THRUST_200600_302600_NS4plusIvEEiEEDaPvRmT3_T4_T5_mT6_P12ihipStream_tbENKUlT_T0_E_clISt17integral_constantIbLb1EESP_IbLb0EEEEDaSL_SM_EUlSL_E0_NS1_11comp_targetILNS1_3genE9ELNS1_11target_archE1100ELNS1_3gpuE3ELNS1_3repE0EEENS1_30default_config_static_selectorELNS0_4arch9wavefront6targetE1EEEvT1_, .Lfunc_end82-_ZN7rocprim17ROCPRIM_400000_NS6detail17trampoline_kernelINS0_14default_configENS1_20scan_config_selectorIiEEZZNS1_9scan_implILNS1_25lookback_scan_determinismE0ELb0ELb0ES3_PiS8_iN6thrust23THRUST_200600_302600_NS4plusIvEEiEEDaPvRmT3_T4_T5_mT6_P12ihipStream_tbENKUlT_T0_E_clISt17integral_constantIbLb1EESP_IbLb0EEEEDaSL_SM_EUlSL_E0_NS1_11comp_targetILNS1_3genE9ELNS1_11target_archE1100ELNS1_3gpuE3ELNS1_3repE0EEENS1_30default_config_static_selectorELNS0_4arch9wavefront6targetE1EEEvT1_
                                        ; -- End function
	.section	.AMDGPU.csdata,"",@progbits
; Kernel info:
; codeLenInByte = 0
; NumSgprs: 4
; NumVgprs: 0
; NumAgprs: 0
; TotalNumVgprs: 0
; ScratchSize: 0
; MemoryBound: 0
; FloatMode: 240
; IeeeMode: 1
; LDSByteSize: 0 bytes/workgroup (compile time only)
; SGPRBlocks: 0
; VGPRBlocks: 0
; NumSGPRsForWavesPerEU: 4
; NumVGPRsForWavesPerEU: 1
; AccumOffset: 4
; Occupancy: 8
; WaveLimiterHint : 0
; COMPUTE_PGM_RSRC2:SCRATCH_EN: 0
; COMPUTE_PGM_RSRC2:USER_SGPR: 6
; COMPUTE_PGM_RSRC2:TRAP_HANDLER: 0
; COMPUTE_PGM_RSRC2:TGID_X_EN: 1
; COMPUTE_PGM_RSRC2:TGID_Y_EN: 0
; COMPUTE_PGM_RSRC2:TGID_Z_EN: 0
; COMPUTE_PGM_RSRC2:TIDIG_COMP_CNT: 0
; COMPUTE_PGM_RSRC3_GFX90A:ACCUM_OFFSET: 0
; COMPUTE_PGM_RSRC3_GFX90A:TG_SPLIT: 0
	.section	.text._ZN7rocprim17ROCPRIM_400000_NS6detail17trampoline_kernelINS0_14default_configENS1_20scan_config_selectorIiEEZZNS1_9scan_implILNS1_25lookback_scan_determinismE0ELb0ELb0ES3_PiS8_iN6thrust23THRUST_200600_302600_NS4plusIvEEiEEDaPvRmT3_T4_T5_mT6_P12ihipStream_tbENKUlT_T0_E_clISt17integral_constantIbLb1EESP_IbLb0EEEEDaSL_SM_EUlSL_E0_NS1_11comp_targetILNS1_3genE8ELNS1_11target_archE1030ELNS1_3gpuE2ELNS1_3repE0EEENS1_30default_config_static_selectorELNS0_4arch9wavefront6targetE1EEEvT1_,"axG",@progbits,_ZN7rocprim17ROCPRIM_400000_NS6detail17trampoline_kernelINS0_14default_configENS1_20scan_config_selectorIiEEZZNS1_9scan_implILNS1_25lookback_scan_determinismE0ELb0ELb0ES3_PiS8_iN6thrust23THRUST_200600_302600_NS4plusIvEEiEEDaPvRmT3_T4_T5_mT6_P12ihipStream_tbENKUlT_T0_E_clISt17integral_constantIbLb1EESP_IbLb0EEEEDaSL_SM_EUlSL_E0_NS1_11comp_targetILNS1_3genE8ELNS1_11target_archE1030ELNS1_3gpuE2ELNS1_3repE0EEENS1_30default_config_static_selectorELNS0_4arch9wavefront6targetE1EEEvT1_,comdat
	.protected	_ZN7rocprim17ROCPRIM_400000_NS6detail17trampoline_kernelINS0_14default_configENS1_20scan_config_selectorIiEEZZNS1_9scan_implILNS1_25lookback_scan_determinismE0ELb0ELb0ES3_PiS8_iN6thrust23THRUST_200600_302600_NS4plusIvEEiEEDaPvRmT3_T4_T5_mT6_P12ihipStream_tbENKUlT_T0_E_clISt17integral_constantIbLb1EESP_IbLb0EEEEDaSL_SM_EUlSL_E0_NS1_11comp_targetILNS1_3genE8ELNS1_11target_archE1030ELNS1_3gpuE2ELNS1_3repE0EEENS1_30default_config_static_selectorELNS0_4arch9wavefront6targetE1EEEvT1_ ; -- Begin function _ZN7rocprim17ROCPRIM_400000_NS6detail17trampoline_kernelINS0_14default_configENS1_20scan_config_selectorIiEEZZNS1_9scan_implILNS1_25lookback_scan_determinismE0ELb0ELb0ES3_PiS8_iN6thrust23THRUST_200600_302600_NS4plusIvEEiEEDaPvRmT3_T4_T5_mT6_P12ihipStream_tbENKUlT_T0_E_clISt17integral_constantIbLb1EESP_IbLb0EEEEDaSL_SM_EUlSL_E0_NS1_11comp_targetILNS1_3genE8ELNS1_11target_archE1030ELNS1_3gpuE2ELNS1_3repE0EEENS1_30default_config_static_selectorELNS0_4arch9wavefront6targetE1EEEvT1_
	.globl	_ZN7rocprim17ROCPRIM_400000_NS6detail17trampoline_kernelINS0_14default_configENS1_20scan_config_selectorIiEEZZNS1_9scan_implILNS1_25lookback_scan_determinismE0ELb0ELb0ES3_PiS8_iN6thrust23THRUST_200600_302600_NS4plusIvEEiEEDaPvRmT3_T4_T5_mT6_P12ihipStream_tbENKUlT_T0_E_clISt17integral_constantIbLb1EESP_IbLb0EEEEDaSL_SM_EUlSL_E0_NS1_11comp_targetILNS1_3genE8ELNS1_11target_archE1030ELNS1_3gpuE2ELNS1_3repE0EEENS1_30default_config_static_selectorELNS0_4arch9wavefront6targetE1EEEvT1_
	.p2align	8
	.type	_ZN7rocprim17ROCPRIM_400000_NS6detail17trampoline_kernelINS0_14default_configENS1_20scan_config_selectorIiEEZZNS1_9scan_implILNS1_25lookback_scan_determinismE0ELb0ELb0ES3_PiS8_iN6thrust23THRUST_200600_302600_NS4plusIvEEiEEDaPvRmT3_T4_T5_mT6_P12ihipStream_tbENKUlT_T0_E_clISt17integral_constantIbLb1EESP_IbLb0EEEEDaSL_SM_EUlSL_E0_NS1_11comp_targetILNS1_3genE8ELNS1_11target_archE1030ELNS1_3gpuE2ELNS1_3repE0EEENS1_30default_config_static_selectorELNS0_4arch9wavefront6targetE1EEEvT1_,@function
_ZN7rocprim17ROCPRIM_400000_NS6detail17trampoline_kernelINS0_14default_configENS1_20scan_config_selectorIiEEZZNS1_9scan_implILNS1_25lookback_scan_determinismE0ELb0ELb0ES3_PiS8_iN6thrust23THRUST_200600_302600_NS4plusIvEEiEEDaPvRmT3_T4_T5_mT6_P12ihipStream_tbENKUlT_T0_E_clISt17integral_constantIbLb1EESP_IbLb0EEEEDaSL_SM_EUlSL_E0_NS1_11comp_targetILNS1_3genE8ELNS1_11target_archE1030ELNS1_3gpuE2ELNS1_3repE0EEENS1_30default_config_static_selectorELNS0_4arch9wavefront6targetE1EEEvT1_: ; @_ZN7rocprim17ROCPRIM_400000_NS6detail17trampoline_kernelINS0_14default_configENS1_20scan_config_selectorIiEEZZNS1_9scan_implILNS1_25lookback_scan_determinismE0ELb0ELb0ES3_PiS8_iN6thrust23THRUST_200600_302600_NS4plusIvEEiEEDaPvRmT3_T4_T5_mT6_P12ihipStream_tbENKUlT_T0_E_clISt17integral_constantIbLb1EESP_IbLb0EEEEDaSL_SM_EUlSL_E0_NS1_11comp_targetILNS1_3genE8ELNS1_11target_archE1030ELNS1_3gpuE2ELNS1_3repE0EEENS1_30default_config_static_selectorELNS0_4arch9wavefront6targetE1EEEvT1_
; %bb.0:
	.section	.rodata,"a",@progbits
	.p2align	6, 0x0
	.amdhsa_kernel _ZN7rocprim17ROCPRIM_400000_NS6detail17trampoline_kernelINS0_14default_configENS1_20scan_config_selectorIiEEZZNS1_9scan_implILNS1_25lookback_scan_determinismE0ELb0ELb0ES3_PiS8_iN6thrust23THRUST_200600_302600_NS4plusIvEEiEEDaPvRmT3_T4_T5_mT6_P12ihipStream_tbENKUlT_T0_E_clISt17integral_constantIbLb1EESP_IbLb0EEEEDaSL_SM_EUlSL_E0_NS1_11comp_targetILNS1_3genE8ELNS1_11target_archE1030ELNS1_3gpuE2ELNS1_3repE0EEENS1_30default_config_static_selectorELNS0_4arch9wavefront6targetE1EEEvT1_
		.amdhsa_group_segment_fixed_size 0
		.amdhsa_private_segment_fixed_size 0
		.amdhsa_kernarg_size 32
		.amdhsa_user_sgpr_count 6
		.amdhsa_user_sgpr_private_segment_buffer 1
		.amdhsa_user_sgpr_dispatch_ptr 0
		.amdhsa_user_sgpr_queue_ptr 0
		.amdhsa_user_sgpr_kernarg_segment_ptr 1
		.amdhsa_user_sgpr_dispatch_id 0
		.amdhsa_user_sgpr_flat_scratch_init 0
		.amdhsa_user_sgpr_kernarg_preload_length 0
		.amdhsa_user_sgpr_kernarg_preload_offset 0
		.amdhsa_user_sgpr_private_segment_size 0
		.amdhsa_uses_dynamic_stack 0
		.amdhsa_system_sgpr_private_segment_wavefront_offset 0
		.amdhsa_system_sgpr_workgroup_id_x 1
		.amdhsa_system_sgpr_workgroup_id_y 0
		.amdhsa_system_sgpr_workgroup_id_z 0
		.amdhsa_system_sgpr_workgroup_info 0
		.amdhsa_system_vgpr_workitem_id 0
		.amdhsa_next_free_vgpr 1
		.amdhsa_next_free_sgpr 0
		.amdhsa_accum_offset 4
		.amdhsa_reserve_vcc 0
		.amdhsa_reserve_flat_scratch 0
		.amdhsa_float_round_mode_32 0
		.amdhsa_float_round_mode_16_64 0
		.amdhsa_float_denorm_mode_32 3
		.amdhsa_float_denorm_mode_16_64 3
		.amdhsa_dx10_clamp 1
		.amdhsa_ieee_mode 1
		.amdhsa_fp16_overflow 0
		.amdhsa_tg_split 0
		.amdhsa_exception_fp_ieee_invalid_op 0
		.amdhsa_exception_fp_denorm_src 0
		.amdhsa_exception_fp_ieee_div_zero 0
		.amdhsa_exception_fp_ieee_overflow 0
		.amdhsa_exception_fp_ieee_underflow 0
		.amdhsa_exception_fp_ieee_inexact 0
		.amdhsa_exception_int_div_zero 0
	.end_amdhsa_kernel
	.section	.text._ZN7rocprim17ROCPRIM_400000_NS6detail17trampoline_kernelINS0_14default_configENS1_20scan_config_selectorIiEEZZNS1_9scan_implILNS1_25lookback_scan_determinismE0ELb0ELb0ES3_PiS8_iN6thrust23THRUST_200600_302600_NS4plusIvEEiEEDaPvRmT3_T4_T5_mT6_P12ihipStream_tbENKUlT_T0_E_clISt17integral_constantIbLb1EESP_IbLb0EEEEDaSL_SM_EUlSL_E0_NS1_11comp_targetILNS1_3genE8ELNS1_11target_archE1030ELNS1_3gpuE2ELNS1_3repE0EEENS1_30default_config_static_selectorELNS0_4arch9wavefront6targetE1EEEvT1_,"axG",@progbits,_ZN7rocprim17ROCPRIM_400000_NS6detail17trampoline_kernelINS0_14default_configENS1_20scan_config_selectorIiEEZZNS1_9scan_implILNS1_25lookback_scan_determinismE0ELb0ELb0ES3_PiS8_iN6thrust23THRUST_200600_302600_NS4plusIvEEiEEDaPvRmT3_T4_T5_mT6_P12ihipStream_tbENKUlT_T0_E_clISt17integral_constantIbLb1EESP_IbLb0EEEEDaSL_SM_EUlSL_E0_NS1_11comp_targetILNS1_3genE8ELNS1_11target_archE1030ELNS1_3gpuE2ELNS1_3repE0EEENS1_30default_config_static_selectorELNS0_4arch9wavefront6targetE1EEEvT1_,comdat
.Lfunc_end83:
	.size	_ZN7rocprim17ROCPRIM_400000_NS6detail17trampoline_kernelINS0_14default_configENS1_20scan_config_selectorIiEEZZNS1_9scan_implILNS1_25lookback_scan_determinismE0ELb0ELb0ES3_PiS8_iN6thrust23THRUST_200600_302600_NS4plusIvEEiEEDaPvRmT3_T4_T5_mT6_P12ihipStream_tbENKUlT_T0_E_clISt17integral_constantIbLb1EESP_IbLb0EEEEDaSL_SM_EUlSL_E0_NS1_11comp_targetILNS1_3genE8ELNS1_11target_archE1030ELNS1_3gpuE2ELNS1_3repE0EEENS1_30default_config_static_selectorELNS0_4arch9wavefront6targetE1EEEvT1_, .Lfunc_end83-_ZN7rocprim17ROCPRIM_400000_NS6detail17trampoline_kernelINS0_14default_configENS1_20scan_config_selectorIiEEZZNS1_9scan_implILNS1_25lookback_scan_determinismE0ELb0ELb0ES3_PiS8_iN6thrust23THRUST_200600_302600_NS4plusIvEEiEEDaPvRmT3_T4_T5_mT6_P12ihipStream_tbENKUlT_T0_E_clISt17integral_constantIbLb1EESP_IbLb0EEEEDaSL_SM_EUlSL_E0_NS1_11comp_targetILNS1_3genE8ELNS1_11target_archE1030ELNS1_3gpuE2ELNS1_3repE0EEENS1_30default_config_static_selectorELNS0_4arch9wavefront6targetE1EEEvT1_
                                        ; -- End function
	.section	.AMDGPU.csdata,"",@progbits
; Kernel info:
; codeLenInByte = 0
; NumSgprs: 4
; NumVgprs: 0
; NumAgprs: 0
; TotalNumVgprs: 0
; ScratchSize: 0
; MemoryBound: 0
; FloatMode: 240
; IeeeMode: 1
; LDSByteSize: 0 bytes/workgroup (compile time only)
; SGPRBlocks: 0
; VGPRBlocks: 0
; NumSGPRsForWavesPerEU: 4
; NumVGPRsForWavesPerEU: 1
; AccumOffset: 4
; Occupancy: 8
; WaveLimiterHint : 0
; COMPUTE_PGM_RSRC2:SCRATCH_EN: 0
; COMPUTE_PGM_RSRC2:USER_SGPR: 6
; COMPUTE_PGM_RSRC2:TRAP_HANDLER: 0
; COMPUTE_PGM_RSRC2:TGID_X_EN: 1
; COMPUTE_PGM_RSRC2:TGID_Y_EN: 0
; COMPUTE_PGM_RSRC2:TGID_Z_EN: 0
; COMPUTE_PGM_RSRC2:TIDIG_COMP_CNT: 0
; COMPUTE_PGM_RSRC3_GFX90A:ACCUM_OFFSET: 0
; COMPUTE_PGM_RSRC3_GFX90A:TG_SPLIT: 0
	.section	.text._ZN7rocprim17ROCPRIM_400000_NS6detail31init_lookback_scan_state_kernelINS1_19lookback_scan_stateIiLb0ELb1EEENS1_16block_id_wrapperIjLb1EEEEEvT_jT0_jPNS7_10value_typeE,"axG",@progbits,_ZN7rocprim17ROCPRIM_400000_NS6detail31init_lookback_scan_state_kernelINS1_19lookback_scan_stateIiLb0ELb1EEENS1_16block_id_wrapperIjLb1EEEEEvT_jT0_jPNS7_10value_typeE,comdat
	.protected	_ZN7rocprim17ROCPRIM_400000_NS6detail31init_lookback_scan_state_kernelINS1_19lookback_scan_stateIiLb0ELb1EEENS1_16block_id_wrapperIjLb1EEEEEvT_jT0_jPNS7_10value_typeE ; -- Begin function _ZN7rocprim17ROCPRIM_400000_NS6detail31init_lookback_scan_state_kernelINS1_19lookback_scan_stateIiLb0ELb1EEENS1_16block_id_wrapperIjLb1EEEEEvT_jT0_jPNS7_10value_typeE
	.globl	_ZN7rocprim17ROCPRIM_400000_NS6detail31init_lookback_scan_state_kernelINS1_19lookback_scan_stateIiLb0ELb1EEENS1_16block_id_wrapperIjLb1EEEEEvT_jT0_jPNS7_10value_typeE
	.p2align	8
	.type	_ZN7rocprim17ROCPRIM_400000_NS6detail31init_lookback_scan_state_kernelINS1_19lookback_scan_stateIiLb0ELb1EEENS1_16block_id_wrapperIjLb1EEEEEvT_jT0_jPNS7_10value_typeE,@function
_ZN7rocprim17ROCPRIM_400000_NS6detail31init_lookback_scan_state_kernelINS1_19lookback_scan_stateIiLb0ELb1EEENS1_16block_id_wrapperIjLb1EEEEEvT_jT0_jPNS7_10value_typeE: ; @_ZN7rocprim17ROCPRIM_400000_NS6detail31init_lookback_scan_state_kernelINS1_19lookback_scan_stateIiLb0ELb1EEENS1_16block_id_wrapperIjLb1EEEEEvT_jT0_jPNS7_10value_typeE
; %bb.0:
	s_load_dword s7, s[4:5], 0x34
	s_load_dwordx2 s[2:3], s[4:5], 0x20
	s_load_dwordx2 s[0:1], s[4:5], 0x0
	s_load_dword s10, s[4:5], 0x8
	s_waitcnt lgkmcnt(0)
	s_and_b32 s7, s7, 0xffff
	s_mul_i32 s6, s6, s7
	s_cmp_eq_u64 s[2:3], 0
	v_add_u32_e32 v0, s6, v0
	s_cbranch_scc1 .LBB84_6
; %bb.1:
	s_load_dword s8, s[4:5], 0x18
	s_mov_b32 s9, 0
	s_waitcnt lgkmcnt(0)
	s_cmp_lt_u32 s8, s10
	s_cselect_b32 s6, s8, 0
	v_cmp_eq_u32_e32 vcc, s6, v0
	s_and_saveexec_b64 s[6:7], vcc
	s_cbranch_execz .LBB84_5
; %bb.2:
	s_add_i32 s8, s8, 64
	s_lshl_b64 s[8:9], s[8:9], 3
	s_add_u32 s8, s0, s8
	s_addc_u32 s9, s1, s9
	v_mov_b32_e32 v4, 0
	global_load_dwordx2 v[2:3], v4, s[8:9] glc
	s_waitcnt vmcnt(0)
	v_and_b32_e32 v5, 0xff, v3
	v_cmp_ne_u64_e32 vcc, 0, v[4:5]
	s_cbranch_vccnz .LBB84_4
.LBB84_3:                               ; =>This Inner Loop Header: Depth=1
	global_load_dwordx2 v[2:3], v4, s[8:9] glc
	s_waitcnt vmcnt(0)
	v_and_b32_e32 v5, 0xff, v3
	v_cmp_eq_u64_e32 vcc, 0, v[4:5]
	s_cbranch_vccnz .LBB84_3
.LBB84_4:
	v_mov_b32_e32 v1, 0
	global_store_dword v1, v2, s[2:3]
.LBB84_5:
	s_or_b64 exec, exec, s[6:7]
.LBB84_6:
	v_cmp_eq_u32_e32 vcc, 0, v0
	s_and_saveexec_b64 s[2:3], vcc
	s_cbranch_execnz .LBB84_10
; %bb.7:
	s_or_b64 exec, exec, s[2:3]
	v_cmp_gt_u32_e32 vcc, s10, v0
	s_and_saveexec_b64 s[2:3], vcc
	s_cbranch_execnz .LBB84_11
.LBB84_8:
	s_or_b64 exec, exec, s[2:3]
	v_cmp_gt_u32_e32 vcc, 64, v0
	s_and_saveexec_b64 s[2:3], vcc
	s_cbranch_execnz .LBB84_12
.LBB84_9:
	s_endpgm
.LBB84_10:
	s_load_dwordx2 s[4:5], s[4:5], 0x10
	v_mov_b32_e32 v1, 0
	s_waitcnt lgkmcnt(0)
	global_store_dword v1, v1, s[4:5]
	s_or_b64 exec, exec, s[2:3]
	v_cmp_gt_u32_e32 vcc, s10, v0
	s_and_saveexec_b64 s[2:3], vcc
	s_cbranch_execz .LBB84_8
.LBB84_11:
	v_add_u32_e32 v2, 64, v0
	v_mov_b32_e32 v3, 0
	v_lshlrev_b64 v[4:5], 3, v[2:3]
	v_mov_b32_e32 v1, s1
	v_add_co_u32_e32 v4, vcc, s0, v4
	v_addc_co_u32_e32 v5, vcc, v1, v5, vcc
	v_mov_b32_e32 v2, v3
	global_store_dwordx2 v[4:5], v[2:3], off
	s_or_b64 exec, exec, s[2:3]
	v_cmp_gt_u32_e32 vcc, 64, v0
	s_and_saveexec_b64 s[2:3], vcc
	s_cbranch_execz .LBB84_9
.LBB84_12:
	v_mov_b32_e32 v1, 0
	v_lshlrev_b64 v[2:3], 3, v[0:1]
	v_mov_b32_e32 v0, s1
	v_add_co_u32_e32 v2, vcc, s0, v2
	v_addc_co_u32_e32 v3, vcc, v0, v3, vcc
	v_mov_b32_e32 v5, 0xff
	v_mov_b32_e32 v4, v1
	global_store_dwordx2 v[2:3], v[4:5], off
	s_endpgm
	.section	.rodata,"a",@progbits
	.p2align	6, 0x0
	.amdhsa_kernel _ZN7rocprim17ROCPRIM_400000_NS6detail31init_lookback_scan_state_kernelINS1_19lookback_scan_stateIiLb0ELb1EEENS1_16block_id_wrapperIjLb1EEEEEvT_jT0_jPNS7_10value_typeE
		.amdhsa_group_segment_fixed_size 0
		.amdhsa_private_segment_fixed_size 0
		.amdhsa_kernarg_size 296
		.amdhsa_user_sgpr_count 6
		.amdhsa_user_sgpr_private_segment_buffer 1
		.amdhsa_user_sgpr_dispatch_ptr 0
		.amdhsa_user_sgpr_queue_ptr 0
		.amdhsa_user_sgpr_kernarg_segment_ptr 1
		.amdhsa_user_sgpr_dispatch_id 0
		.amdhsa_user_sgpr_flat_scratch_init 0
		.amdhsa_user_sgpr_kernarg_preload_length 0
		.amdhsa_user_sgpr_kernarg_preload_offset 0
		.amdhsa_user_sgpr_private_segment_size 0
		.amdhsa_uses_dynamic_stack 0
		.amdhsa_system_sgpr_private_segment_wavefront_offset 0
		.amdhsa_system_sgpr_workgroup_id_x 1
		.amdhsa_system_sgpr_workgroup_id_y 0
		.amdhsa_system_sgpr_workgroup_id_z 0
		.amdhsa_system_sgpr_workgroup_info 0
		.amdhsa_system_vgpr_workitem_id 0
		.amdhsa_next_free_vgpr 6
		.amdhsa_next_free_sgpr 11
		.amdhsa_accum_offset 8
		.amdhsa_reserve_vcc 1
		.amdhsa_reserve_flat_scratch 0
		.amdhsa_float_round_mode_32 0
		.amdhsa_float_round_mode_16_64 0
		.amdhsa_float_denorm_mode_32 3
		.amdhsa_float_denorm_mode_16_64 3
		.amdhsa_dx10_clamp 1
		.amdhsa_ieee_mode 1
		.amdhsa_fp16_overflow 0
		.amdhsa_tg_split 0
		.amdhsa_exception_fp_ieee_invalid_op 0
		.amdhsa_exception_fp_denorm_src 0
		.amdhsa_exception_fp_ieee_div_zero 0
		.amdhsa_exception_fp_ieee_overflow 0
		.amdhsa_exception_fp_ieee_underflow 0
		.amdhsa_exception_fp_ieee_inexact 0
		.amdhsa_exception_int_div_zero 0
	.end_amdhsa_kernel
	.section	.text._ZN7rocprim17ROCPRIM_400000_NS6detail31init_lookback_scan_state_kernelINS1_19lookback_scan_stateIiLb0ELb1EEENS1_16block_id_wrapperIjLb1EEEEEvT_jT0_jPNS7_10value_typeE,"axG",@progbits,_ZN7rocprim17ROCPRIM_400000_NS6detail31init_lookback_scan_state_kernelINS1_19lookback_scan_stateIiLb0ELb1EEENS1_16block_id_wrapperIjLb1EEEEEvT_jT0_jPNS7_10value_typeE,comdat
.Lfunc_end84:
	.size	_ZN7rocprim17ROCPRIM_400000_NS6detail31init_lookback_scan_state_kernelINS1_19lookback_scan_stateIiLb0ELb1EEENS1_16block_id_wrapperIjLb1EEEEEvT_jT0_jPNS7_10value_typeE, .Lfunc_end84-_ZN7rocprim17ROCPRIM_400000_NS6detail31init_lookback_scan_state_kernelINS1_19lookback_scan_stateIiLb0ELb1EEENS1_16block_id_wrapperIjLb1EEEEEvT_jT0_jPNS7_10value_typeE
                                        ; -- End function
	.section	.AMDGPU.csdata,"",@progbits
; Kernel info:
; codeLenInByte = 380
; NumSgprs: 15
; NumVgprs: 6
; NumAgprs: 0
; TotalNumVgprs: 6
; ScratchSize: 0
; MemoryBound: 0
; FloatMode: 240
; IeeeMode: 1
; LDSByteSize: 0 bytes/workgroup (compile time only)
; SGPRBlocks: 1
; VGPRBlocks: 0
; NumSGPRsForWavesPerEU: 15
; NumVGPRsForWavesPerEU: 6
; AccumOffset: 8
; Occupancy: 8
; WaveLimiterHint : 0
; COMPUTE_PGM_RSRC2:SCRATCH_EN: 0
; COMPUTE_PGM_RSRC2:USER_SGPR: 6
; COMPUTE_PGM_RSRC2:TRAP_HANDLER: 0
; COMPUTE_PGM_RSRC2:TGID_X_EN: 1
; COMPUTE_PGM_RSRC2:TGID_Y_EN: 0
; COMPUTE_PGM_RSRC2:TGID_Z_EN: 0
; COMPUTE_PGM_RSRC2:TIDIG_COMP_CNT: 0
; COMPUTE_PGM_RSRC3_GFX90A:ACCUM_OFFSET: 1
; COMPUTE_PGM_RSRC3_GFX90A:TG_SPLIT: 0
	.section	.text._ZN7rocprim17ROCPRIM_400000_NS6detail17trampoline_kernelINS0_14default_configENS1_20scan_config_selectorIiEEZZNS1_9scan_implILNS1_25lookback_scan_determinismE0ELb0ELb0ES3_PiS8_iN6thrust23THRUST_200600_302600_NS4plusIvEEiEEDaPvRmT3_T4_T5_mT6_P12ihipStream_tbENKUlT_T0_E_clISt17integral_constantIbLb0EESP_IbLb1EEEEDaSL_SM_EUlSL_E_NS1_11comp_targetILNS1_3genE0ELNS1_11target_archE4294967295ELNS1_3gpuE0ELNS1_3repE0EEENS1_30default_config_static_selectorELNS0_4arch9wavefront6targetE1EEEvT1_,"axG",@progbits,_ZN7rocprim17ROCPRIM_400000_NS6detail17trampoline_kernelINS0_14default_configENS1_20scan_config_selectorIiEEZZNS1_9scan_implILNS1_25lookback_scan_determinismE0ELb0ELb0ES3_PiS8_iN6thrust23THRUST_200600_302600_NS4plusIvEEiEEDaPvRmT3_T4_T5_mT6_P12ihipStream_tbENKUlT_T0_E_clISt17integral_constantIbLb0EESP_IbLb1EEEEDaSL_SM_EUlSL_E_NS1_11comp_targetILNS1_3genE0ELNS1_11target_archE4294967295ELNS1_3gpuE0ELNS1_3repE0EEENS1_30default_config_static_selectorELNS0_4arch9wavefront6targetE1EEEvT1_,comdat
	.protected	_ZN7rocprim17ROCPRIM_400000_NS6detail17trampoline_kernelINS0_14default_configENS1_20scan_config_selectorIiEEZZNS1_9scan_implILNS1_25lookback_scan_determinismE0ELb0ELb0ES3_PiS8_iN6thrust23THRUST_200600_302600_NS4plusIvEEiEEDaPvRmT3_T4_T5_mT6_P12ihipStream_tbENKUlT_T0_E_clISt17integral_constantIbLb0EESP_IbLb1EEEEDaSL_SM_EUlSL_E_NS1_11comp_targetILNS1_3genE0ELNS1_11target_archE4294967295ELNS1_3gpuE0ELNS1_3repE0EEENS1_30default_config_static_selectorELNS0_4arch9wavefront6targetE1EEEvT1_ ; -- Begin function _ZN7rocprim17ROCPRIM_400000_NS6detail17trampoline_kernelINS0_14default_configENS1_20scan_config_selectorIiEEZZNS1_9scan_implILNS1_25lookback_scan_determinismE0ELb0ELb0ES3_PiS8_iN6thrust23THRUST_200600_302600_NS4plusIvEEiEEDaPvRmT3_T4_T5_mT6_P12ihipStream_tbENKUlT_T0_E_clISt17integral_constantIbLb0EESP_IbLb1EEEEDaSL_SM_EUlSL_E_NS1_11comp_targetILNS1_3genE0ELNS1_11target_archE4294967295ELNS1_3gpuE0ELNS1_3repE0EEENS1_30default_config_static_selectorELNS0_4arch9wavefront6targetE1EEEvT1_
	.globl	_ZN7rocprim17ROCPRIM_400000_NS6detail17trampoline_kernelINS0_14default_configENS1_20scan_config_selectorIiEEZZNS1_9scan_implILNS1_25lookback_scan_determinismE0ELb0ELb0ES3_PiS8_iN6thrust23THRUST_200600_302600_NS4plusIvEEiEEDaPvRmT3_T4_T5_mT6_P12ihipStream_tbENKUlT_T0_E_clISt17integral_constantIbLb0EESP_IbLb1EEEEDaSL_SM_EUlSL_E_NS1_11comp_targetILNS1_3genE0ELNS1_11target_archE4294967295ELNS1_3gpuE0ELNS1_3repE0EEENS1_30default_config_static_selectorELNS0_4arch9wavefront6targetE1EEEvT1_
	.p2align	8
	.type	_ZN7rocprim17ROCPRIM_400000_NS6detail17trampoline_kernelINS0_14default_configENS1_20scan_config_selectorIiEEZZNS1_9scan_implILNS1_25lookback_scan_determinismE0ELb0ELb0ES3_PiS8_iN6thrust23THRUST_200600_302600_NS4plusIvEEiEEDaPvRmT3_T4_T5_mT6_P12ihipStream_tbENKUlT_T0_E_clISt17integral_constantIbLb0EESP_IbLb1EEEEDaSL_SM_EUlSL_E_NS1_11comp_targetILNS1_3genE0ELNS1_11target_archE4294967295ELNS1_3gpuE0ELNS1_3repE0EEENS1_30default_config_static_selectorELNS0_4arch9wavefront6targetE1EEEvT1_,@function
_ZN7rocprim17ROCPRIM_400000_NS6detail17trampoline_kernelINS0_14default_configENS1_20scan_config_selectorIiEEZZNS1_9scan_implILNS1_25lookback_scan_determinismE0ELb0ELb0ES3_PiS8_iN6thrust23THRUST_200600_302600_NS4plusIvEEiEEDaPvRmT3_T4_T5_mT6_P12ihipStream_tbENKUlT_T0_E_clISt17integral_constantIbLb0EESP_IbLb1EEEEDaSL_SM_EUlSL_E_NS1_11comp_targetILNS1_3genE0ELNS1_11target_archE4294967295ELNS1_3gpuE0ELNS1_3repE0EEENS1_30default_config_static_selectorELNS0_4arch9wavefront6targetE1EEEvT1_: ; @_ZN7rocprim17ROCPRIM_400000_NS6detail17trampoline_kernelINS0_14default_configENS1_20scan_config_selectorIiEEZZNS1_9scan_implILNS1_25lookback_scan_determinismE0ELb0ELb0ES3_PiS8_iN6thrust23THRUST_200600_302600_NS4plusIvEEiEEDaPvRmT3_T4_T5_mT6_P12ihipStream_tbENKUlT_T0_E_clISt17integral_constantIbLb0EESP_IbLb1EEEEDaSL_SM_EUlSL_E_NS1_11comp_targetILNS1_3genE0ELNS1_11target_archE4294967295ELNS1_3gpuE0ELNS1_3repE0EEENS1_30default_config_static_selectorELNS0_4arch9wavefront6targetE1EEEvT1_
; %bb.0:
	.section	.rodata,"a",@progbits
	.p2align	6, 0x0
	.amdhsa_kernel _ZN7rocprim17ROCPRIM_400000_NS6detail17trampoline_kernelINS0_14default_configENS1_20scan_config_selectorIiEEZZNS1_9scan_implILNS1_25lookback_scan_determinismE0ELb0ELb0ES3_PiS8_iN6thrust23THRUST_200600_302600_NS4plusIvEEiEEDaPvRmT3_T4_T5_mT6_P12ihipStream_tbENKUlT_T0_E_clISt17integral_constantIbLb0EESP_IbLb1EEEEDaSL_SM_EUlSL_E_NS1_11comp_targetILNS1_3genE0ELNS1_11target_archE4294967295ELNS1_3gpuE0ELNS1_3repE0EEENS1_30default_config_static_selectorELNS0_4arch9wavefront6targetE1EEEvT1_
		.amdhsa_group_segment_fixed_size 0
		.amdhsa_private_segment_fixed_size 0
		.amdhsa_kernarg_size 96
		.amdhsa_user_sgpr_count 6
		.amdhsa_user_sgpr_private_segment_buffer 1
		.amdhsa_user_sgpr_dispatch_ptr 0
		.amdhsa_user_sgpr_queue_ptr 0
		.amdhsa_user_sgpr_kernarg_segment_ptr 1
		.amdhsa_user_sgpr_dispatch_id 0
		.amdhsa_user_sgpr_flat_scratch_init 0
		.amdhsa_user_sgpr_kernarg_preload_length 0
		.amdhsa_user_sgpr_kernarg_preload_offset 0
		.amdhsa_user_sgpr_private_segment_size 0
		.amdhsa_uses_dynamic_stack 0
		.amdhsa_system_sgpr_private_segment_wavefront_offset 0
		.amdhsa_system_sgpr_workgroup_id_x 1
		.amdhsa_system_sgpr_workgroup_id_y 0
		.amdhsa_system_sgpr_workgroup_id_z 0
		.amdhsa_system_sgpr_workgroup_info 0
		.amdhsa_system_vgpr_workitem_id 0
		.amdhsa_next_free_vgpr 1
		.amdhsa_next_free_sgpr 0
		.amdhsa_accum_offset 4
		.amdhsa_reserve_vcc 0
		.amdhsa_reserve_flat_scratch 0
		.amdhsa_float_round_mode_32 0
		.amdhsa_float_round_mode_16_64 0
		.amdhsa_float_denorm_mode_32 3
		.amdhsa_float_denorm_mode_16_64 3
		.amdhsa_dx10_clamp 1
		.amdhsa_ieee_mode 1
		.amdhsa_fp16_overflow 0
		.amdhsa_tg_split 0
		.amdhsa_exception_fp_ieee_invalid_op 0
		.amdhsa_exception_fp_denorm_src 0
		.amdhsa_exception_fp_ieee_div_zero 0
		.amdhsa_exception_fp_ieee_overflow 0
		.amdhsa_exception_fp_ieee_underflow 0
		.amdhsa_exception_fp_ieee_inexact 0
		.amdhsa_exception_int_div_zero 0
	.end_amdhsa_kernel
	.section	.text._ZN7rocprim17ROCPRIM_400000_NS6detail17trampoline_kernelINS0_14default_configENS1_20scan_config_selectorIiEEZZNS1_9scan_implILNS1_25lookback_scan_determinismE0ELb0ELb0ES3_PiS8_iN6thrust23THRUST_200600_302600_NS4plusIvEEiEEDaPvRmT3_T4_T5_mT6_P12ihipStream_tbENKUlT_T0_E_clISt17integral_constantIbLb0EESP_IbLb1EEEEDaSL_SM_EUlSL_E_NS1_11comp_targetILNS1_3genE0ELNS1_11target_archE4294967295ELNS1_3gpuE0ELNS1_3repE0EEENS1_30default_config_static_selectorELNS0_4arch9wavefront6targetE1EEEvT1_,"axG",@progbits,_ZN7rocprim17ROCPRIM_400000_NS6detail17trampoline_kernelINS0_14default_configENS1_20scan_config_selectorIiEEZZNS1_9scan_implILNS1_25lookback_scan_determinismE0ELb0ELb0ES3_PiS8_iN6thrust23THRUST_200600_302600_NS4plusIvEEiEEDaPvRmT3_T4_T5_mT6_P12ihipStream_tbENKUlT_T0_E_clISt17integral_constantIbLb0EESP_IbLb1EEEEDaSL_SM_EUlSL_E_NS1_11comp_targetILNS1_3genE0ELNS1_11target_archE4294967295ELNS1_3gpuE0ELNS1_3repE0EEENS1_30default_config_static_selectorELNS0_4arch9wavefront6targetE1EEEvT1_,comdat
.Lfunc_end85:
	.size	_ZN7rocprim17ROCPRIM_400000_NS6detail17trampoline_kernelINS0_14default_configENS1_20scan_config_selectorIiEEZZNS1_9scan_implILNS1_25lookback_scan_determinismE0ELb0ELb0ES3_PiS8_iN6thrust23THRUST_200600_302600_NS4plusIvEEiEEDaPvRmT3_T4_T5_mT6_P12ihipStream_tbENKUlT_T0_E_clISt17integral_constantIbLb0EESP_IbLb1EEEEDaSL_SM_EUlSL_E_NS1_11comp_targetILNS1_3genE0ELNS1_11target_archE4294967295ELNS1_3gpuE0ELNS1_3repE0EEENS1_30default_config_static_selectorELNS0_4arch9wavefront6targetE1EEEvT1_, .Lfunc_end85-_ZN7rocprim17ROCPRIM_400000_NS6detail17trampoline_kernelINS0_14default_configENS1_20scan_config_selectorIiEEZZNS1_9scan_implILNS1_25lookback_scan_determinismE0ELb0ELb0ES3_PiS8_iN6thrust23THRUST_200600_302600_NS4plusIvEEiEEDaPvRmT3_T4_T5_mT6_P12ihipStream_tbENKUlT_T0_E_clISt17integral_constantIbLb0EESP_IbLb1EEEEDaSL_SM_EUlSL_E_NS1_11comp_targetILNS1_3genE0ELNS1_11target_archE4294967295ELNS1_3gpuE0ELNS1_3repE0EEENS1_30default_config_static_selectorELNS0_4arch9wavefront6targetE1EEEvT1_
                                        ; -- End function
	.section	.AMDGPU.csdata,"",@progbits
; Kernel info:
; codeLenInByte = 0
; NumSgprs: 4
; NumVgprs: 0
; NumAgprs: 0
; TotalNumVgprs: 0
; ScratchSize: 0
; MemoryBound: 0
; FloatMode: 240
; IeeeMode: 1
; LDSByteSize: 0 bytes/workgroup (compile time only)
; SGPRBlocks: 0
; VGPRBlocks: 0
; NumSGPRsForWavesPerEU: 4
; NumVGPRsForWavesPerEU: 1
; AccumOffset: 4
; Occupancy: 8
; WaveLimiterHint : 0
; COMPUTE_PGM_RSRC2:SCRATCH_EN: 0
; COMPUTE_PGM_RSRC2:USER_SGPR: 6
; COMPUTE_PGM_RSRC2:TRAP_HANDLER: 0
; COMPUTE_PGM_RSRC2:TGID_X_EN: 1
; COMPUTE_PGM_RSRC2:TGID_Y_EN: 0
; COMPUTE_PGM_RSRC2:TGID_Z_EN: 0
; COMPUTE_PGM_RSRC2:TIDIG_COMP_CNT: 0
; COMPUTE_PGM_RSRC3_GFX90A:ACCUM_OFFSET: 0
; COMPUTE_PGM_RSRC3_GFX90A:TG_SPLIT: 0
	.section	.text._ZN7rocprim17ROCPRIM_400000_NS6detail17trampoline_kernelINS0_14default_configENS1_20scan_config_selectorIiEEZZNS1_9scan_implILNS1_25lookback_scan_determinismE0ELb0ELb0ES3_PiS8_iN6thrust23THRUST_200600_302600_NS4plusIvEEiEEDaPvRmT3_T4_T5_mT6_P12ihipStream_tbENKUlT_T0_E_clISt17integral_constantIbLb0EESP_IbLb1EEEEDaSL_SM_EUlSL_E_NS1_11comp_targetILNS1_3genE5ELNS1_11target_archE942ELNS1_3gpuE9ELNS1_3repE0EEENS1_30default_config_static_selectorELNS0_4arch9wavefront6targetE1EEEvT1_,"axG",@progbits,_ZN7rocprim17ROCPRIM_400000_NS6detail17trampoline_kernelINS0_14default_configENS1_20scan_config_selectorIiEEZZNS1_9scan_implILNS1_25lookback_scan_determinismE0ELb0ELb0ES3_PiS8_iN6thrust23THRUST_200600_302600_NS4plusIvEEiEEDaPvRmT3_T4_T5_mT6_P12ihipStream_tbENKUlT_T0_E_clISt17integral_constantIbLb0EESP_IbLb1EEEEDaSL_SM_EUlSL_E_NS1_11comp_targetILNS1_3genE5ELNS1_11target_archE942ELNS1_3gpuE9ELNS1_3repE0EEENS1_30default_config_static_selectorELNS0_4arch9wavefront6targetE1EEEvT1_,comdat
	.protected	_ZN7rocprim17ROCPRIM_400000_NS6detail17trampoline_kernelINS0_14default_configENS1_20scan_config_selectorIiEEZZNS1_9scan_implILNS1_25lookback_scan_determinismE0ELb0ELb0ES3_PiS8_iN6thrust23THRUST_200600_302600_NS4plusIvEEiEEDaPvRmT3_T4_T5_mT6_P12ihipStream_tbENKUlT_T0_E_clISt17integral_constantIbLb0EESP_IbLb1EEEEDaSL_SM_EUlSL_E_NS1_11comp_targetILNS1_3genE5ELNS1_11target_archE942ELNS1_3gpuE9ELNS1_3repE0EEENS1_30default_config_static_selectorELNS0_4arch9wavefront6targetE1EEEvT1_ ; -- Begin function _ZN7rocprim17ROCPRIM_400000_NS6detail17trampoline_kernelINS0_14default_configENS1_20scan_config_selectorIiEEZZNS1_9scan_implILNS1_25lookback_scan_determinismE0ELb0ELb0ES3_PiS8_iN6thrust23THRUST_200600_302600_NS4plusIvEEiEEDaPvRmT3_T4_T5_mT6_P12ihipStream_tbENKUlT_T0_E_clISt17integral_constantIbLb0EESP_IbLb1EEEEDaSL_SM_EUlSL_E_NS1_11comp_targetILNS1_3genE5ELNS1_11target_archE942ELNS1_3gpuE9ELNS1_3repE0EEENS1_30default_config_static_selectorELNS0_4arch9wavefront6targetE1EEEvT1_
	.globl	_ZN7rocprim17ROCPRIM_400000_NS6detail17trampoline_kernelINS0_14default_configENS1_20scan_config_selectorIiEEZZNS1_9scan_implILNS1_25lookback_scan_determinismE0ELb0ELb0ES3_PiS8_iN6thrust23THRUST_200600_302600_NS4plusIvEEiEEDaPvRmT3_T4_T5_mT6_P12ihipStream_tbENKUlT_T0_E_clISt17integral_constantIbLb0EESP_IbLb1EEEEDaSL_SM_EUlSL_E_NS1_11comp_targetILNS1_3genE5ELNS1_11target_archE942ELNS1_3gpuE9ELNS1_3repE0EEENS1_30default_config_static_selectorELNS0_4arch9wavefront6targetE1EEEvT1_
	.p2align	8
	.type	_ZN7rocprim17ROCPRIM_400000_NS6detail17trampoline_kernelINS0_14default_configENS1_20scan_config_selectorIiEEZZNS1_9scan_implILNS1_25lookback_scan_determinismE0ELb0ELb0ES3_PiS8_iN6thrust23THRUST_200600_302600_NS4plusIvEEiEEDaPvRmT3_T4_T5_mT6_P12ihipStream_tbENKUlT_T0_E_clISt17integral_constantIbLb0EESP_IbLb1EEEEDaSL_SM_EUlSL_E_NS1_11comp_targetILNS1_3genE5ELNS1_11target_archE942ELNS1_3gpuE9ELNS1_3repE0EEENS1_30default_config_static_selectorELNS0_4arch9wavefront6targetE1EEEvT1_,@function
_ZN7rocprim17ROCPRIM_400000_NS6detail17trampoline_kernelINS0_14default_configENS1_20scan_config_selectorIiEEZZNS1_9scan_implILNS1_25lookback_scan_determinismE0ELb0ELb0ES3_PiS8_iN6thrust23THRUST_200600_302600_NS4plusIvEEiEEDaPvRmT3_T4_T5_mT6_P12ihipStream_tbENKUlT_T0_E_clISt17integral_constantIbLb0EESP_IbLb1EEEEDaSL_SM_EUlSL_E_NS1_11comp_targetILNS1_3genE5ELNS1_11target_archE942ELNS1_3gpuE9ELNS1_3repE0EEENS1_30default_config_static_selectorELNS0_4arch9wavefront6targetE1EEEvT1_: ; @_ZN7rocprim17ROCPRIM_400000_NS6detail17trampoline_kernelINS0_14default_configENS1_20scan_config_selectorIiEEZZNS1_9scan_implILNS1_25lookback_scan_determinismE0ELb0ELb0ES3_PiS8_iN6thrust23THRUST_200600_302600_NS4plusIvEEiEEDaPvRmT3_T4_T5_mT6_P12ihipStream_tbENKUlT_T0_E_clISt17integral_constantIbLb0EESP_IbLb1EEEEDaSL_SM_EUlSL_E_NS1_11comp_targetILNS1_3genE5ELNS1_11target_archE942ELNS1_3gpuE9ELNS1_3repE0EEENS1_30default_config_static_selectorELNS0_4arch9wavefront6targetE1EEEvT1_
; %bb.0:
	.section	.rodata,"a",@progbits
	.p2align	6, 0x0
	.amdhsa_kernel _ZN7rocprim17ROCPRIM_400000_NS6detail17trampoline_kernelINS0_14default_configENS1_20scan_config_selectorIiEEZZNS1_9scan_implILNS1_25lookback_scan_determinismE0ELb0ELb0ES3_PiS8_iN6thrust23THRUST_200600_302600_NS4plusIvEEiEEDaPvRmT3_T4_T5_mT6_P12ihipStream_tbENKUlT_T0_E_clISt17integral_constantIbLb0EESP_IbLb1EEEEDaSL_SM_EUlSL_E_NS1_11comp_targetILNS1_3genE5ELNS1_11target_archE942ELNS1_3gpuE9ELNS1_3repE0EEENS1_30default_config_static_selectorELNS0_4arch9wavefront6targetE1EEEvT1_
		.amdhsa_group_segment_fixed_size 0
		.amdhsa_private_segment_fixed_size 0
		.amdhsa_kernarg_size 96
		.amdhsa_user_sgpr_count 6
		.amdhsa_user_sgpr_private_segment_buffer 1
		.amdhsa_user_sgpr_dispatch_ptr 0
		.amdhsa_user_sgpr_queue_ptr 0
		.amdhsa_user_sgpr_kernarg_segment_ptr 1
		.amdhsa_user_sgpr_dispatch_id 0
		.amdhsa_user_sgpr_flat_scratch_init 0
		.amdhsa_user_sgpr_kernarg_preload_length 0
		.amdhsa_user_sgpr_kernarg_preload_offset 0
		.amdhsa_user_sgpr_private_segment_size 0
		.amdhsa_uses_dynamic_stack 0
		.amdhsa_system_sgpr_private_segment_wavefront_offset 0
		.amdhsa_system_sgpr_workgroup_id_x 1
		.amdhsa_system_sgpr_workgroup_id_y 0
		.amdhsa_system_sgpr_workgroup_id_z 0
		.amdhsa_system_sgpr_workgroup_info 0
		.amdhsa_system_vgpr_workitem_id 0
		.amdhsa_next_free_vgpr 1
		.amdhsa_next_free_sgpr 0
		.amdhsa_accum_offset 4
		.amdhsa_reserve_vcc 0
		.amdhsa_reserve_flat_scratch 0
		.amdhsa_float_round_mode_32 0
		.amdhsa_float_round_mode_16_64 0
		.amdhsa_float_denorm_mode_32 3
		.amdhsa_float_denorm_mode_16_64 3
		.amdhsa_dx10_clamp 1
		.amdhsa_ieee_mode 1
		.amdhsa_fp16_overflow 0
		.amdhsa_tg_split 0
		.amdhsa_exception_fp_ieee_invalid_op 0
		.amdhsa_exception_fp_denorm_src 0
		.amdhsa_exception_fp_ieee_div_zero 0
		.amdhsa_exception_fp_ieee_overflow 0
		.amdhsa_exception_fp_ieee_underflow 0
		.amdhsa_exception_fp_ieee_inexact 0
		.amdhsa_exception_int_div_zero 0
	.end_amdhsa_kernel
	.section	.text._ZN7rocprim17ROCPRIM_400000_NS6detail17trampoline_kernelINS0_14default_configENS1_20scan_config_selectorIiEEZZNS1_9scan_implILNS1_25lookback_scan_determinismE0ELb0ELb0ES3_PiS8_iN6thrust23THRUST_200600_302600_NS4plusIvEEiEEDaPvRmT3_T4_T5_mT6_P12ihipStream_tbENKUlT_T0_E_clISt17integral_constantIbLb0EESP_IbLb1EEEEDaSL_SM_EUlSL_E_NS1_11comp_targetILNS1_3genE5ELNS1_11target_archE942ELNS1_3gpuE9ELNS1_3repE0EEENS1_30default_config_static_selectorELNS0_4arch9wavefront6targetE1EEEvT1_,"axG",@progbits,_ZN7rocprim17ROCPRIM_400000_NS6detail17trampoline_kernelINS0_14default_configENS1_20scan_config_selectorIiEEZZNS1_9scan_implILNS1_25lookback_scan_determinismE0ELb0ELb0ES3_PiS8_iN6thrust23THRUST_200600_302600_NS4plusIvEEiEEDaPvRmT3_T4_T5_mT6_P12ihipStream_tbENKUlT_T0_E_clISt17integral_constantIbLb0EESP_IbLb1EEEEDaSL_SM_EUlSL_E_NS1_11comp_targetILNS1_3genE5ELNS1_11target_archE942ELNS1_3gpuE9ELNS1_3repE0EEENS1_30default_config_static_selectorELNS0_4arch9wavefront6targetE1EEEvT1_,comdat
.Lfunc_end86:
	.size	_ZN7rocprim17ROCPRIM_400000_NS6detail17trampoline_kernelINS0_14default_configENS1_20scan_config_selectorIiEEZZNS1_9scan_implILNS1_25lookback_scan_determinismE0ELb0ELb0ES3_PiS8_iN6thrust23THRUST_200600_302600_NS4plusIvEEiEEDaPvRmT3_T4_T5_mT6_P12ihipStream_tbENKUlT_T0_E_clISt17integral_constantIbLb0EESP_IbLb1EEEEDaSL_SM_EUlSL_E_NS1_11comp_targetILNS1_3genE5ELNS1_11target_archE942ELNS1_3gpuE9ELNS1_3repE0EEENS1_30default_config_static_selectorELNS0_4arch9wavefront6targetE1EEEvT1_, .Lfunc_end86-_ZN7rocprim17ROCPRIM_400000_NS6detail17trampoline_kernelINS0_14default_configENS1_20scan_config_selectorIiEEZZNS1_9scan_implILNS1_25lookback_scan_determinismE0ELb0ELb0ES3_PiS8_iN6thrust23THRUST_200600_302600_NS4plusIvEEiEEDaPvRmT3_T4_T5_mT6_P12ihipStream_tbENKUlT_T0_E_clISt17integral_constantIbLb0EESP_IbLb1EEEEDaSL_SM_EUlSL_E_NS1_11comp_targetILNS1_3genE5ELNS1_11target_archE942ELNS1_3gpuE9ELNS1_3repE0EEENS1_30default_config_static_selectorELNS0_4arch9wavefront6targetE1EEEvT1_
                                        ; -- End function
	.section	.AMDGPU.csdata,"",@progbits
; Kernel info:
; codeLenInByte = 0
; NumSgprs: 4
; NumVgprs: 0
; NumAgprs: 0
; TotalNumVgprs: 0
; ScratchSize: 0
; MemoryBound: 0
; FloatMode: 240
; IeeeMode: 1
; LDSByteSize: 0 bytes/workgroup (compile time only)
; SGPRBlocks: 0
; VGPRBlocks: 0
; NumSGPRsForWavesPerEU: 4
; NumVGPRsForWavesPerEU: 1
; AccumOffset: 4
; Occupancy: 8
; WaveLimiterHint : 0
; COMPUTE_PGM_RSRC2:SCRATCH_EN: 0
; COMPUTE_PGM_RSRC2:USER_SGPR: 6
; COMPUTE_PGM_RSRC2:TRAP_HANDLER: 0
; COMPUTE_PGM_RSRC2:TGID_X_EN: 1
; COMPUTE_PGM_RSRC2:TGID_Y_EN: 0
; COMPUTE_PGM_RSRC2:TGID_Z_EN: 0
; COMPUTE_PGM_RSRC2:TIDIG_COMP_CNT: 0
; COMPUTE_PGM_RSRC3_GFX90A:ACCUM_OFFSET: 0
; COMPUTE_PGM_RSRC3_GFX90A:TG_SPLIT: 0
	.section	.text._ZN7rocprim17ROCPRIM_400000_NS6detail17trampoline_kernelINS0_14default_configENS1_20scan_config_selectorIiEEZZNS1_9scan_implILNS1_25lookback_scan_determinismE0ELb0ELb0ES3_PiS8_iN6thrust23THRUST_200600_302600_NS4plusIvEEiEEDaPvRmT3_T4_T5_mT6_P12ihipStream_tbENKUlT_T0_E_clISt17integral_constantIbLb0EESP_IbLb1EEEEDaSL_SM_EUlSL_E_NS1_11comp_targetILNS1_3genE4ELNS1_11target_archE910ELNS1_3gpuE8ELNS1_3repE0EEENS1_30default_config_static_selectorELNS0_4arch9wavefront6targetE1EEEvT1_,"axG",@progbits,_ZN7rocprim17ROCPRIM_400000_NS6detail17trampoline_kernelINS0_14default_configENS1_20scan_config_selectorIiEEZZNS1_9scan_implILNS1_25lookback_scan_determinismE0ELb0ELb0ES3_PiS8_iN6thrust23THRUST_200600_302600_NS4plusIvEEiEEDaPvRmT3_T4_T5_mT6_P12ihipStream_tbENKUlT_T0_E_clISt17integral_constantIbLb0EESP_IbLb1EEEEDaSL_SM_EUlSL_E_NS1_11comp_targetILNS1_3genE4ELNS1_11target_archE910ELNS1_3gpuE8ELNS1_3repE0EEENS1_30default_config_static_selectorELNS0_4arch9wavefront6targetE1EEEvT1_,comdat
	.protected	_ZN7rocprim17ROCPRIM_400000_NS6detail17trampoline_kernelINS0_14default_configENS1_20scan_config_selectorIiEEZZNS1_9scan_implILNS1_25lookback_scan_determinismE0ELb0ELb0ES3_PiS8_iN6thrust23THRUST_200600_302600_NS4plusIvEEiEEDaPvRmT3_T4_T5_mT6_P12ihipStream_tbENKUlT_T0_E_clISt17integral_constantIbLb0EESP_IbLb1EEEEDaSL_SM_EUlSL_E_NS1_11comp_targetILNS1_3genE4ELNS1_11target_archE910ELNS1_3gpuE8ELNS1_3repE0EEENS1_30default_config_static_selectorELNS0_4arch9wavefront6targetE1EEEvT1_ ; -- Begin function _ZN7rocprim17ROCPRIM_400000_NS6detail17trampoline_kernelINS0_14default_configENS1_20scan_config_selectorIiEEZZNS1_9scan_implILNS1_25lookback_scan_determinismE0ELb0ELb0ES3_PiS8_iN6thrust23THRUST_200600_302600_NS4plusIvEEiEEDaPvRmT3_T4_T5_mT6_P12ihipStream_tbENKUlT_T0_E_clISt17integral_constantIbLb0EESP_IbLb1EEEEDaSL_SM_EUlSL_E_NS1_11comp_targetILNS1_3genE4ELNS1_11target_archE910ELNS1_3gpuE8ELNS1_3repE0EEENS1_30default_config_static_selectorELNS0_4arch9wavefront6targetE1EEEvT1_
	.globl	_ZN7rocprim17ROCPRIM_400000_NS6detail17trampoline_kernelINS0_14default_configENS1_20scan_config_selectorIiEEZZNS1_9scan_implILNS1_25lookback_scan_determinismE0ELb0ELb0ES3_PiS8_iN6thrust23THRUST_200600_302600_NS4plusIvEEiEEDaPvRmT3_T4_T5_mT6_P12ihipStream_tbENKUlT_T0_E_clISt17integral_constantIbLb0EESP_IbLb1EEEEDaSL_SM_EUlSL_E_NS1_11comp_targetILNS1_3genE4ELNS1_11target_archE910ELNS1_3gpuE8ELNS1_3repE0EEENS1_30default_config_static_selectorELNS0_4arch9wavefront6targetE1EEEvT1_
	.p2align	8
	.type	_ZN7rocprim17ROCPRIM_400000_NS6detail17trampoline_kernelINS0_14default_configENS1_20scan_config_selectorIiEEZZNS1_9scan_implILNS1_25lookback_scan_determinismE0ELb0ELb0ES3_PiS8_iN6thrust23THRUST_200600_302600_NS4plusIvEEiEEDaPvRmT3_T4_T5_mT6_P12ihipStream_tbENKUlT_T0_E_clISt17integral_constantIbLb0EESP_IbLb1EEEEDaSL_SM_EUlSL_E_NS1_11comp_targetILNS1_3genE4ELNS1_11target_archE910ELNS1_3gpuE8ELNS1_3repE0EEENS1_30default_config_static_selectorELNS0_4arch9wavefront6targetE1EEEvT1_,@function
_ZN7rocprim17ROCPRIM_400000_NS6detail17trampoline_kernelINS0_14default_configENS1_20scan_config_selectorIiEEZZNS1_9scan_implILNS1_25lookback_scan_determinismE0ELb0ELb0ES3_PiS8_iN6thrust23THRUST_200600_302600_NS4plusIvEEiEEDaPvRmT3_T4_T5_mT6_P12ihipStream_tbENKUlT_T0_E_clISt17integral_constantIbLb0EESP_IbLb1EEEEDaSL_SM_EUlSL_E_NS1_11comp_targetILNS1_3genE4ELNS1_11target_archE910ELNS1_3gpuE8ELNS1_3repE0EEENS1_30default_config_static_selectorELNS0_4arch9wavefront6targetE1EEEvT1_: ; @_ZN7rocprim17ROCPRIM_400000_NS6detail17trampoline_kernelINS0_14default_configENS1_20scan_config_selectorIiEEZZNS1_9scan_implILNS1_25lookback_scan_determinismE0ELb0ELb0ES3_PiS8_iN6thrust23THRUST_200600_302600_NS4plusIvEEiEEDaPvRmT3_T4_T5_mT6_P12ihipStream_tbENKUlT_T0_E_clISt17integral_constantIbLb0EESP_IbLb1EEEEDaSL_SM_EUlSL_E_NS1_11comp_targetILNS1_3genE4ELNS1_11target_archE910ELNS1_3gpuE8ELNS1_3repE0EEENS1_30default_config_static_selectorELNS0_4arch9wavefront6targetE1EEEvT1_
; %bb.0:
	s_load_dwordx2 s[6:7], s[4:5], 0x28
	v_cmp_ne_u32_e64 s[0:1], 0, v0
	v_cmp_eq_u32_e64 s[2:3], 0, v0
	s_and_saveexec_b64 s[8:9], s[2:3]
	s_cbranch_execz .LBB87_4
; %bb.1:
	s_mov_b64 s[12:13], exec
	v_mbcnt_lo_u32_b32 v1, s12, 0
	v_mbcnt_hi_u32_b32 v1, s13, v1
	v_cmp_eq_u32_e32 vcc, 0, v1
                                        ; implicit-def: $vgpr2
	s_and_saveexec_b64 s[10:11], vcc
	s_cbranch_execz .LBB87_3
; %bb.2:
	s_load_dwordx2 s[14:15], s[4:5], 0x58
	s_bcnt1_i32_b64 s12, s[12:13]
	v_mov_b32_e32 v2, 0
	v_mov_b32_e32 v3, s12
	s_waitcnt lgkmcnt(0)
	global_atomic_add v2, v2, v3, s[14:15] glc
.LBB87_3:
	s_or_b64 exec, exec, s[10:11]
	s_waitcnt vmcnt(0)
	v_readfirstlane_b32 s10, v2
	v_add_u32_e32 v1, s10, v1
	v_mov_b32_e32 v2, 0
	ds_write_b32 v2, v1
.LBB87_4:
	s_or_b64 exec, exec, s[8:9]
	s_load_dwordx8 s[16:23], s[4:5], 0x0
	s_load_dword s24, s[4:5], 0x30
	s_load_dwordx8 s[8:15], s[4:5], 0x38
	v_mov_b32_e32 v1, 0
	s_waitcnt lgkmcnt(0)
	s_barrier
	ds_read_b32 v1, v1
	s_lshl_b64 s[18:19], s[18:19], 2
	s_add_u32 s25, s16, s18
	s_addc_u32 s26, s17, s19
	s_add_i32 s16, s24, -1
	s_mul_i32 s17, s16, 0x500
	s_sub_u32 s30, s22, s17
	s_waitcnt lgkmcnt(0)
	v_readfirstlane_b32 s33, v1
	s_subb_u32 s31, s23, 0
	s_mul_i32 s4, s33, 0x500
	s_mov_b32 s5, 0
	s_cmp_lg_u32 s33, s16
	s_cselect_b64 s[16:17], -1, 0
	s_lshl_b64 s[22:23], s[4:5], 2
	s_add_u32 s24, s25, s22
	s_addc_u32 s25, s26, s23
	s_mov_b64 s[4:5], -1
	s_and_b64 vcc, exec, s[16:17]
	v_lshlrev_b32_e32 v22, 2, v0
	s_barrier
	s_cbranch_vccz .LBB87_6
; %bb.5:
	v_mov_b32_e32 v1, s25
	v_add_co_u32_e32 v2, vcc, s24, v22
	v_addc_co_u32_e32 v1, vcc, 0, v1, vcc
	v_add_co_u32_e32 v2, vcc, 0x1000, v2
	v_addc_co_u32_e32 v3, vcc, 0, v1, vcc
	global_load_dword v4, v22, s[24:25]
	global_load_dword v5, v22, s[24:25] offset:512
	global_load_dword v6, v22, s[24:25] offset:1024
	;; [unrolled: 1-line block ×7, first 2 shown]
	global_load_dword v1, v[2:3], off
	global_load_dword v12, v[2:3], off offset:512
	s_mov_b64 s[4:5], 0
	s_waitcnt vmcnt(8)
	ds_write2st64_b32 v22, v4, v5 offset1:2
	s_waitcnt vmcnt(6)
	ds_write2st64_b32 v22, v6, v7 offset0:4 offset1:6
	s_waitcnt vmcnt(4)
	ds_write2st64_b32 v22, v8, v9 offset0:8 offset1:10
	;; [unrolled: 2-line block ×4, first 2 shown]
	s_waitcnt lgkmcnt(0)
	s_barrier
.LBB87_6:
	s_andn2_b64 vcc, exec, s[4:5]
	v_cmp_gt_u32_e64 s[4:5], s30, v0
	s_cbranch_vccnz .LBB87_28
; %bb.7:
	v_mov_b32_e32 v1, 0
	global_load_dword v1, v1, s[24:25]
	s_waitcnt vmcnt(0)
	v_mov_b32_e32 v2, v1
	v_mov_b32_e32 v3, v1
	;; [unrolled: 1-line block ×9, first 2 shown]
	s_and_saveexec_b64 s[26:27], s[4:5]
	s_cbranch_execz .LBB87_9
; %bb.8:
	global_load_dword v10, v22, s[24:25]
.LBB87_9:
	s_or_b64 exec, exec, s[26:27]
	v_or_b32_e32 v11, 0x80, v0
	v_cmp_gt_u32_e32 vcc, s30, v11
	s_and_saveexec_b64 s[4:5], vcc
	s_cbranch_execz .LBB87_11
; %bb.10:
	global_load_dword v1, v22, s[24:25] offset:512
.LBB87_11:
	s_or_b64 exec, exec, s[4:5]
	v_or_b32_e32 v11, 0x100, v0
	v_cmp_gt_u32_e32 vcc, s30, v11
	s_and_saveexec_b64 s[4:5], vcc
	s_cbranch_execz .LBB87_13
; %bb.12:
	global_load_dword v2, v22, s[24:25] offset:1024
.LBB87_13:
	s_or_b64 exec, exec, s[4:5]
	v_or_b32_e32 v11, 0x180, v0
	v_cmp_gt_u32_e32 vcc, s30, v11
	s_and_saveexec_b64 s[4:5], vcc
	s_cbranch_execz .LBB87_15
; %bb.14:
	global_load_dword v3, v22, s[24:25] offset:1536
.LBB87_15:
	s_or_b64 exec, exec, s[4:5]
	v_or_b32_e32 v11, 0x200, v0
	v_cmp_gt_u32_e32 vcc, s30, v11
	s_and_saveexec_b64 s[4:5], vcc
	s_cbranch_execz .LBB87_17
; %bb.16:
	global_load_dword v4, v22, s[24:25] offset:2048
.LBB87_17:
	s_or_b64 exec, exec, s[4:5]
	v_or_b32_e32 v11, 0x280, v0
	v_cmp_gt_u32_e32 vcc, s30, v11
	s_and_saveexec_b64 s[4:5], vcc
	s_cbranch_execz .LBB87_19
; %bb.18:
	global_load_dword v5, v22, s[24:25] offset:2560
.LBB87_19:
	s_or_b64 exec, exec, s[4:5]
	v_or_b32_e32 v11, 0x300, v0
	v_cmp_gt_u32_e32 vcc, s30, v11
	s_and_saveexec_b64 s[4:5], vcc
	s_cbranch_execz .LBB87_21
; %bb.20:
	global_load_dword v6, v22, s[24:25] offset:3072
.LBB87_21:
	s_or_b64 exec, exec, s[4:5]
	v_or_b32_e32 v11, 0x380, v0
	v_cmp_gt_u32_e32 vcc, s30, v11
	s_and_saveexec_b64 s[4:5], vcc
	s_cbranch_execz .LBB87_23
; %bb.22:
	global_load_dword v7, v22, s[24:25] offset:3584
.LBB87_23:
	s_or_b64 exec, exec, s[4:5]
	v_or_b32_e32 v11, 0x400, v0
	v_cmp_gt_u32_e32 vcc, s30, v11
	s_and_saveexec_b64 s[4:5], vcc
	s_cbranch_execz .LBB87_25
; %bb.24:
	v_lshlrev_b32_e32 v8, 2, v11
	global_load_dword v8, v8, s[24:25]
.LBB87_25:
	s_or_b64 exec, exec, s[4:5]
	v_or_b32_e32 v11, 0x480, v0
	v_cmp_gt_u32_e32 vcc, s30, v11
	s_and_saveexec_b64 s[4:5], vcc
	s_cbranch_execz .LBB87_27
; %bb.26:
	v_lshlrev_b32_e32 v9, 2, v11
	global_load_dword v9, v9, s[24:25]
.LBB87_27:
	s_or_b64 exec, exec, s[4:5]
	s_waitcnt vmcnt(0)
	ds_write2st64_b32 v22, v10, v1 offset1:2
	ds_write2st64_b32 v22, v2, v3 offset0:4 offset1:6
	ds_write2st64_b32 v22, v4, v5 offset0:8 offset1:10
	;; [unrolled: 1-line block ×4, first 2 shown]
	s_waitcnt lgkmcnt(0)
	s_barrier
.LBB87_28:
	v_mul_u32_u24_e32 v23, 10, v0
	v_lshlrev_b32_e32 v1, 2, v23
	ds_read2_b64 v[2:5], v1 offset1:1
	ds_read2_b64 v[16:19], v1 offset0:2 offset1:3
	ds_read_b64 v[20:21], v1 offset:32
	s_cmp_lg_u32 s33, 0
	v_lshrrev_b32_e32 v24, 5, v0
	v_cmp_gt_u32_e32 vcc, 64, v0
	s_waitcnt lgkmcnt(0)
	s_barrier
	s_cbranch_scc0 .LBB87_53
; %bb.29:
	v_add_u32_e32 v6, v3, v2
	v_add3_u32 v6, v6, v4, v5
	v_add3_u32 v6, v6, v16, v17
	v_add3_u32 v6, v6, v18, v19
	v_add3_u32 v6, v6, v20, v21
	v_add_lshl_u32 v7, v24, v0, 2
	ds_write_b32 v7, v6
	s_waitcnt lgkmcnt(0)
	s_barrier
	s_and_saveexec_b64 s[24:25], vcc
	s_cbranch_execz .LBB87_31
; %bb.30:
	v_lshlrev_b32_e32 v7, 1, v0
	v_lshrrev_b32_e32 v8, 4, v0
	v_add_lshl_u32 v7, v8, v7, 2
	ds_read2_b32 v[8:9], v7 offset1:1
	v_mbcnt_lo_u32_b32 v10, -1, 0
	v_mbcnt_hi_u32_b32 v10, -1, v10
	v_and_b32_e32 v11, 15, v10
	v_cmp_ne_u32_e64 s[4:5], 0, v11
	s_waitcnt lgkmcnt(0)
	v_add_u32_e32 v9, v9, v8
	; wave barrier
	s_nop 1
	v_mov_b32_dpp v12, v9 row_shr:1 row_mask:0xf bank_mask:0xf
	v_cndmask_b32_e64 v12, 0, v12, s[4:5]
	v_add_u32_e32 v9, v12, v9
	v_cmp_lt_u32_e64 s[4:5], 1, v11
	s_nop 0
	v_mov_b32_dpp v12, v9 row_shr:2 row_mask:0xf bank_mask:0xf
	v_cndmask_b32_e64 v12, 0, v12, s[4:5]
	v_add_u32_e32 v9, v9, v12
	v_cmp_lt_u32_e64 s[4:5], 3, v11
	;; [unrolled: 5-line block ×3, first 2 shown]
	s_nop 0
	v_mov_b32_dpp v12, v9 row_shr:8 row_mask:0xf bank_mask:0xf
	v_cndmask_b32_e64 v11, 0, v12, s[4:5]
	v_add_u32_e32 v9, v9, v11
	v_bfe_i32 v12, v10, 4, 1
	v_cmp_lt_u32_e64 s[4:5], 31, v10
	v_mov_b32_dpp v11, v9 row_bcast:15 row_mask:0xf bank_mask:0xf
	v_and_b32_e32 v11, v12, v11
	v_add_u32_e32 v9, v9, v11
	v_and_b32_e32 v12, 64, v10
	s_nop 0
	v_mov_b32_dpp v11, v9 row_bcast:31 row_mask:0xf bank_mask:0xf
	v_cndmask_b32_e64 v11, 0, v11, s[4:5]
	v_add_u32_e32 v9, v9, v11
	v_add_u32_e32 v11, -1, v10
	v_cmp_lt_i32_e64 s[4:5], v11, v12
	v_cndmask_b32_e64 v10, v11, v10, s[4:5]
	v_lshlrev_b32_e32 v10, 2, v10
	ds_bpermute_b32 v9, v10, v9
	s_waitcnt lgkmcnt(0)
	v_add_u32_e32 v8, v9, v8
	v_cndmask_b32_e64 v6, v8, v6, s[2:3]
	ds_write_b32 v7, v6
	; wave barrier
	ds_read_b32 v8, v7 offset:4
	s_waitcnt lgkmcnt(0)
	v_add_u32_e32 v6, v8, v6
	ds_write_b32 v7, v6 offset:4
.LBB87_31:
	s_or_b64 exec, exec, s[24:25]
	v_mov_b32_e32 v25, 0
	s_waitcnt lgkmcnt(0)
	s_barrier
	s_and_saveexec_b64 s[4:5], s[0:1]
	s_cbranch_execz .LBB87_33
; %bb.32:
	v_add_u32_e32 v6, -1, v0
	v_lshrrev_b32_e32 v7, 5, v6
	v_add_lshl_u32 v6, v7, v6, 2
	ds_read_b32 v25, v6
.LBB87_33:
	s_or_b64 exec, exec, s[4:5]
	s_and_saveexec_b64 s[24:25], vcc
	s_cbranch_execz .LBB87_52
; %bb.34:
	v_mov_b32_e32 v13, 0
	ds_read_b32 v6, v13 offset:520
	v_mbcnt_lo_u32_b32 v7, -1, 0
	v_mbcnt_hi_u32_b32 v9, -1, v7
	s_mov_b32 s29, 0
	v_cmp_eq_u32_e64 s[4:5], 0, v9
	s_and_saveexec_b64 s[26:27], s[4:5]
	s_cbranch_execz .LBB87_36
; %bb.35:
	s_add_i32 s28, s33, 64
	s_lshl_b64 s[28:29], s[28:29], 3
	s_add_u32 s28, s6, s28
	v_mov_b32_e32 v7, 1
	s_addc_u32 s29, s7, s29
	s_waitcnt lgkmcnt(0)
	global_store_dwordx2 v13, v[6:7], s[28:29]
.LBB87_36:
	s_or_b64 exec, exec, s[26:27]
	v_xad_u32 v8, v9, -1, s33
	v_add_u32_e32 v12, 64, v8
	v_lshlrev_b64 v[10:11], 3, v[12:13]
	v_mov_b32_e32 v7, s7
	v_add_co_u32_e32 v14, vcc, s6, v10
	v_addc_co_u32_e32 v15, vcc, v7, v11, vcc
	global_load_dwordx2 v[10:11], v[14:15], off glc
	s_waitcnt vmcnt(0)
	v_cmp_eq_u16_sdwa s[28:29], v11, v13 src0_sel:BYTE_0 src1_sel:DWORD
	s_and_saveexec_b64 s[26:27], s[28:29]
	s_cbranch_execz .LBB87_40
; %bb.37:
	s_mov_b64 s[28:29], 0
	v_mov_b32_e32 v7, 0
.LBB87_38:                              ; =>This Inner Loop Header: Depth=1
	global_load_dwordx2 v[10:11], v[14:15], off glc
	s_waitcnt vmcnt(0)
	v_cmp_ne_u16_sdwa s[34:35], v11, v7 src0_sel:BYTE_0 src1_sel:DWORD
	s_or_b64 s[28:29], s[34:35], s[28:29]
	s_andn2_b64 exec, exec, s[28:29]
	s_cbranch_execnz .LBB87_38
; %bb.39:
	s_or_b64 exec, exec, s[28:29]
.LBB87_40:
	s_or_b64 exec, exec, s[26:27]
	v_and_b32_e32 v26, 63, v9
	v_mov_b32_e32 v7, 2
	v_cmp_ne_u32_e32 vcc, 63, v26
	v_cmp_eq_u16_sdwa s[26:27], v11, v7 src0_sel:BYTE_0 src1_sel:DWORD
	v_lshlrev_b64 v[12:13], v9, -1
	v_addc_co_u32_e32 v27, vcc, 0, v9, vcc
	v_and_b32_e32 v14, s27, v13
	v_lshlrev_b32_e32 v27, 2, v27
	v_or_b32_e32 v14, 0x80000000, v14
	ds_bpermute_b32 v28, v27, v10
	v_and_b32_e32 v15, s26, v12
	v_ffbl_b32_e32 v14, v14
	v_add_u32_e32 v14, 32, v14
	v_ffbl_b32_e32 v15, v15
	v_min_u32_e32 v14, v15, v14
	v_cmp_lt_u32_e32 vcc, v26, v14
	s_waitcnt lgkmcnt(0)
	v_cndmask_b32_e32 v15, 0, v28, vcc
	v_cmp_gt_u32_e32 vcc, 62, v26
	v_add_u32_e32 v10, v15, v10
	v_cndmask_b32_e64 v15, 0, 1, vcc
	v_lshlrev_b32_e32 v15, 1, v15
	v_add_lshl_u32 v28, v15, v9, 2
	ds_bpermute_b32 v15, v28, v10
	v_add_u32_e32 v29, 2, v26
	v_cmp_le_u32_e32 vcc, v29, v14
	v_add_u32_e32 v31, 4, v26
	v_add_u32_e32 v33, 8, v26
	s_waitcnt lgkmcnt(0)
	v_cndmask_b32_e32 v15, 0, v15, vcc
	v_cmp_gt_u32_e32 vcc, 60, v26
	v_add_u32_e32 v10, v10, v15
	v_cndmask_b32_e64 v15, 0, 1, vcc
	v_lshlrev_b32_e32 v15, 2, v15
	v_add_lshl_u32 v30, v15, v9, 2
	ds_bpermute_b32 v15, v30, v10
	v_cmp_le_u32_e32 vcc, v31, v14
	v_add_u32_e32 v36, 16, v26
	v_add_u32_e32 v38, 32, v26
	s_waitcnt lgkmcnt(0)
	v_cndmask_b32_e32 v15, 0, v15, vcc
	v_cmp_gt_u32_e32 vcc, 56, v26
	v_add_u32_e32 v10, v10, v15
	v_cndmask_b32_e64 v15, 0, 1, vcc
	v_lshlrev_b32_e32 v15, 3, v15
	v_add_lshl_u32 v32, v15, v9, 2
	ds_bpermute_b32 v15, v32, v10
	v_cmp_le_u32_e32 vcc, v33, v14
	s_waitcnt lgkmcnt(0)
	v_cndmask_b32_e32 v15, 0, v15, vcc
	v_cmp_gt_u32_e32 vcc, 48, v26
	v_add_u32_e32 v10, v10, v15
	v_cndmask_b32_e64 v15, 0, 1, vcc
	v_lshlrev_b32_e32 v15, 4, v15
	v_add_lshl_u32 v35, v15, v9, 2
	ds_bpermute_b32 v15, v35, v10
	v_cmp_le_u32_e32 vcc, v36, v14
	;; [unrolled: 9-line block ×3, first 2 shown]
	s_waitcnt lgkmcnt(0)
	v_cndmask_b32_e32 v9, 0, v9, vcc
	v_add_u32_e32 v10, v10, v9
	v_mov_b32_e32 v9, 0
	s_branch .LBB87_42
.LBB87_41:                              ;   in Loop: Header=BB87_42 Depth=1
	s_or_b64 exec, exec, s[26:27]
	v_cmp_eq_u16_sdwa s[26:27], v11, v7 src0_sel:BYTE_0 src1_sel:DWORD
	v_and_b32_e32 v14, s27, v13
	v_or_b32_e32 v14, 0x80000000, v14
	ds_bpermute_b32 v39, v27, v10
	v_and_b32_e32 v15, s26, v12
	v_ffbl_b32_e32 v14, v14
	v_add_u32_e32 v14, 32, v14
	v_ffbl_b32_e32 v15, v15
	v_min_u32_e32 v14, v15, v14
	v_cmp_lt_u32_e32 vcc, v26, v14
	s_waitcnt lgkmcnt(0)
	v_cndmask_b32_e32 v15, 0, v39, vcc
	v_add_u32_e32 v10, v15, v10
	ds_bpermute_b32 v15, v28, v10
	v_cmp_le_u32_e32 vcc, v29, v14
	v_subrev_u32_e32 v8, 64, v8
	s_waitcnt lgkmcnt(0)
	v_cndmask_b32_e32 v15, 0, v15, vcc
	v_add_u32_e32 v10, v10, v15
	ds_bpermute_b32 v15, v30, v10
	v_cmp_le_u32_e32 vcc, v31, v14
	s_waitcnt lgkmcnt(0)
	v_cndmask_b32_e32 v15, 0, v15, vcc
	v_add_u32_e32 v10, v10, v15
	ds_bpermute_b32 v15, v32, v10
	v_cmp_le_u32_e32 vcc, v33, v14
	;; [unrolled: 5-line block ×4, first 2 shown]
	s_waitcnt lgkmcnt(0)
	v_cndmask_b32_e32 v14, 0, v15, vcc
	v_add3_u32 v10, v14, v34, v10
.LBB87_42:                              ; =>This Loop Header: Depth=1
                                        ;     Child Loop BB87_45 Depth 2
	v_cmp_ne_u16_sdwa s[26:27], v11, v7 src0_sel:BYTE_0 src1_sel:DWORD
	v_cndmask_b32_e64 v11, 0, 1, s[26:27]
	;;#ASMSTART
	;;#ASMEND
	v_cmp_ne_u32_e32 vcc, 0, v11
	s_cmp_lg_u64 vcc, exec
	v_mov_b32_e32 v34, v10
	s_cbranch_scc1 .LBB87_47
; %bb.43:                               ;   in Loop: Header=BB87_42 Depth=1
	v_lshlrev_b64 v[10:11], 3, v[8:9]
	v_mov_b32_e32 v15, s7
	v_add_co_u32_e32 v14, vcc, s6, v10
	v_addc_co_u32_e32 v15, vcc, v15, v11, vcc
	global_load_dwordx2 v[10:11], v[14:15], off glc
	s_waitcnt vmcnt(0)
	v_cmp_eq_u16_sdwa s[28:29], v11, v9 src0_sel:BYTE_0 src1_sel:DWORD
	s_and_saveexec_b64 s[26:27], s[28:29]
	s_cbranch_execz .LBB87_41
; %bb.44:                               ;   in Loop: Header=BB87_42 Depth=1
	s_mov_b64 s[28:29], 0
.LBB87_45:                              ;   Parent Loop BB87_42 Depth=1
                                        ; =>  This Inner Loop Header: Depth=2
	global_load_dwordx2 v[10:11], v[14:15], off glc
	s_waitcnt vmcnt(0)
	v_cmp_ne_u16_sdwa s[34:35], v11, v9 src0_sel:BYTE_0 src1_sel:DWORD
	s_or_b64 s[28:29], s[34:35], s[28:29]
	s_andn2_b64 exec, exec, s[28:29]
	s_cbranch_execnz .LBB87_45
; %bb.46:                               ;   in Loop: Header=BB87_42 Depth=1
	s_or_b64 exec, exec, s[28:29]
	s_branch .LBB87_41
.LBB87_47:                              ;   in Loop: Header=BB87_42 Depth=1
                                        ; implicit-def: $vgpr10
                                        ; implicit-def: $vgpr11
	s_cbranch_execz .LBB87_42
; %bb.48:
	s_and_saveexec_b64 s[26:27], s[4:5]
	s_cbranch_execz .LBB87_50
; %bb.49:
	s_add_i32 s4, s33, 64
	s_mov_b32 s5, 0
	s_lshl_b64 s[4:5], s[4:5], 3
	s_add_u32 s4, s6, s4
	v_add_u32_e32 v6, v34, v6
	v_mov_b32_e32 v7, 2
	s_addc_u32 s5, s7, s5
	v_mov_b32_e32 v8, 0
	global_store_dwordx2 v8, v[6:7], s[4:5]
.LBB87_50:
	s_or_b64 exec, exec, s[26:27]
	s_and_b64 exec, exec, s[2:3]
	s_cbranch_execz .LBB87_52
; %bb.51:
	v_mov_b32_e32 v6, 0
	ds_write_b32 v6, v34
.LBB87_52:
	s_or_b64 exec, exec, s[24:25]
	v_mov_b32_e32 v6, 0
	s_waitcnt lgkmcnt(0)
	s_barrier
	ds_read_b32 v6, v6
	s_waitcnt lgkmcnt(0)
	v_add3_u32 v6, v25, v2, v6
	v_add_u32_e32 v7, v6, v3
	v_add_u32_e32 v8, v7, v4
	;; [unrolled: 1-line block ×9, first 2 shown]
	s_branch .LBB87_65
.LBB87_53:
                                        ; implicit-def: $vgpr6_vgpr7_vgpr8_vgpr9_vgpr10_vgpr11_vgpr12_vgpr13_vgpr14_vgpr15
	s_cbranch_execz .LBB87_65
; %bb.54:
	s_cmp_lg_u64 s[12:13], 0
	s_cselect_b64 s[4:5], -1, 0
	s_and_b64 s[12:13], s[2:3], s[4:5]
	v_mov_b32_e32 v12, v3
	v_mov_b32_e32 v13, v4
	;; [unrolled: 1-line block ×3, first 2 shown]
	s_and_saveexec_b64 s[4:5], s[12:13]
	s_cbranch_execz .LBB87_56
; %bb.55:
	v_mov_b32_e32 v6, 0
	global_load_dword v6, v6, s[8:9]
	v_mov_b32_e32 v12, v3
	v_mov_b32_e32 v13, v4
	;; [unrolled: 1-line block ×3, first 2 shown]
	s_waitcnt vmcnt(0)
	v_add_u32_e32 v2, v6, v2
.LBB87_56:
	s_or_b64 exec, exec, s[4:5]
	v_add_u32_e32 v3, v12, v2
	v_add_u32_e32 v4, v3, v13
	;; [unrolled: 1-line block ×9, first 2 shown]
	v_add_lshl_u32 v15, v24, v0, 2
	v_cmp_gt_u32_e32 vcc, 64, v0
	ds_write_b32 v15, v11
	s_waitcnt lgkmcnt(0)
	s_barrier
	s_and_saveexec_b64 s[4:5], vcc
	s_cbranch_execz .LBB87_58
; %bb.57:
	v_lshlrev_b32_e32 v15, 1, v0
	v_lshrrev_b32_e32 v24, 4, v0
	v_add_lshl_u32 v15, v24, v15, 2
	ds_read2_b32 v[24:25], v15 offset1:1
	v_mbcnt_lo_u32_b32 v26, -1, 0
	v_mbcnt_hi_u32_b32 v26, -1, v26
	v_and_b32_e32 v27, 15, v26
	v_cmp_ne_u32_e32 vcc, 0, v27
	s_waitcnt lgkmcnt(0)
	v_add_u32_e32 v25, v25, v24
	; wave barrier
	s_nop 1
	v_mov_b32_dpp v28, v25 row_shr:1 row_mask:0xf bank_mask:0xf
	v_cndmask_b32_e32 v28, 0, v28, vcc
	v_add_u32_e32 v25, v28, v25
	v_cmp_lt_u32_e32 vcc, 1, v27
	s_nop 0
	v_mov_b32_dpp v28, v25 row_shr:2 row_mask:0xf bank_mask:0xf
	v_cndmask_b32_e32 v28, 0, v28, vcc
	v_add_u32_e32 v25, v25, v28
	v_cmp_lt_u32_e32 vcc, 3, v27
	;; [unrolled: 5-line block ×3, first 2 shown]
	s_nop 0
	v_mov_b32_dpp v28, v25 row_shr:8 row_mask:0xf bank_mask:0xf
	v_cndmask_b32_e32 v27, 0, v28, vcc
	v_add_u32_e32 v25, v25, v27
	v_bfe_i32 v28, v26, 4, 1
	v_cmp_lt_u32_e32 vcc, 31, v26
	v_mov_b32_dpp v27, v25 row_bcast:15 row_mask:0xf bank_mask:0xf
	v_and_b32_e32 v27, v28, v27
	v_add_u32_e32 v25, v25, v27
	v_and_b32_e32 v28, 64, v26
	s_nop 0
	v_mov_b32_dpp v27, v25 row_bcast:31 row_mask:0xf bank_mask:0xf
	v_cndmask_b32_e32 v27, 0, v27, vcc
	v_add_u32_e32 v25, v25, v27
	v_add_u32_e32 v27, -1, v26
	v_cmp_lt_i32_e32 vcc, v27, v28
	v_cndmask_b32_e32 v26, v27, v26, vcc
	v_lshlrev_b32_e32 v26, 2, v26
	ds_bpermute_b32 v25, v26, v25
	s_waitcnt lgkmcnt(0)
	v_add_u32_e32 v24, v25, v24
	v_cndmask_b32_e64 v24, v24, v11, s[2:3]
	ds_write_b32 v15, v24
	; wave barrier
	ds_read_b32 v25, v15 offset:4
	s_waitcnt lgkmcnt(0)
	v_add_u32_e32 v24, v25, v24
	ds_write_b32 v15, v24 offset:4
.LBB87_58:
	s_or_b64 exec, exec, s[4:5]
	v_mov_b32_e32 v15, v11
	s_waitcnt lgkmcnt(0)
	s_barrier
	s_and_saveexec_b64 s[2:3], s[0:1]
	s_cbranch_execz .LBB87_60
; %bb.59:
	v_add_u32_e32 v15, -1, v0
	v_lshrrev_b32_e32 v24, 5, v15
	v_add_lshl_u32 v15, v24, v15, 2
	ds_read_b32 v15, v15
.LBB87_60:
	s_or_b64 exec, exec, s[2:3]
	s_and_saveexec_b64 s[2:3], s[0:1]
	s_cbranch_execz .LBB87_62
; %bb.61:
	s_waitcnt lgkmcnt(0)
	v_add_u32_e32 v2, v15, v2
	v_add_u32_e32 v3, v2, v12
	v_add_u32_e32 v4, v3, v13
	v_add_u32_e32 v5, v4, v14
	v_add_u32_e32 v6, v5, v16
	v_add_u32_e32 v7, v6, v17
	v_add_u32_e32 v8, v7, v18
	v_add_u32_e32 v9, v8, v19
	v_add_u32_e32 v10, v9, v20
	v_add_u32_e32 v11, v10, v21
	;;#ASMSTART
	;;#ASMEND
.LBB87_62:
	s_or_b64 exec, exec, s[2:3]
	s_movk_i32 s0, 0x7f
	v_cmp_eq_u32_e32 vcc, s0, v0
	s_and_saveexec_b64 s[0:1], vcc
	s_cbranch_execz .LBB87_64
; %bb.63:
	v_mov_b32_e32 v14, 0
	v_mov_b32_e32 v13, 2
	;; [unrolled: 1-line block ×3, first 2 shown]
	global_store_dwordx2 v14, v[12:13], s[6:7] offset:512
.LBB87_64:
	s_or_b64 exec, exec, s[0:1]
	s_waitcnt lgkmcnt(0)
	v_pk_mov_b32 v[14:15], v[10:11], v[10:11] op_sel:[0,1]
	v_pk_mov_b32 v[12:13], v[8:9], v[8:9] op_sel:[0,1]
	;; [unrolled: 1-line block ×5, first 2 shown]
.LBB87_65:
	s_add_u32 s0, s20, s18
	s_addc_u32 s1, s21, s19
	s_add_u32 s0, s0, s22
	s_addc_u32 s1, s1, s23
	s_mov_b64 s[2:3], -1
	s_and_b64 vcc, exec, s[16:17]
	s_barrier
	s_cbranch_vccz .LBB87_67
; %bb.66:
	ds_write2_b64 v1, v[6:7], v[8:9] offset1:1
	ds_write2_b64 v1, v[10:11], v[12:13] offset0:2 offset1:3
	ds_write_b64 v1, v[14:15] offset:32
	s_waitcnt lgkmcnt(0)
	s_barrier
	ds_read2st64_b32 v[2:3], v22 offset1:2
	ds_read2st64_b32 v[4:5], v22 offset0:4 offset1:6
	ds_read2st64_b32 v[16:17], v22 offset0:8 offset1:10
	;; [unrolled: 1-line block ×4, first 2 shown]
	v_mov_b32_e32 v24, s1
	v_add_co_u32_e32 v25, vcc, s0, v22
	v_addc_co_u32_e32 v24, vcc, 0, v24, vcc
	s_waitcnt lgkmcnt(4)
	global_store_dword v22, v2, s[0:1]
	global_store_dword v22, v3, s[0:1] offset:512
	s_waitcnt lgkmcnt(3)
	global_store_dword v22, v4, s[0:1] offset:1024
	global_store_dword v22, v5, s[0:1] offset:1536
	s_waitcnt lgkmcnt(2)
	global_store_dword v22, v16, s[0:1] offset:2048
	;; [unrolled: 3-line block ×3, first 2 shown]
	global_store_dword v22, v19, s[0:1] offset:3584
	v_add_co_u32_e32 v2, vcc, 0x1000, v25
	v_addc_co_u32_e32 v3, vcc, 0, v24, vcc
	s_waitcnt lgkmcnt(0)
	global_store_dword v[2:3], v20, off
	global_store_dword v[2:3], v21, off offset:512
	s_mov_b64 s[2:3], 0
.LBB87_67:
	s_andn2_b64 vcc, exec, s[2:3]
	s_cbranch_vccnz .LBB87_123
; %bb.68:
	ds_write2_b64 v1, v[6:7], v[8:9] offset1:1
	ds_write2_b64 v1, v[10:11], v[12:13] offset0:2 offset1:3
	ds_write_b64 v1, v[14:15] offset:32
	s_waitcnt lgkmcnt(0)
	s_barrier
	ds_read2st64_b32 v[2:3], v22 offset1:2
	ds_read2st64_b32 v[6:7], v22 offset0:4 offset1:6
	ds_read2st64_b32 v[4:5], v22 offset0:8 offset1:10
	ds_read2st64_b32 v[8:9], v22 offset0:12 offset1:14
	ds_read2st64_b32 v[10:11], v22 offset0:16 offset1:18
	v_mov_b32_e32 v13, s1
	v_add_co_u32_e32 v12, vcc, s0, v22
	v_addc_co_u32_e32 v13, vcc, 0, v13, vcc
	v_mov_b32_e32 v1, 0
	v_cmp_gt_u32_e32 vcc, s30, v0
	s_and_saveexec_b64 s[0:1], vcc
	s_cbranch_execz .LBB87_70
; %bb.69:
	s_waitcnt lgkmcnt(4)
	global_store_dword v[12:13], v2, off
.LBB87_70:
	s_or_b64 exec, exec, s[0:1]
	v_or_b32_e32 v14, 0x80, v0
	v_cmp_gt_u32_e32 vcc, s30, v14
	s_and_saveexec_b64 s[0:1], vcc
	s_cbranch_execz .LBB87_72
; %bb.71:
	s_waitcnt lgkmcnt(4)
	global_store_dword v[12:13], v3, off offset:512
.LBB87_72:
	s_or_b64 exec, exec, s[0:1]
	v_or_b32_e32 v14, 0x100, v0
	v_cmp_gt_u32_e32 vcc, s30, v14
	s_and_saveexec_b64 s[0:1], vcc
	s_cbranch_execz .LBB87_74
; %bb.73:
	s_waitcnt lgkmcnt(3)
	global_store_dword v[12:13], v6, off offset:1024
.LBB87_74:
	;; [unrolled: 9-line block ×7, first 2 shown]
	s_or_b64 exec, exec, s[0:1]
	v_or_b32_e32 v14, 0x400, v0
	v_cmp_gt_u32_e32 vcc, s30, v14
	s_and_saveexec_b64 s[0:1], vcc
	s_cbranch_execz .LBB87_86
; %bb.85:
	v_add_co_u32_e32 v14, vcc, 0x1000, v12
	v_addc_co_u32_e32 v15, vcc, 0, v13, vcc
	s_waitcnt lgkmcnt(0)
	global_store_dword v[14:15], v10, off
.LBB87_86:
	s_or_b64 exec, exec, s[0:1]
	v_or_b32_e32 v14, 0x480, v0
	v_cmp_gt_u32_e32 vcc, s30, v14
	s_and_saveexec_b64 s[0:1], vcc
	s_cbranch_execz .LBB87_88
; %bb.87:
	v_add_co_u32_e32 v12, vcc, 0x1000, v12
	v_addc_co_u32_e32 v13, vcc, 0, v13, vcc
	s_waitcnt lgkmcnt(0)
	global_store_dword v[12:13], v11, off offset:512
.LBB87_88:
	s_or_b64 exec, exec, s[0:1]
	v_cmp_lt_u64_e64 s[0:1], s[14:15], 2
	s_and_b64 vcc, exec, s[0:1]
	s_cbranch_vccnz .LBB87_123
; %bb.89:
	s_add_u32 s0, s30, -1
	s_addc_u32 s1, s31, -1
	s_add_u32 s2, 0, 0x99986000
	s_addc_u32 s3, 0, 0x59
	s_add_i32 s3, s3, 0x19999940
	s_mul_hi_u32 s7, s2, -10
	s_sub_i32 s7, s7, s2
	s_mul_i32 s8, s3, -10
	s_mul_i32 s4, s2, -10
	s_add_i32 s7, s7, s8
	s_mul_hi_u32 s5, s3, s4
	s_mul_i32 s6, s3, s4
	s_mul_i32 s9, s2, s7
	s_mul_hi_u32 s4, s2, s4
	s_mul_hi_u32 s8, s2, s7
	s_add_u32 s4, s4, s9
	s_addc_u32 s8, 0, s8
	s_add_u32 s4, s4, s6
	s_mul_hi_u32 s9, s3, s7
	s_addc_u32 s4, s8, s5
	s_addc_u32 s5, s9, 0
	s_mul_i32 s6, s3, s7
	s_add_u32 s4, s4, s6
	v_mov_b32_e32 v12, s4
	s_addc_u32 s5, 0, s5
	v_add_co_u32_e32 v12, vcc, s2, v12
	s_cmp_lg_u64 vcc, 0
	s_addc_u32 s2, s3, s5
	v_readfirstlane_b32 s5, v12
	s_mul_i32 s4, s0, s2
	s_mul_hi_u32 s6, s0, s5
	s_mul_hi_u32 s3, s0, s2
	s_add_u32 s4, s6, s4
	s_addc_u32 s3, 0, s3
	s_mul_hi_u32 s7, s1, s5
	s_mul_i32 s5, s1, s5
	s_add_u32 s4, s4, s5
	s_mul_hi_u32 s6, s1, s2
	s_addc_u32 s3, s3, s7
	s_addc_u32 s4, s6, 0
	s_mul_i32 s2, s1, s2
	s_add_u32 s2, s3, s2
	s_addc_u32 s3, 0, s4
	s_add_u32 s4, s2, 1
	s_addc_u32 s5, s3, 0
	s_add_u32 s6, s2, 2
	s_mul_i32 s8, s3, 10
	s_mul_hi_u32 s9, s2, 10
	s_addc_u32 s7, s3, 0
	s_add_i32 s9, s9, s8
	s_mul_i32 s8, s2, 10
	v_mov_b32_e32 v12, s8
	v_sub_co_u32_e32 v12, vcc, s0, v12
	s_cmp_lg_u64 vcc, 0
	s_subb_u32 s8, s1, s9
	v_subrev_co_u32_e32 v13, vcc, 10, v12
	s_cmp_lg_u64 vcc, 0
	s_subb_u32 s9, s8, 0
	v_readfirstlane_b32 s12, v13
	s_cmp_gt_u32 s12, 9
	s_cselect_b32 s12, -1, 0
	s_cmp_eq_u32 s9, 0
	s_cselect_b32 s9, s12, -1
	s_cmp_lg_u32 s9, 0
	s_cselect_b32 s4, s6, s4
	v_readfirstlane_b32 s6, v12
	s_cselect_b32 s5, s7, s5
	s_cmp_gt_u32 s6, 9
	s_cselect_b32 s6, -1, 0
	s_cmp_eq_u32 s8, 0
	s_cselect_b32 s6, s6, -1
	s_cmp_lg_u32 s6, 0
	s_cselect_b32 s3, s5, s3
	s_cselect_b32 s2, s4, s2
	v_cmp_eq_u64_e32 vcc, s[2:3], v[0:1]
	s_and_saveexec_b64 s[2:3], vcc
	s_cbranch_execz .LBB87_123
; %bb.90:
	v_mul_hi_u32_u24_e32 v1, 10, v0
	v_mov_b32_e32 v12, s1
	v_sub_co_u32_e32 v0, vcc, s0, v23
	v_subb_co_u32_e32 v1, vcc, v12, v1, vcc
	v_cmp_lt_i64_e32 vcc, 4, v[0:1]
	s_and_saveexec_b64 s[0:1], vcc
	s_xor_b64 s[0:1], exec, s[0:1]
	s_cbranch_execz .LBB87_108
; %bb.91:
	v_cmp_lt_i64_e32 vcc, 6, v[0:1]
	s_and_saveexec_b64 s[2:3], vcc
	s_xor_b64 s[2:3], exec, s[2:3]
	s_cbranch_execz .LBB87_101
; %bb.92:
	;; [unrolled: 5-line block ×4, first 2 shown]
	v_mov_b32_e32 v0, 0
	s_waitcnt lgkmcnt(0)
	global_store_dword v0, v11, s[10:11]
                                        ; implicit-def: $vgpr10_vgpr11
.LBB87_95:
	s_andn2_saveexec_b64 s[6:7], s[6:7]
	s_cbranch_execz .LBB87_97
; %bb.96:
	v_mov_b32_e32 v0, 0
	s_waitcnt lgkmcnt(0)
	global_store_dword v0, v10, s[10:11]
.LBB87_97:
	s_or_b64 exec, exec, s[6:7]
                                        ; implicit-def: $vgpr8_vgpr9
.LBB87_98:
	s_andn2_saveexec_b64 s[4:5], s[4:5]
	s_cbranch_execz .LBB87_100
; %bb.99:
	v_mov_b32_e32 v0, 0
	s_waitcnt lgkmcnt(1)
	global_store_dword v0, v9, s[10:11]
.LBB87_100:
	s_or_b64 exec, exec, s[4:5]
                                        ; implicit-def: $vgpr4_vgpr5
                                        ; implicit-def: $vgpr0_vgpr1
                                        ; implicit-def: $vgpr8_vgpr9
.LBB87_101:
	s_andn2_saveexec_b64 s[2:3], s[2:3]
	s_cbranch_execz .LBB87_107
; %bb.102:
	v_cmp_lt_i64_e32 vcc, 5, v[0:1]
	s_and_saveexec_b64 s[4:5], vcc
	s_xor_b64 s[4:5], exec, s[4:5]
	s_cbranch_execz .LBB87_104
; %bb.103:
	v_mov_b32_e32 v0, 0
	s_waitcnt lgkmcnt(1)
	global_store_dword v0, v8, s[10:11]
                                        ; implicit-def: $vgpr4_vgpr5
.LBB87_104:
	s_andn2_saveexec_b64 s[4:5], s[4:5]
	s_cbranch_execz .LBB87_106
; %bb.105:
	v_mov_b32_e32 v0, 0
	s_waitcnt lgkmcnt(2)
	global_store_dword v0, v5, s[10:11]
.LBB87_106:
	s_or_b64 exec, exec, s[4:5]
.LBB87_107:
	s_or_b64 exec, exec, s[2:3]
                                        ; implicit-def: $vgpr0_vgpr1
                                        ; implicit-def: $vgpr6_vgpr7
                                        ; implicit-def: $vgpr2_vgpr3
                                        ; implicit-def: $vgpr4_vgpr5
.LBB87_108:
	s_andn2_saveexec_b64 s[0:1], s[0:1]
	s_cbranch_execz .LBB87_123
; %bb.109:
	v_cmp_lt_i64_e32 vcc, 2, v[0:1]
	s_and_saveexec_b64 s[0:1], vcc
	s_xor_b64 s[0:1], exec, s[0:1]
	s_cbranch_execz .LBB87_115
; %bb.110:
	v_cmp_lt_i64_e32 vcc, 3, v[0:1]
	s_and_saveexec_b64 s[2:3], vcc
	s_xor_b64 s[2:3], exec, s[2:3]
	s_cbranch_execz .LBB87_112
; %bb.111:
	v_mov_b32_e32 v0, 0
	s_waitcnt lgkmcnt(2)
	global_store_dword v0, v4, s[10:11]
                                        ; implicit-def: $vgpr6_vgpr7
.LBB87_112:
	s_andn2_saveexec_b64 s[2:3], s[2:3]
	s_cbranch_execz .LBB87_114
; %bb.113:
	v_mov_b32_e32 v0, 0
	s_waitcnt lgkmcnt(3)
	global_store_dword v0, v7, s[10:11]
.LBB87_114:
	s_or_b64 exec, exec, s[2:3]
                                        ; implicit-def: $vgpr0_vgpr1
                                        ; implicit-def: $vgpr6_vgpr7
                                        ; implicit-def: $vgpr2_vgpr3
.LBB87_115:
	s_andn2_saveexec_b64 s[0:1], s[0:1]
	s_cbranch_execz .LBB87_123
; %bb.116:
	v_cmp_lt_i64_e32 vcc, 1, v[0:1]
	s_and_saveexec_b64 s[0:1], vcc
	s_xor_b64 s[0:1], exec, s[0:1]
	s_cbranch_execz .LBB87_118
; %bb.117:
	v_mov_b32_e32 v0, 0
	s_waitcnt lgkmcnt(3)
	global_store_dword v0, v6, s[10:11]
                                        ; implicit-def: $vgpr2_vgpr3
                                        ; implicit-def: $vgpr0_vgpr1
.LBB87_118:
	s_andn2_saveexec_b64 s[0:1], s[0:1]
	s_cbranch_execz .LBB87_123
; %bb.119:
	v_cmp_ne_u64_e32 vcc, 1, v[0:1]
	s_and_saveexec_b64 s[0:1], vcc
	s_xor_b64 s[0:1], exec, s[0:1]
	s_cbranch_execz .LBB87_121
; %bb.120:
	v_mov_b32_e32 v0, 0
	s_waitcnt lgkmcnt(4)
	global_store_dword v0, v2, s[10:11]
                                        ; implicit-def: $vgpr2_vgpr3
.LBB87_121:
	s_andn2_saveexec_b64 s[0:1], s[0:1]
	s_cbranch_execz .LBB87_123
; %bb.122:
	v_mov_b32_e32 v0, 0
	s_waitcnt lgkmcnt(4)
	global_store_dword v0, v3, s[10:11]
.LBB87_123:
	s_endpgm
	.section	.rodata,"a",@progbits
	.p2align	6, 0x0
	.amdhsa_kernel _ZN7rocprim17ROCPRIM_400000_NS6detail17trampoline_kernelINS0_14default_configENS1_20scan_config_selectorIiEEZZNS1_9scan_implILNS1_25lookback_scan_determinismE0ELb0ELb0ES3_PiS8_iN6thrust23THRUST_200600_302600_NS4plusIvEEiEEDaPvRmT3_T4_T5_mT6_P12ihipStream_tbENKUlT_T0_E_clISt17integral_constantIbLb0EESP_IbLb1EEEEDaSL_SM_EUlSL_E_NS1_11comp_targetILNS1_3genE4ELNS1_11target_archE910ELNS1_3gpuE8ELNS1_3repE0EEENS1_30default_config_static_selectorELNS0_4arch9wavefront6targetE1EEEvT1_
		.amdhsa_group_segment_fixed_size 5120
		.amdhsa_private_segment_fixed_size 0
		.amdhsa_kernarg_size 96
		.amdhsa_user_sgpr_count 6
		.amdhsa_user_sgpr_private_segment_buffer 1
		.amdhsa_user_sgpr_dispatch_ptr 0
		.amdhsa_user_sgpr_queue_ptr 0
		.amdhsa_user_sgpr_kernarg_segment_ptr 1
		.amdhsa_user_sgpr_dispatch_id 0
		.amdhsa_user_sgpr_flat_scratch_init 0
		.amdhsa_user_sgpr_kernarg_preload_length 0
		.amdhsa_user_sgpr_kernarg_preload_offset 0
		.amdhsa_user_sgpr_private_segment_size 0
		.amdhsa_uses_dynamic_stack 0
		.amdhsa_system_sgpr_private_segment_wavefront_offset 0
		.amdhsa_system_sgpr_workgroup_id_x 1
		.amdhsa_system_sgpr_workgroup_id_y 0
		.amdhsa_system_sgpr_workgroup_id_z 0
		.amdhsa_system_sgpr_workgroup_info 0
		.amdhsa_system_vgpr_workitem_id 0
		.amdhsa_next_free_vgpr 40
		.amdhsa_next_free_sgpr 36
		.amdhsa_accum_offset 40
		.amdhsa_reserve_vcc 1
		.amdhsa_reserve_flat_scratch 0
		.amdhsa_float_round_mode_32 0
		.amdhsa_float_round_mode_16_64 0
		.amdhsa_float_denorm_mode_32 3
		.amdhsa_float_denorm_mode_16_64 3
		.amdhsa_dx10_clamp 1
		.amdhsa_ieee_mode 1
		.amdhsa_fp16_overflow 0
		.amdhsa_tg_split 0
		.amdhsa_exception_fp_ieee_invalid_op 0
		.amdhsa_exception_fp_denorm_src 0
		.amdhsa_exception_fp_ieee_div_zero 0
		.amdhsa_exception_fp_ieee_overflow 0
		.amdhsa_exception_fp_ieee_underflow 0
		.amdhsa_exception_fp_ieee_inexact 0
		.amdhsa_exception_int_div_zero 0
	.end_amdhsa_kernel
	.section	.text._ZN7rocprim17ROCPRIM_400000_NS6detail17trampoline_kernelINS0_14default_configENS1_20scan_config_selectorIiEEZZNS1_9scan_implILNS1_25lookback_scan_determinismE0ELb0ELb0ES3_PiS8_iN6thrust23THRUST_200600_302600_NS4plusIvEEiEEDaPvRmT3_T4_T5_mT6_P12ihipStream_tbENKUlT_T0_E_clISt17integral_constantIbLb0EESP_IbLb1EEEEDaSL_SM_EUlSL_E_NS1_11comp_targetILNS1_3genE4ELNS1_11target_archE910ELNS1_3gpuE8ELNS1_3repE0EEENS1_30default_config_static_selectorELNS0_4arch9wavefront6targetE1EEEvT1_,"axG",@progbits,_ZN7rocprim17ROCPRIM_400000_NS6detail17trampoline_kernelINS0_14default_configENS1_20scan_config_selectorIiEEZZNS1_9scan_implILNS1_25lookback_scan_determinismE0ELb0ELb0ES3_PiS8_iN6thrust23THRUST_200600_302600_NS4plusIvEEiEEDaPvRmT3_T4_T5_mT6_P12ihipStream_tbENKUlT_T0_E_clISt17integral_constantIbLb0EESP_IbLb1EEEEDaSL_SM_EUlSL_E_NS1_11comp_targetILNS1_3genE4ELNS1_11target_archE910ELNS1_3gpuE8ELNS1_3repE0EEENS1_30default_config_static_selectorELNS0_4arch9wavefront6targetE1EEEvT1_,comdat
.Lfunc_end87:
	.size	_ZN7rocprim17ROCPRIM_400000_NS6detail17trampoline_kernelINS0_14default_configENS1_20scan_config_selectorIiEEZZNS1_9scan_implILNS1_25lookback_scan_determinismE0ELb0ELb0ES3_PiS8_iN6thrust23THRUST_200600_302600_NS4plusIvEEiEEDaPvRmT3_T4_T5_mT6_P12ihipStream_tbENKUlT_T0_E_clISt17integral_constantIbLb0EESP_IbLb1EEEEDaSL_SM_EUlSL_E_NS1_11comp_targetILNS1_3genE4ELNS1_11target_archE910ELNS1_3gpuE8ELNS1_3repE0EEENS1_30default_config_static_selectorELNS0_4arch9wavefront6targetE1EEEvT1_, .Lfunc_end87-_ZN7rocprim17ROCPRIM_400000_NS6detail17trampoline_kernelINS0_14default_configENS1_20scan_config_selectorIiEEZZNS1_9scan_implILNS1_25lookback_scan_determinismE0ELb0ELb0ES3_PiS8_iN6thrust23THRUST_200600_302600_NS4plusIvEEiEEDaPvRmT3_T4_T5_mT6_P12ihipStream_tbENKUlT_T0_E_clISt17integral_constantIbLb0EESP_IbLb1EEEEDaSL_SM_EUlSL_E_NS1_11comp_targetILNS1_3genE4ELNS1_11target_archE910ELNS1_3gpuE8ELNS1_3repE0EEENS1_30default_config_static_selectorELNS0_4arch9wavefront6targetE1EEEvT1_
                                        ; -- End function
	.section	.AMDGPU.csdata,"",@progbits
; Kernel info:
; codeLenInByte = 4468
; NumSgprs: 40
; NumVgprs: 40
; NumAgprs: 0
; TotalNumVgprs: 40
; ScratchSize: 0
; MemoryBound: 0
; FloatMode: 240
; IeeeMode: 1
; LDSByteSize: 5120 bytes/workgroup (compile time only)
; SGPRBlocks: 4
; VGPRBlocks: 4
; NumSGPRsForWavesPerEU: 40
; NumVGPRsForWavesPerEU: 40
; AccumOffset: 40
; Occupancy: 6
; WaveLimiterHint : 1
; COMPUTE_PGM_RSRC2:SCRATCH_EN: 0
; COMPUTE_PGM_RSRC2:USER_SGPR: 6
; COMPUTE_PGM_RSRC2:TRAP_HANDLER: 0
; COMPUTE_PGM_RSRC2:TGID_X_EN: 1
; COMPUTE_PGM_RSRC2:TGID_Y_EN: 0
; COMPUTE_PGM_RSRC2:TGID_Z_EN: 0
; COMPUTE_PGM_RSRC2:TIDIG_COMP_CNT: 0
; COMPUTE_PGM_RSRC3_GFX90A:ACCUM_OFFSET: 9
; COMPUTE_PGM_RSRC3_GFX90A:TG_SPLIT: 0
	.section	.text._ZN7rocprim17ROCPRIM_400000_NS6detail17trampoline_kernelINS0_14default_configENS1_20scan_config_selectorIiEEZZNS1_9scan_implILNS1_25lookback_scan_determinismE0ELb0ELb0ES3_PiS8_iN6thrust23THRUST_200600_302600_NS4plusIvEEiEEDaPvRmT3_T4_T5_mT6_P12ihipStream_tbENKUlT_T0_E_clISt17integral_constantIbLb0EESP_IbLb1EEEEDaSL_SM_EUlSL_E_NS1_11comp_targetILNS1_3genE3ELNS1_11target_archE908ELNS1_3gpuE7ELNS1_3repE0EEENS1_30default_config_static_selectorELNS0_4arch9wavefront6targetE1EEEvT1_,"axG",@progbits,_ZN7rocprim17ROCPRIM_400000_NS6detail17trampoline_kernelINS0_14default_configENS1_20scan_config_selectorIiEEZZNS1_9scan_implILNS1_25lookback_scan_determinismE0ELb0ELb0ES3_PiS8_iN6thrust23THRUST_200600_302600_NS4plusIvEEiEEDaPvRmT3_T4_T5_mT6_P12ihipStream_tbENKUlT_T0_E_clISt17integral_constantIbLb0EESP_IbLb1EEEEDaSL_SM_EUlSL_E_NS1_11comp_targetILNS1_3genE3ELNS1_11target_archE908ELNS1_3gpuE7ELNS1_3repE0EEENS1_30default_config_static_selectorELNS0_4arch9wavefront6targetE1EEEvT1_,comdat
	.protected	_ZN7rocprim17ROCPRIM_400000_NS6detail17trampoline_kernelINS0_14default_configENS1_20scan_config_selectorIiEEZZNS1_9scan_implILNS1_25lookback_scan_determinismE0ELb0ELb0ES3_PiS8_iN6thrust23THRUST_200600_302600_NS4plusIvEEiEEDaPvRmT3_T4_T5_mT6_P12ihipStream_tbENKUlT_T0_E_clISt17integral_constantIbLb0EESP_IbLb1EEEEDaSL_SM_EUlSL_E_NS1_11comp_targetILNS1_3genE3ELNS1_11target_archE908ELNS1_3gpuE7ELNS1_3repE0EEENS1_30default_config_static_selectorELNS0_4arch9wavefront6targetE1EEEvT1_ ; -- Begin function _ZN7rocprim17ROCPRIM_400000_NS6detail17trampoline_kernelINS0_14default_configENS1_20scan_config_selectorIiEEZZNS1_9scan_implILNS1_25lookback_scan_determinismE0ELb0ELb0ES3_PiS8_iN6thrust23THRUST_200600_302600_NS4plusIvEEiEEDaPvRmT3_T4_T5_mT6_P12ihipStream_tbENKUlT_T0_E_clISt17integral_constantIbLb0EESP_IbLb1EEEEDaSL_SM_EUlSL_E_NS1_11comp_targetILNS1_3genE3ELNS1_11target_archE908ELNS1_3gpuE7ELNS1_3repE0EEENS1_30default_config_static_selectorELNS0_4arch9wavefront6targetE1EEEvT1_
	.globl	_ZN7rocprim17ROCPRIM_400000_NS6detail17trampoline_kernelINS0_14default_configENS1_20scan_config_selectorIiEEZZNS1_9scan_implILNS1_25lookback_scan_determinismE0ELb0ELb0ES3_PiS8_iN6thrust23THRUST_200600_302600_NS4plusIvEEiEEDaPvRmT3_T4_T5_mT6_P12ihipStream_tbENKUlT_T0_E_clISt17integral_constantIbLb0EESP_IbLb1EEEEDaSL_SM_EUlSL_E_NS1_11comp_targetILNS1_3genE3ELNS1_11target_archE908ELNS1_3gpuE7ELNS1_3repE0EEENS1_30default_config_static_selectorELNS0_4arch9wavefront6targetE1EEEvT1_
	.p2align	8
	.type	_ZN7rocprim17ROCPRIM_400000_NS6detail17trampoline_kernelINS0_14default_configENS1_20scan_config_selectorIiEEZZNS1_9scan_implILNS1_25lookback_scan_determinismE0ELb0ELb0ES3_PiS8_iN6thrust23THRUST_200600_302600_NS4plusIvEEiEEDaPvRmT3_T4_T5_mT6_P12ihipStream_tbENKUlT_T0_E_clISt17integral_constantIbLb0EESP_IbLb1EEEEDaSL_SM_EUlSL_E_NS1_11comp_targetILNS1_3genE3ELNS1_11target_archE908ELNS1_3gpuE7ELNS1_3repE0EEENS1_30default_config_static_selectorELNS0_4arch9wavefront6targetE1EEEvT1_,@function
_ZN7rocprim17ROCPRIM_400000_NS6detail17trampoline_kernelINS0_14default_configENS1_20scan_config_selectorIiEEZZNS1_9scan_implILNS1_25lookback_scan_determinismE0ELb0ELb0ES3_PiS8_iN6thrust23THRUST_200600_302600_NS4plusIvEEiEEDaPvRmT3_T4_T5_mT6_P12ihipStream_tbENKUlT_T0_E_clISt17integral_constantIbLb0EESP_IbLb1EEEEDaSL_SM_EUlSL_E_NS1_11comp_targetILNS1_3genE3ELNS1_11target_archE908ELNS1_3gpuE7ELNS1_3repE0EEENS1_30default_config_static_selectorELNS0_4arch9wavefront6targetE1EEEvT1_: ; @_ZN7rocprim17ROCPRIM_400000_NS6detail17trampoline_kernelINS0_14default_configENS1_20scan_config_selectorIiEEZZNS1_9scan_implILNS1_25lookback_scan_determinismE0ELb0ELb0ES3_PiS8_iN6thrust23THRUST_200600_302600_NS4plusIvEEiEEDaPvRmT3_T4_T5_mT6_P12ihipStream_tbENKUlT_T0_E_clISt17integral_constantIbLb0EESP_IbLb1EEEEDaSL_SM_EUlSL_E_NS1_11comp_targetILNS1_3genE3ELNS1_11target_archE908ELNS1_3gpuE7ELNS1_3repE0EEENS1_30default_config_static_selectorELNS0_4arch9wavefront6targetE1EEEvT1_
; %bb.0:
	.section	.rodata,"a",@progbits
	.p2align	6, 0x0
	.amdhsa_kernel _ZN7rocprim17ROCPRIM_400000_NS6detail17trampoline_kernelINS0_14default_configENS1_20scan_config_selectorIiEEZZNS1_9scan_implILNS1_25lookback_scan_determinismE0ELb0ELb0ES3_PiS8_iN6thrust23THRUST_200600_302600_NS4plusIvEEiEEDaPvRmT3_T4_T5_mT6_P12ihipStream_tbENKUlT_T0_E_clISt17integral_constantIbLb0EESP_IbLb1EEEEDaSL_SM_EUlSL_E_NS1_11comp_targetILNS1_3genE3ELNS1_11target_archE908ELNS1_3gpuE7ELNS1_3repE0EEENS1_30default_config_static_selectorELNS0_4arch9wavefront6targetE1EEEvT1_
		.amdhsa_group_segment_fixed_size 0
		.amdhsa_private_segment_fixed_size 0
		.amdhsa_kernarg_size 96
		.amdhsa_user_sgpr_count 6
		.amdhsa_user_sgpr_private_segment_buffer 1
		.amdhsa_user_sgpr_dispatch_ptr 0
		.amdhsa_user_sgpr_queue_ptr 0
		.amdhsa_user_sgpr_kernarg_segment_ptr 1
		.amdhsa_user_sgpr_dispatch_id 0
		.amdhsa_user_sgpr_flat_scratch_init 0
		.amdhsa_user_sgpr_kernarg_preload_length 0
		.amdhsa_user_sgpr_kernarg_preload_offset 0
		.amdhsa_user_sgpr_private_segment_size 0
		.amdhsa_uses_dynamic_stack 0
		.amdhsa_system_sgpr_private_segment_wavefront_offset 0
		.amdhsa_system_sgpr_workgroup_id_x 1
		.amdhsa_system_sgpr_workgroup_id_y 0
		.amdhsa_system_sgpr_workgroup_id_z 0
		.amdhsa_system_sgpr_workgroup_info 0
		.amdhsa_system_vgpr_workitem_id 0
		.amdhsa_next_free_vgpr 1
		.amdhsa_next_free_sgpr 0
		.amdhsa_accum_offset 4
		.amdhsa_reserve_vcc 0
		.amdhsa_reserve_flat_scratch 0
		.amdhsa_float_round_mode_32 0
		.amdhsa_float_round_mode_16_64 0
		.amdhsa_float_denorm_mode_32 3
		.amdhsa_float_denorm_mode_16_64 3
		.amdhsa_dx10_clamp 1
		.amdhsa_ieee_mode 1
		.amdhsa_fp16_overflow 0
		.amdhsa_tg_split 0
		.amdhsa_exception_fp_ieee_invalid_op 0
		.amdhsa_exception_fp_denorm_src 0
		.amdhsa_exception_fp_ieee_div_zero 0
		.amdhsa_exception_fp_ieee_overflow 0
		.amdhsa_exception_fp_ieee_underflow 0
		.amdhsa_exception_fp_ieee_inexact 0
		.amdhsa_exception_int_div_zero 0
	.end_amdhsa_kernel
	.section	.text._ZN7rocprim17ROCPRIM_400000_NS6detail17trampoline_kernelINS0_14default_configENS1_20scan_config_selectorIiEEZZNS1_9scan_implILNS1_25lookback_scan_determinismE0ELb0ELb0ES3_PiS8_iN6thrust23THRUST_200600_302600_NS4plusIvEEiEEDaPvRmT3_T4_T5_mT6_P12ihipStream_tbENKUlT_T0_E_clISt17integral_constantIbLb0EESP_IbLb1EEEEDaSL_SM_EUlSL_E_NS1_11comp_targetILNS1_3genE3ELNS1_11target_archE908ELNS1_3gpuE7ELNS1_3repE0EEENS1_30default_config_static_selectorELNS0_4arch9wavefront6targetE1EEEvT1_,"axG",@progbits,_ZN7rocprim17ROCPRIM_400000_NS6detail17trampoline_kernelINS0_14default_configENS1_20scan_config_selectorIiEEZZNS1_9scan_implILNS1_25lookback_scan_determinismE0ELb0ELb0ES3_PiS8_iN6thrust23THRUST_200600_302600_NS4plusIvEEiEEDaPvRmT3_T4_T5_mT6_P12ihipStream_tbENKUlT_T0_E_clISt17integral_constantIbLb0EESP_IbLb1EEEEDaSL_SM_EUlSL_E_NS1_11comp_targetILNS1_3genE3ELNS1_11target_archE908ELNS1_3gpuE7ELNS1_3repE0EEENS1_30default_config_static_selectorELNS0_4arch9wavefront6targetE1EEEvT1_,comdat
.Lfunc_end88:
	.size	_ZN7rocprim17ROCPRIM_400000_NS6detail17trampoline_kernelINS0_14default_configENS1_20scan_config_selectorIiEEZZNS1_9scan_implILNS1_25lookback_scan_determinismE0ELb0ELb0ES3_PiS8_iN6thrust23THRUST_200600_302600_NS4plusIvEEiEEDaPvRmT3_T4_T5_mT6_P12ihipStream_tbENKUlT_T0_E_clISt17integral_constantIbLb0EESP_IbLb1EEEEDaSL_SM_EUlSL_E_NS1_11comp_targetILNS1_3genE3ELNS1_11target_archE908ELNS1_3gpuE7ELNS1_3repE0EEENS1_30default_config_static_selectorELNS0_4arch9wavefront6targetE1EEEvT1_, .Lfunc_end88-_ZN7rocprim17ROCPRIM_400000_NS6detail17trampoline_kernelINS0_14default_configENS1_20scan_config_selectorIiEEZZNS1_9scan_implILNS1_25lookback_scan_determinismE0ELb0ELb0ES3_PiS8_iN6thrust23THRUST_200600_302600_NS4plusIvEEiEEDaPvRmT3_T4_T5_mT6_P12ihipStream_tbENKUlT_T0_E_clISt17integral_constantIbLb0EESP_IbLb1EEEEDaSL_SM_EUlSL_E_NS1_11comp_targetILNS1_3genE3ELNS1_11target_archE908ELNS1_3gpuE7ELNS1_3repE0EEENS1_30default_config_static_selectorELNS0_4arch9wavefront6targetE1EEEvT1_
                                        ; -- End function
	.section	.AMDGPU.csdata,"",@progbits
; Kernel info:
; codeLenInByte = 0
; NumSgprs: 4
; NumVgprs: 0
; NumAgprs: 0
; TotalNumVgprs: 0
; ScratchSize: 0
; MemoryBound: 0
; FloatMode: 240
; IeeeMode: 1
; LDSByteSize: 0 bytes/workgroup (compile time only)
; SGPRBlocks: 0
; VGPRBlocks: 0
; NumSGPRsForWavesPerEU: 4
; NumVGPRsForWavesPerEU: 1
; AccumOffset: 4
; Occupancy: 8
; WaveLimiterHint : 0
; COMPUTE_PGM_RSRC2:SCRATCH_EN: 0
; COMPUTE_PGM_RSRC2:USER_SGPR: 6
; COMPUTE_PGM_RSRC2:TRAP_HANDLER: 0
; COMPUTE_PGM_RSRC2:TGID_X_EN: 1
; COMPUTE_PGM_RSRC2:TGID_Y_EN: 0
; COMPUTE_PGM_RSRC2:TGID_Z_EN: 0
; COMPUTE_PGM_RSRC2:TIDIG_COMP_CNT: 0
; COMPUTE_PGM_RSRC3_GFX90A:ACCUM_OFFSET: 0
; COMPUTE_PGM_RSRC3_GFX90A:TG_SPLIT: 0
	.section	.text._ZN7rocprim17ROCPRIM_400000_NS6detail17trampoline_kernelINS0_14default_configENS1_20scan_config_selectorIiEEZZNS1_9scan_implILNS1_25lookback_scan_determinismE0ELb0ELb0ES3_PiS8_iN6thrust23THRUST_200600_302600_NS4plusIvEEiEEDaPvRmT3_T4_T5_mT6_P12ihipStream_tbENKUlT_T0_E_clISt17integral_constantIbLb0EESP_IbLb1EEEEDaSL_SM_EUlSL_E_NS1_11comp_targetILNS1_3genE2ELNS1_11target_archE906ELNS1_3gpuE6ELNS1_3repE0EEENS1_30default_config_static_selectorELNS0_4arch9wavefront6targetE1EEEvT1_,"axG",@progbits,_ZN7rocprim17ROCPRIM_400000_NS6detail17trampoline_kernelINS0_14default_configENS1_20scan_config_selectorIiEEZZNS1_9scan_implILNS1_25lookback_scan_determinismE0ELb0ELb0ES3_PiS8_iN6thrust23THRUST_200600_302600_NS4plusIvEEiEEDaPvRmT3_T4_T5_mT6_P12ihipStream_tbENKUlT_T0_E_clISt17integral_constantIbLb0EESP_IbLb1EEEEDaSL_SM_EUlSL_E_NS1_11comp_targetILNS1_3genE2ELNS1_11target_archE906ELNS1_3gpuE6ELNS1_3repE0EEENS1_30default_config_static_selectorELNS0_4arch9wavefront6targetE1EEEvT1_,comdat
	.protected	_ZN7rocprim17ROCPRIM_400000_NS6detail17trampoline_kernelINS0_14default_configENS1_20scan_config_selectorIiEEZZNS1_9scan_implILNS1_25lookback_scan_determinismE0ELb0ELb0ES3_PiS8_iN6thrust23THRUST_200600_302600_NS4plusIvEEiEEDaPvRmT3_T4_T5_mT6_P12ihipStream_tbENKUlT_T0_E_clISt17integral_constantIbLb0EESP_IbLb1EEEEDaSL_SM_EUlSL_E_NS1_11comp_targetILNS1_3genE2ELNS1_11target_archE906ELNS1_3gpuE6ELNS1_3repE0EEENS1_30default_config_static_selectorELNS0_4arch9wavefront6targetE1EEEvT1_ ; -- Begin function _ZN7rocprim17ROCPRIM_400000_NS6detail17trampoline_kernelINS0_14default_configENS1_20scan_config_selectorIiEEZZNS1_9scan_implILNS1_25lookback_scan_determinismE0ELb0ELb0ES3_PiS8_iN6thrust23THRUST_200600_302600_NS4plusIvEEiEEDaPvRmT3_T4_T5_mT6_P12ihipStream_tbENKUlT_T0_E_clISt17integral_constantIbLb0EESP_IbLb1EEEEDaSL_SM_EUlSL_E_NS1_11comp_targetILNS1_3genE2ELNS1_11target_archE906ELNS1_3gpuE6ELNS1_3repE0EEENS1_30default_config_static_selectorELNS0_4arch9wavefront6targetE1EEEvT1_
	.globl	_ZN7rocprim17ROCPRIM_400000_NS6detail17trampoline_kernelINS0_14default_configENS1_20scan_config_selectorIiEEZZNS1_9scan_implILNS1_25lookback_scan_determinismE0ELb0ELb0ES3_PiS8_iN6thrust23THRUST_200600_302600_NS4plusIvEEiEEDaPvRmT3_T4_T5_mT6_P12ihipStream_tbENKUlT_T0_E_clISt17integral_constantIbLb0EESP_IbLb1EEEEDaSL_SM_EUlSL_E_NS1_11comp_targetILNS1_3genE2ELNS1_11target_archE906ELNS1_3gpuE6ELNS1_3repE0EEENS1_30default_config_static_selectorELNS0_4arch9wavefront6targetE1EEEvT1_
	.p2align	8
	.type	_ZN7rocprim17ROCPRIM_400000_NS6detail17trampoline_kernelINS0_14default_configENS1_20scan_config_selectorIiEEZZNS1_9scan_implILNS1_25lookback_scan_determinismE0ELb0ELb0ES3_PiS8_iN6thrust23THRUST_200600_302600_NS4plusIvEEiEEDaPvRmT3_T4_T5_mT6_P12ihipStream_tbENKUlT_T0_E_clISt17integral_constantIbLb0EESP_IbLb1EEEEDaSL_SM_EUlSL_E_NS1_11comp_targetILNS1_3genE2ELNS1_11target_archE906ELNS1_3gpuE6ELNS1_3repE0EEENS1_30default_config_static_selectorELNS0_4arch9wavefront6targetE1EEEvT1_,@function
_ZN7rocprim17ROCPRIM_400000_NS6detail17trampoline_kernelINS0_14default_configENS1_20scan_config_selectorIiEEZZNS1_9scan_implILNS1_25lookback_scan_determinismE0ELb0ELb0ES3_PiS8_iN6thrust23THRUST_200600_302600_NS4plusIvEEiEEDaPvRmT3_T4_T5_mT6_P12ihipStream_tbENKUlT_T0_E_clISt17integral_constantIbLb0EESP_IbLb1EEEEDaSL_SM_EUlSL_E_NS1_11comp_targetILNS1_3genE2ELNS1_11target_archE906ELNS1_3gpuE6ELNS1_3repE0EEENS1_30default_config_static_selectorELNS0_4arch9wavefront6targetE1EEEvT1_: ; @_ZN7rocprim17ROCPRIM_400000_NS6detail17trampoline_kernelINS0_14default_configENS1_20scan_config_selectorIiEEZZNS1_9scan_implILNS1_25lookback_scan_determinismE0ELb0ELb0ES3_PiS8_iN6thrust23THRUST_200600_302600_NS4plusIvEEiEEDaPvRmT3_T4_T5_mT6_P12ihipStream_tbENKUlT_T0_E_clISt17integral_constantIbLb0EESP_IbLb1EEEEDaSL_SM_EUlSL_E_NS1_11comp_targetILNS1_3genE2ELNS1_11target_archE906ELNS1_3gpuE6ELNS1_3repE0EEENS1_30default_config_static_selectorELNS0_4arch9wavefront6targetE1EEEvT1_
; %bb.0:
	.section	.rodata,"a",@progbits
	.p2align	6, 0x0
	.amdhsa_kernel _ZN7rocprim17ROCPRIM_400000_NS6detail17trampoline_kernelINS0_14default_configENS1_20scan_config_selectorIiEEZZNS1_9scan_implILNS1_25lookback_scan_determinismE0ELb0ELb0ES3_PiS8_iN6thrust23THRUST_200600_302600_NS4plusIvEEiEEDaPvRmT3_T4_T5_mT6_P12ihipStream_tbENKUlT_T0_E_clISt17integral_constantIbLb0EESP_IbLb1EEEEDaSL_SM_EUlSL_E_NS1_11comp_targetILNS1_3genE2ELNS1_11target_archE906ELNS1_3gpuE6ELNS1_3repE0EEENS1_30default_config_static_selectorELNS0_4arch9wavefront6targetE1EEEvT1_
		.amdhsa_group_segment_fixed_size 0
		.amdhsa_private_segment_fixed_size 0
		.amdhsa_kernarg_size 96
		.amdhsa_user_sgpr_count 6
		.amdhsa_user_sgpr_private_segment_buffer 1
		.amdhsa_user_sgpr_dispatch_ptr 0
		.amdhsa_user_sgpr_queue_ptr 0
		.amdhsa_user_sgpr_kernarg_segment_ptr 1
		.amdhsa_user_sgpr_dispatch_id 0
		.amdhsa_user_sgpr_flat_scratch_init 0
		.amdhsa_user_sgpr_kernarg_preload_length 0
		.amdhsa_user_sgpr_kernarg_preload_offset 0
		.amdhsa_user_sgpr_private_segment_size 0
		.amdhsa_uses_dynamic_stack 0
		.amdhsa_system_sgpr_private_segment_wavefront_offset 0
		.amdhsa_system_sgpr_workgroup_id_x 1
		.amdhsa_system_sgpr_workgroup_id_y 0
		.amdhsa_system_sgpr_workgroup_id_z 0
		.amdhsa_system_sgpr_workgroup_info 0
		.amdhsa_system_vgpr_workitem_id 0
		.amdhsa_next_free_vgpr 1
		.amdhsa_next_free_sgpr 0
		.amdhsa_accum_offset 4
		.amdhsa_reserve_vcc 0
		.amdhsa_reserve_flat_scratch 0
		.amdhsa_float_round_mode_32 0
		.amdhsa_float_round_mode_16_64 0
		.amdhsa_float_denorm_mode_32 3
		.amdhsa_float_denorm_mode_16_64 3
		.amdhsa_dx10_clamp 1
		.amdhsa_ieee_mode 1
		.amdhsa_fp16_overflow 0
		.amdhsa_tg_split 0
		.amdhsa_exception_fp_ieee_invalid_op 0
		.amdhsa_exception_fp_denorm_src 0
		.amdhsa_exception_fp_ieee_div_zero 0
		.amdhsa_exception_fp_ieee_overflow 0
		.amdhsa_exception_fp_ieee_underflow 0
		.amdhsa_exception_fp_ieee_inexact 0
		.amdhsa_exception_int_div_zero 0
	.end_amdhsa_kernel
	.section	.text._ZN7rocprim17ROCPRIM_400000_NS6detail17trampoline_kernelINS0_14default_configENS1_20scan_config_selectorIiEEZZNS1_9scan_implILNS1_25lookback_scan_determinismE0ELb0ELb0ES3_PiS8_iN6thrust23THRUST_200600_302600_NS4plusIvEEiEEDaPvRmT3_T4_T5_mT6_P12ihipStream_tbENKUlT_T0_E_clISt17integral_constantIbLb0EESP_IbLb1EEEEDaSL_SM_EUlSL_E_NS1_11comp_targetILNS1_3genE2ELNS1_11target_archE906ELNS1_3gpuE6ELNS1_3repE0EEENS1_30default_config_static_selectorELNS0_4arch9wavefront6targetE1EEEvT1_,"axG",@progbits,_ZN7rocprim17ROCPRIM_400000_NS6detail17trampoline_kernelINS0_14default_configENS1_20scan_config_selectorIiEEZZNS1_9scan_implILNS1_25lookback_scan_determinismE0ELb0ELb0ES3_PiS8_iN6thrust23THRUST_200600_302600_NS4plusIvEEiEEDaPvRmT3_T4_T5_mT6_P12ihipStream_tbENKUlT_T0_E_clISt17integral_constantIbLb0EESP_IbLb1EEEEDaSL_SM_EUlSL_E_NS1_11comp_targetILNS1_3genE2ELNS1_11target_archE906ELNS1_3gpuE6ELNS1_3repE0EEENS1_30default_config_static_selectorELNS0_4arch9wavefront6targetE1EEEvT1_,comdat
.Lfunc_end89:
	.size	_ZN7rocprim17ROCPRIM_400000_NS6detail17trampoline_kernelINS0_14default_configENS1_20scan_config_selectorIiEEZZNS1_9scan_implILNS1_25lookback_scan_determinismE0ELb0ELb0ES3_PiS8_iN6thrust23THRUST_200600_302600_NS4plusIvEEiEEDaPvRmT3_T4_T5_mT6_P12ihipStream_tbENKUlT_T0_E_clISt17integral_constantIbLb0EESP_IbLb1EEEEDaSL_SM_EUlSL_E_NS1_11comp_targetILNS1_3genE2ELNS1_11target_archE906ELNS1_3gpuE6ELNS1_3repE0EEENS1_30default_config_static_selectorELNS0_4arch9wavefront6targetE1EEEvT1_, .Lfunc_end89-_ZN7rocprim17ROCPRIM_400000_NS6detail17trampoline_kernelINS0_14default_configENS1_20scan_config_selectorIiEEZZNS1_9scan_implILNS1_25lookback_scan_determinismE0ELb0ELb0ES3_PiS8_iN6thrust23THRUST_200600_302600_NS4plusIvEEiEEDaPvRmT3_T4_T5_mT6_P12ihipStream_tbENKUlT_T0_E_clISt17integral_constantIbLb0EESP_IbLb1EEEEDaSL_SM_EUlSL_E_NS1_11comp_targetILNS1_3genE2ELNS1_11target_archE906ELNS1_3gpuE6ELNS1_3repE0EEENS1_30default_config_static_selectorELNS0_4arch9wavefront6targetE1EEEvT1_
                                        ; -- End function
	.section	.AMDGPU.csdata,"",@progbits
; Kernel info:
; codeLenInByte = 0
; NumSgprs: 4
; NumVgprs: 0
; NumAgprs: 0
; TotalNumVgprs: 0
; ScratchSize: 0
; MemoryBound: 0
; FloatMode: 240
; IeeeMode: 1
; LDSByteSize: 0 bytes/workgroup (compile time only)
; SGPRBlocks: 0
; VGPRBlocks: 0
; NumSGPRsForWavesPerEU: 4
; NumVGPRsForWavesPerEU: 1
; AccumOffset: 4
; Occupancy: 8
; WaveLimiterHint : 0
; COMPUTE_PGM_RSRC2:SCRATCH_EN: 0
; COMPUTE_PGM_RSRC2:USER_SGPR: 6
; COMPUTE_PGM_RSRC2:TRAP_HANDLER: 0
; COMPUTE_PGM_RSRC2:TGID_X_EN: 1
; COMPUTE_PGM_RSRC2:TGID_Y_EN: 0
; COMPUTE_PGM_RSRC2:TGID_Z_EN: 0
; COMPUTE_PGM_RSRC2:TIDIG_COMP_CNT: 0
; COMPUTE_PGM_RSRC3_GFX90A:ACCUM_OFFSET: 0
; COMPUTE_PGM_RSRC3_GFX90A:TG_SPLIT: 0
	.section	.text._ZN7rocprim17ROCPRIM_400000_NS6detail17trampoline_kernelINS0_14default_configENS1_20scan_config_selectorIiEEZZNS1_9scan_implILNS1_25lookback_scan_determinismE0ELb0ELb0ES3_PiS8_iN6thrust23THRUST_200600_302600_NS4plusIvEEiEEDaPvRmT3_T4_T5_mT6_P12ihipStream_tbENKUlT_T0_E_clISt17integral_constantIbLb0EESP_IbLb1EEEEDaSL_SM_EUlSL_E_NS1_11comp_targetILNS1_3genE10ELNS1_11target_archE1201ELNS1_3gpuE5ELNS1_3repE0EEENS1_30default_config_static_selectorELNS0_4arch9wavefront6targetE1EEEvT1_,"axG",@progbits,_ZN7rocprim17ROCPRIM_400000_NS6detail17trampoline_kernelINS0_14default_configENS1_20scan_config_selectorIiEEZZNS1_9scan_implILNS1_25lookback_scan_determinismE0ELb0ELb0ES3_PiS8_iN6thrust23THRUST_200600_302600_NS4plusIvEEiEEDaPvRmT3_T4_T5_mT6_P12ihipStream_tbENKUlT_T0_E_clISt17integral_constantIbLb0EESP_IbLb1EEEEDaSL_SM_EUlSL_E_NS1_11comp_targetILNS1_3genE10ELNS1_11target_archE1201ELNS1_3gpuE5ELNS1_3repE0EEENS1_30default_config_static_selectorELNS0_4arch9wavefront6targetE1EEEvT1_,comdat
	.protected	_ZN7rocprim17ROCPRIM_400000_NS6detail17trampoline_kernelINS0_14default_configENS1_20scan_config_selectorIiEEZZNS1_9scan_implILNS1_25lookback_scan_determinismE0ELb0ELb0ES3_PiS8_iN6thrust23THRUST_200600_302600_NS4plusIvEEiEEDaPvRmT3_T4_T5_mT6_P12ihipStream_tbENKUlT_T0_E_clISt17integral_constantIbLb0EESP_IbLb1EEEEDaSL_SM_EUlSL_E_NS1_11comp_targetILNS1_3genE10ELNS1_11target_archE1201ELNS1_3gpuE5ELNS1_3repE0EEENS1_30default_config_static_selectorELNS0_4arch9wavefront6targetE1EEEvT1_ ; -- Begin function _ZN7rocprim17ROCPRIM_400000_NS6detail17trampoline_kernelINS0_14default_configENS1_20scan_config_selectorIiEEZZNS1_9scan_implILNS1_25lookback_scan_determinismE0ELb0ELb0ES3_PiS8_iN6thrust23THRUST_200600_302600_NS4plusIvEEiEEDaPvRmT3_T4_T5_mT6_P12ihipStream_tbENKUlT_T0_E_clISt17integral_constantIbLb0EESP_IbLb1EEEEDaSL_SM_EUlSL_E_NS1_11comp_targetILNS1_3genE10ELNS1_11target_archE1201ELNS1_3gpuE5ELNS1_3repE0EEENS1_30default_config_static_selectorELNS0_4arch9wavefront6targetE1EEEvT1_
	.globl	_ZN7rocprim17ROCPRIM_400000_NS6detail17trampoline_kernelINS0_14default_configENS1_20scan_config_selectorIiEEZZNS1_9scan_implILNS1_25lookback_scan_determinismE0ELb0ELb0ES3_PiS8_iN6thrust23THRUST_200600_302600_NS4plusIvEEiEEDaPvRmT3_T4_T5_mT6_P12ihipStream_tbENKUlT_T0_E_clISt17integral_constantIbLb0EESP_IbLb1EEEEDaSL_SM_EUlSL_E_NS1_11comp_targetILNS1_3genE10ELNS1_11target_archE1201ELNS1_3gpuE5ELNS1_3repE0EEENS1_30default_config_static_selectorELNS0_4arch9wavefront6targetE1EEEvT1_
	.p2align	8
	.type	_ZN7rocprim17ROCPRIM_400000_NS6detail17trampoline_kernelINS0_14default_configENS1_20scan_config_selectorIiEEZZNS1_9scan_implILNS1_25lookback_scan_determinismE0ELb0ELb0ES3_PiS8_iN6thrust23THRUST_200600_302600_NS4plusIvEEiEEDaPvRmT3_T4_T5_mT6_P12ihipStream_tbENKUlT_T0_E_clISt17integral_constantIbLb0EESP_IbLb1EEEEDaSL_SM_EUlSL_E_NS1_11comp_targetILNS1_3genE10ELNS1_11target_archE1201ELNS1_3gpuE5ELNS1_3repE0EEENS1_30default_config_static_selectorELNS0_4arch9wavefront6targetE1EEEvT1_,@function
_ZN7rocprim17ROCPRIM_400000_NS6detail17trampoline_kernelINS0_14default_configENS1_20scan_config_selectorIiEEZZNS1_9scan_implILNS1_25lookback_scan_determinismE0ELb0ELb0ES3_PiS8_iN6thrust23THRUST_200600_302600_NS4plusIvEEiEEDaPvRmT3_T4_T5_mT6_P12ihipStream_tbENKUlT_T0_E_clISt17integral_constantIbLb0EESP_IbLb1EEEEDaSL_SM_EUlSL_E_NS1_11comp_targetILNS1_3genE10ELNS1_11target_archE1201ELNS1_3gpuE5ELNS1_3repE0EEENS1_30default_config_static_selectorELNS0_4arch9wavefront6targetE1EEEvT1_: ; @_ZN7rocprim17ROCPRIM_400000_NS6detail17trampoline_kernelINS0_14default_configENS1_20scan_config_selectorIiEEZZNS1_9scan_implILNS1_25lookback_scan_determinismE0ELb0ELb0ES3_PiS8_iN6thrust23THRUST_200600_302600_NS4plusIvEEiEEDaPvRmT3_T4_T5_mT6_P12ihipStream_tbENKUlT_T0_E_clISt17integral_constantIbLb0EESP_IbLb1EEEEDaSL_SM_EUlSL_E_NS1_11comp_targetILNS1_3genE10ELNS1_11target_archE1201ELNS1_3gpuE5ELNS1_3repE0EEENS1_30default_config_static_selectorELNS0_4arch9wavefront6targetE1EEEvT1_
; %bb.0:
	.section	.rodata,"a",@progbits
	.p2align	6, 0x0
	.amdhsa_kernel _ZN7rocprim17ROCPRIM_400000_NS6detail17trampoline_kernelINS0_14default_configENS1_20scan_config_selectorIiEEZZNS1_9scan_implILNS1_25lookback_scan_determinismE0ELb0ELb0ES3_PiS8_iN6thrust23THRUST_200600_302600_NS4plusIvEEiEEDaPvRmT3_T4_T5_mT6_P12ihipStream_tbENKUlT_T0_E_clISt17integral_constantIbLb0EESP_IbLb1EEEEDaSL_SM_EUlSL_E_NS1_11comp_targetILNS1_3genE10ELNS1_11target_archE1201ELNS1_3gpuE5ELNS1_3repE0EEENS1_30default_config_static_selectorELNS0_4arch9wavefront6targetE1EEEvT1_
		.amdhsa_group_segment_fixed_size 0
		.amdhsa_private_segment_fixed_size 0
		.amdhsa_kernarg_size 96
		.amdhsa_user_sgpr_count 6
		.amdhsa_user_sgpr_private_segment_buffer 1
		.amdhsa_user_sgpr_dispatch_ptr 0
		.amdhsa_user_sgpr_queue_ptr 0
		.amdhsa_user_sgpr_kernarg_segment_ptr 1
		.amdhsa_user_sgpr_dispatch_id 0
		.amdhsa_user_sgpr_flat_scratch_init 0
		.amdhsa_user_sgpr_kernarg_preload_length 0
		.amdhsa_user_sgpr_kernarg_preload_offset 0
		.amdhsa_user_sgpr_private_segment_size 0
		.amdhsa_uses_dynamic_stack 0
		.amdhsa_system_sgpr_private_segment_wavefront_offset 0
		.amdhsa_system_sgpr_workgroup_id_x 1
		.amdhsa_system_sgpr_workgroup_id_y 0
		.amdhsa_system_sgpr_workgroup_id_z 0
		.amdhsa_system_sgpr_workgroup_info 0
		.amdhsa_system_vgpr_workitem_id 0
		.amdhsa_next_free_vgpr 1
		.amdhsa_next_free_sgpr 0
		.amdhsa_accum_offset 4
		.amdhsa_reserve_vcc 0
		.amdhsa_reserve_flat_scratch 0
		.amdhsa_float_round_mode_32 0
		.amdhsa_float_round_mode_16_64 0
		.amdhsa_float_denorm_mode_32 3
		.amdhsa_float_denorm_mode_16_64 3
		.amdhsa_dx10_clamp 1
		.amdhsa_ieee_mode 1
		.amdhsa_fp16_overflow 0
		.amdhsa_tg_split 0
		.amdhsa_exception_fp_ieee_invalid_op 0
		.amdhsa_exception_fp_denorm_src 0
		.amdhsa_exception_fp_ieee_div_zero 0
		.amdhsa_exception_fp_ieee_overflow 0
		.amdhsa_exception_fp_ieee_underflow 0
		.amdhsa_exception_fp_ieee_inexact 0
		.amdhsa_exception_int_div_zero 0
	.end_amdhsa_kernel
	.section	.text._ZN7rocprim17ROCPRIM_400000_NS6detail17trampoline_kernelINS0_14default_configENS1_20scan_config_selectorIiEEZZNS1_9scan_implILNS1_25lookback_scan_determinismE0ELb0ELb0ES3_PiS8_iN6thrust23THRUST_200600_302600_NS4plusIvEEiEEDaPvRmT3_T4_T5_mT6_P12ihipStream_tbENKUlT_T0_E_clISt17integral_constantIbLb0EESP_IbLb1EEEEDaSL_SM_EUlSL_E_NS1_11comp_targetILNS1_3genE10ELNS1_11target_archE1201ELNS1_3gpuE5ELNS1_3repE0EEENS1_30default_config_static_selectorELNS0_4arch9wavefront6targetE1EEEvT1_,"axG",@progbits,_ZN7rocprim17ROCPRIM_400000_NS6detail17trampoline_kernelINS0_14default_configENS1_20scan_config_selectorIiEEZZNS1_9scan_implILNS1_25lookback_scan_determinismE0ELb0ELb0ES3_PiS8_iN6thrust23THRUST_200600_302600_NS4plusIvEEiEEDaPvRmT3_T4_T5_mT6_P12ihipStream_tbENKUlT_T0_E_clISt17integral_constantIbLb0EESP_IbLb1EEEEDaSL_SM_EUlSL_E_NS1_11comp_targetILNS1_3genE10ELNS1_11target_archE1201ELNS1_3gpuE5ELNS1_3repE0EEENS1_30default_config_static_selectorELNS0_4arch9wavefront6targetE1EEEvT1_,comdat
.Lfunc_end90:
	.size	_ZN7rocprim17ROCPRIM_400000_NS6detail17trampoline_kernelINS0_14default_configENS1_20scan_config_selectorIiEEZZNS1_9scan_implILNS1_25lookback_scan_determinismE0ELb0ELb0ES3_PiS8_iN6thrust23THRUST_200600_302600_NS4plusIvEEiEEDaPvRmT3_T4_T5_mT6_P12ihipStream_tbENKUlT_T0_E_clISt17integral_constantIbLb0EESP_IbLb1EEEEDaSL_SM_EUlSL_E_NS1_11comp_targetILNS1_3genE10ELNS1_11target_archE1201ELNS1_3gpuE5ELNS1_3repE0EEENS1_30default_config_static_selectorELNS0_4arch9wavefront6targetE1EEEvT1_, .Lfunc_end90-_ZN7rocprim17ROCPRIM_400000_NS6detail17trampoline_kernelINS0_14default_configENS1_20scan_config_selectorIiEEZZNS1_9scan_implILNS1_25lookback_scan_determinismE0ELb0ELb0ES3_PiS8_iN6thrust23THRUST_200600_302600_NS4plusIvEEiEEDaPvRmT3_T4_T5_mT6_P12ihipStream_tbENKUlT_T0_E_clISt17integral_constantIbLb0EESP_IbLb1EEEEDaSL_SM_EUlSL_E_NS1_11comp_targetILNS1_3genE10ELNS1_11target_archE1201ELNS1_3gpuE5ELNS1_3repE0EEENS1_30default_config_static_selectorELNS0_4arch9wavefront6targetE1EEEvT1_
                                        ; -- End function
	.section	.AMDGPU.csdata,"",@progbits
; Kernel info:
; codeLenInByte = 0
; NumSgprs: 4
; NumVgprs: 0
; NumAgprs: 0
; TotalNumVgprs: 0
; ScratchSize: 0
; MemoryBound: 0
; FloatMode: 240
; IeeeMode: 1
; LDSByteSize: 0 bytes/workgroup (compile time only)
; SGPRBlocks: 0
; VGPRBlocks: 0
; NumSGPRsForWavesPerEU: 4
; NumVGPRsForWavesPerEU: 1
; AccumOffset: 4
; Occupancy: 8
; WaveLimiterHint : 0
; COMPUTE_PGM_RSRC2:SCRATCH_EN: 0
; COMPUTE_PGM_RSRC2:USER_SGPR: 6
; COMPUTE_PGM_RSRC2:TRAP_HANDLER: 0
; COMPUTE_PGM_RSRC2:TGID_X_EN: 1
; COMPUTE_PGM_RSRC2:TGID_Y_EN: 0
; COMPUTE_PGM_RSRC2:TGID_Z_EN: 0
; COMPUTE_PGM_RSRC2:TIDIG_COMP_CNT: 0
; COMPUTE_PGM_RSRC3_GFX90A:ACCUM_OFFSET: 0
; COMPUTE_PGM_RSRC3_GFX90A:TG_SPLIT: 0
	.section	.text._ZN7rocprim17ROCPRIM_400000_NS6detail17trampoline_kernelINS0_14default_configENS1_20scan_config_selectorIiEEZZNS1_9scan_implILNS1_25lookback_scan_determinismE0ELb0ELb0ES3_PiS8_iN6thrust23THRUST_200600_302600_NS4plusIvEEiEEDaPvRmT3_T4_T5_mT6_P12ihipStream_tbENKUlT_T0_E_clISt17integral_constantIbLb0EESP_IbLb1EEEEDaSL_SM_EUlSL_E_NS1_11comp_targetILNS1_3genE10ELNS1_11target_archE1200ELNS1_3gpuE4ELNS1_3repE0EEENS1_30default_config_static_selectorELNS0_4arch9wavefront6targetE1EEEvT1_,"axG",@progbits,_ZN7rocprim17ROCPRIM_400000_NS6detail17trampoline_kernelINS0_14default_configENS1_20scan_config_selectorIiEEZZNS1_9scan_implILNS1_25lookback_scan_determinismE0ELb0ELb0ES3_PiS8_iN6thrust23THRUST_200600_302600_NS4plusIvEEiEEDaPvRmT3_T4_T5_mT6_P12ihipStream_tbENKUlT_T0_E_clISt17integral_constantIbLb0EESP_IbLb1EEEEDaSL_SM_EUlSL_E_NS1_11comp_targetILNS1_3genE10ELNS1_11target_archE1200ELNS1_3gpuE4ELNS1_3repE0EEENS1_30default_config_static_selectorELNS0_4arch9wavefront6targetE1EEEvT1_,comdat
	.protected	_ZN7rocprim17ROCPRIM_400000_NS6detail17trampoline_kernelINS0_14default_configENS1_20scan_config_selectorIiEEZZNS1_9scan_implILNS1_25lookback_scan_determinismE0ELb0ELb0ES3_PiS8_iN6thrust23THRUST_200600_302600_NS4plusIvEEiEEDaPvRmT3_T4_T5_mT6_P12ihipStream_tbENKUlT_T0_E_clISt17integral_constantIbLb0EESP_IbLb1EEEEDaSL_SM_EUlSL_E_NS1_11comp_targetILNS1_3genE10ELNS1_11target_archE1200ELNS1_3gpuE4ELNS1_3repE0EEENS1_30default_config_static_selectorELNS0_4arch9wavefront6targetE1EEEvT1_ ; -- Begin function _ZN7rocprim17ROCPRIM_400000_NS6detail17trampoline_kernelINS0_14default_configENS1_20scan_config_selectorIiEEZZNS1_9scan_implILNS1_25lookback_scan_determinismE0ELb0ELb0ES3_PiS8_iN6thrust23THRUST_200600_302600_NS4plusIvEEiEEDaPvRmT3_T4_T5_mT6_P12ihipStream_tbENKUlT_T0_E_clISt17integral_constantIbLb0EESP_IbLb1EEEEDaSL_SM_EUlSL_E_NS1_11comp_targetILNS1_3genE10ELNS1_11target_archE1200ELNS1_3gpuE4ELNS1_3repE0EEENS1_30default_config_static_selectorELNS0_4arch9wavefront6targetE1EEEvT1_
	.globl	_ZN7rocprim17ROCPRIM_400000_NS6detail17trampoline_kernelINS0_14default_configENS1_20scan_config_selectorIiEEZZNS1_9scan_implILNS1_25lookback_scan_determinismE0ELb0ELb0ES3_PiS8_iN6thrust23THRUST_200600_302600_NS4plusIvEEiEEDaPvRmT3_T4_T5_mT6_P12ihipStream_tbENKUlT_T0_E_clISt17integral_constantIbLb0EESP_IbLb1EEEEDaSL_SM_EUlSL_E_NS1_11comp_targetILNS1_3genE10ELNS1_11target_archE1200ELNS1_3gpuE4ELNS1_3repE0EEENS1_30default_config_static_selectorELNS0_4arch9wavefront6targetE1EEEvT1_
	.p2align	8
	.type	_ZN7rocprim17ROCPRIM_400000_NS6detail17trampoline_kernelINS0_14default_configENS1_20scan_config_selectorIiEEZZNS1_9scan_implILNS1_25lookback_scan_determinismE0ELb0ELb0ES3_PiS8_iN6thrust23THRUST_200600_302600_NS4plusIvEEiEEDaPvRmT3_T4_T5_mT6_P12ihipStream_tbENKUlT_T0_E_clISt17integral_constantIbLb0EESP_IbLb1EEEEDaSL_SM_EUlSL_E_NS1_11comp_targetILNS1_3genE10ELNS1_11target_archE1200ELNS1_3gpuE4ELNS1_3repE0EEENS1_30default_config_static_selectorELNS0_4arch9wavefront6targetE1EEEvT1_,@function
_ZN7rocprim17ROCPRIM_400000_NS6detail17trampoline_kernelINS0_14default_configENS1_20scan_config_selectorIiEEZZNS1_9scan_implILNS1_25lookback_scan_determinismE0ELb0ELb0ES3_PiS8_iN6thrust23THRUST_200600_302600_NS4plusIvEEiEEDaPvRmT3_T4_T5_mT6_P12ihipStream_tbENKUlT_T0_E_clISt17integral_constantIbLb0EESP_IbLb1EEEEDaSL_SM_EUlSL_E_NS1_11comp_targetILNS1_3genE10ELNS1_11target_archE1200ELNS1_3gpuE4ELNS1_3repE0EEENS1_30default_config_static_selectorELNS0_4arch9wavefront6targetE1EEEvT1_: ; @_ZN7rocprim17ROCPRIM_400000_NS6detail17trampoline_kernelINS0_14default_configENS1_20scan_config_selectorIiEEZZNS1_9scan_implILNS1_25lookback_scan_determinismE0ELb0ELb0ES3_PiS8_iN6thrust23THRUST_200600_302600_NS4plusIvEEiEEDaPvRmT3_T4_T5_mT6_P12ihipStream_tbENKUlT_T0_E_clISt17integral_constantIbLb0EESP_IbLb1EEEEDaSL_SM_EUlSL_E_NS1_11comp_targetILNS1_3genE10ELNS1_11target_archE1200ELNS1_3gpuE4ELNS1_3repE0EEENS1_30default_config_static_selectorELNS0_4arch9wavefront6targetE1EEEvT1_
; %bb.0:
	.section	.rodata,"a",@progbits
	.p2align	6, 0x0
	.amdhsa_kernel _ZN7rocprim17ROCPRIM_400000_NS6detail17trampoline_kernelINS0_14default_configENS1_20scan_config_selectorIiEEZZNS1_9scan_implILNS1_25lookback_scan_determinismE0ELb0ELb0ES3_PiS8_iN6thrust23THRUST_200600_302600_NS4plusIvEEiEEDaPvRmT3_T4_T5_mT6_P12ihipStream_tbENKUlT_T0_E_clISt17integral_constantIbLb0EESP_IbLb1EEEEDaSL_SM_EUlSL_E_NS1_11comp_targetILNS1_3genE10ELNS1_11target_archE1200ELNS1_3gpuE4ELNS1_3repE0EEENS1_30default_config_static_selectorELNS0_4arch9wavefront6targetE1EEEvT1_
		.amdhsa_group_segment_fixed_size 0
		.amdhsa_private_segment_fixed_size 0
		.amdhsa_kernarg_size 96
		.amdhsa_user_sgpr_count 6
		.amdhsa_user_sgpr_private_segment_buffer 1
		.amdhsa_user_sgpr_dispatch_ptr 0
		.amdhsa_user_sgpr_queue_ptr 0
		.amdhsa_user_sgpr_kernarg_segment_ptr 1
		.amdhsa_user_sgpr_dispatch_id 0
		.amdhsa_user_sgpr_flat_scratch_init 0
		.amdhsa_user_sgpr_kernarg_preload_length 0
		.amdhsa_user_sgpr_kernarg_preload_offset 0
		.amdhsa_user_sgpr_private_segment_size 0
		.amdhsa_uses_dynamic_stack 0
		.amdhsa_system_sgpr_private_segment_wavefront_offset 0
		.amdhsa_system_sgpr_workgroup_id_x 1
		.amdhsa_system_sgpr_workgroup_id_y 0
		.amdhsa_system_sgpr_workgroup_id_z 0
		.amdhsa_system_sgpr_workgroup_info 0
		.amdhsa_system_vgpr_workitem_id 0
		.amdhsa_next_free_vgpr 1
		.amdhsa_next_free_sgpr 0
		.amdhsa_accum_offset 4
		.amdhsa_reserve_vcc 0
		.amdhsa_reserve_flat_scratch 0
		.amdhsa_float_round_mode_32 0
		.amdhsa_float_round_mode_16_64 0
		.amdhsa_float_denorm_mode_32 3
		.amdhsa_float_denorm_mode_16_64 3
		.amdhsa_dx10_clamp 1
		.amdhsa_ieee_mode 1
		.amdhsa_fp16_overflow 0
		.amdhsa_tg_split 0
		.amdhsa_exception_fp_ieee_invalid_op 0
		.amdhsa_exception_fp_denorm_src 0
		.amdhsa_exception_fp_ieee_div_zero 0
		.amdhsa_exception_fp_ieee_overflow 0
		.amdhsa_exception_fp_ieee_underflow 0
		.amdhsa_exception_fp_ieee_inexact 0
		.amdhsa_exception_int_div_zero 0
	.end_amdhsa_kernel
	.section	.text._ZN7rocprim17ROCPRIM_400000_NS6detail17trampoline_kernelINS0_14default_configENS1_20scan_config_selectorIiEEZZNS1_9scan_implILNS1_25lookback_scan_determinismE0ELb0ELb0ES3_PiS8_iN6thrust23THRUST_200600_302600_NS4plusIvEEiEEDaPvRmT3_T4_T5_mT6_P12ihipStream_tbENKUlT_T0_E_clISt17integral_constantIbLb0EESP_IbLb1EEEEDaSL_SM_EUlSL_E_NS1_11comp_targetILNS1_3genE10ELNS1_11target_archE1200ELNS1_3gpuE4ELNS1_3repE0EEENS1_30default_config_static_selectorELNS0_4arch9wavefront6targetE1EEEvT1_,"axG",@progbits,_ZN7rocprim17ROCPRIM_400000_NS6detail17trampoline_kernelINS0_14default_configENS1_20scan_config_selectorIiEEZZNS1_9scan_implILNS1_25lookback_scan_determinismE0ELb0ELb0ES3_PiS8_iN6thrust23THRUST_200600_302600_NS4plusIvEEiEEDaPvRmT3_T4_T5_mT6_P12ihipStream_tbENKUlT_T0_E_clISt17integral_constantIbLb0EESP_IbLb1EEEEDaSL_SM_EUlSL_E_NS1_11comp_targetILNS1_3genE10ELNS1_11target_archE1200ELNS1_3gpuE4ELNS1_3repE0EEENS1_30default_config_static_selectorELNS0_4arch9wavefront6targetE1EEEvT1_,comdat
.Lfunc_end91:
	.size	_ZN7rocprim17ROCPRIM_400000_NS6detail17trampoline_kernelINS0_14default_configENS1_20scan_config_selectorIiEEZZNS1_9scan_implILNS1_25lookback_scan_determinismE0ELb0ELb0ES3_PiS8_iN6thrust23THRUST_200600_302600_NS4plusIvEEiEEDaPvRmT3_T4_T5_mT6_P12ihipStream_tbENKUlT_T0_E_clISt17integral_constantIbLb0EESP_IbLb1EEEEDaSL_SM_EUlSL_E_NS1_11comp_targetILNS1_3genE10ELNS1_11target_archE1200ELNS1_3gpuE4ELNS1_3repE0EEENS1_30default_config_static_selectorELNS0_4arch9wavefront6targetE1EEEvT1_, .Lfunc_end91-_ZN7rocprim17ROCPRIM_400000_NS6detail17trampoline_kernelINS0_14default_configENS1_20scan_config_selectorIiEEZZNS1_9scan_implILNS1_25lookback_scan_determinismE0ELb0ELb0ES3_PiS8_iN6thrust23THRUST_200600_302600_NS4plusIvEEiEEDaPvRmT3_T4_T5_mT6_P12ihipStream_tbENKUlT_T0_E_clISt17integral_constantIbLb0EESP_IbLb1EEEEDaSL_SM_EUlSL_E_NS1_11comp_targetILNS1_3genE10ELNS1_11target_archE1200ELNS1_3gpuE4ELNS1_3repE0EEENS1_30default_config_static_selectorELNS0_4arch9wavefront6targetE1EEEvT1_
                                        ; -- End function
	.section	.AMDGPU.csdata,"",@progbits
; Kernel info:
; codeLenInByte = 0
; NumSgprs: 4
; NumVgprs: 0
; NumAgprs: 0
; TotalNumVgprs: 0
; ScratchSize: 0
; MemoryBound: 0
; FloatMode: 240
; IeeeMode: 1
; LDSByteSize: 0 bytes/workgroup (compile time only)
; SGPRBlocks: 0
; VGPRBlocks: 0
; NumSGPRsForWavesPerEU: 4
; NumVGPRsForWavesPerEU: 1
; AccumOffset: 4
; Occupancy: 8
; WaveLimiterHint : 0
; COMPUTE_PGM_RSRC2:SCRATCH_EN: 0
; COMPUTE_PGM_RSRC2:USER_SGPR: 6
; COMPUTE_PGM_RSRC2:TRAP_HANDLER: 0
; COMPUTE_PGM_RSRC2:TGID_X_EN: 1
; COMPUTE_PGM_RSRC2:TGID_Y_EN: 0
; COMPUTE_PGM_RSRC2:TGID_Z_EN: 0
; COMPUTE_PGM_RSRC2:TIDIG_COMP_CNT: 0
; COMPUTE_PGM_RSRC3_GFX90A:ACCUM_OFFSET: 0
; COMPUTE_PGM_RSRC3_GFX90A:TG_SPLIT: 0
	.section	.text._ZN7rocprim17ROCPRIM_400000_NS6detail17trampoline_kernelINS0_14default_configENS1_20scan_config_selectorIiEEZZNS1_9scan_implILNS1_25lookback_scan_determinismE0ELb0ELb0ES3_PiS8_iN6thrust23THRUST_200600_302600_NS4plusIvEEiEEDaPvRmT3_T4_T5_mT6_P12ihipStream_tbENKUlT_T0_E_clISt17integral_constantIbLb0EESP_IbLb1EEEEDaSL_SM_EUlSL_E_NS1_11comp_targetILNS1_3genE9ELNS1_11target_archE1100ELNS1_3gpuE3ELNS1_3repE0EEENS1_30default_config_static_selectorELNS0_4arch9wavefront6targetE1EEEvT1_,"axG",@progbits,_ZN7rocprim17ROCPRIM_400000_NS6detail17trampoline_kernelINS0_14default_configENS1_20scan_config_selectorIiEEZZNS1_9scan_implILNS1_25lookback_scan_determinismE0ELb0ELb0ES3_PiS8_iN6thrust23THRUST_200600_302600_NS4plusIvEEiEEDaPvRmT3_T4_T5_mT6_P12ihipStream_tbENKUlT_T0_E_clISt17integral_constantIbLb0EESP_IbLb1EEEEDaSL_SM_EUlSL_E_NS1_11comp_targetILNS1_3genE9ELNS1_11target_archE1100ELNS1_3gpuE3ELNS1_3repE0EEENS1_30default_config_static_selectorELNS0_4arch9wavefront6targetE1EEEvT1_,comdat
	.protected	_ZN7rocprim17ROCPRIM_400000_NS6detail17trampoline_kernelINS0_14default_configENS1_20scan_config_selectorIiEEZZNS1_9scan_implILNS1_25lookback_scan_determinismE0ELb0ELb0ES3_PiS8_iN6thrust23THRUST_200600_302600_NS4plusIvEEiEEDaPvRmT3_T4_T5_mT6_P12ihipStream_tbENKUlT_T0_E_clISt17integral_constantIbLb0EESP_IbLb1EEEEDaSL_SM_EUlSL_E_NS1_11comp_targetILNS1_3genE9ELNS1_11target_archE1100ELNS1_3gpuE3ELNS1_3repE0EEENS1_30default_config_static_selectorELNS0_4arch9wavefront6targetE1EEEvT1_ ; -- Begin function _ZN7rocprim17ROCPRIM_400000_NS6detail17trampoline_kernelINS0_14default_configENS1_20scan_config_selectorIiEEZZNS1_9scan_implILNS1_25lookback_scan_determinismE0ELb0ELb0ES3_PiS8_iN6thrust23THRUST_200600_302600_NS4plusIvEEiEEDaPvRmT3_T4_T5_mT6_P12ihipStream_tbENKUlT_T0_E_clISt17integral_constantIbLb0EESP_IbLb1EEEEDaSL_SM_EUlSL_E_NS1_11comp_targetILNS1_3genE9ELNS1_11target_archE1100ELNS1_3gpuE3ELNS1_3repE0EEENS1_30default_config_static_selectorELNS0_4arch9wavefront6targetE1EEEvT1_
	.globl	_ZN7rocprim17ROCPRIM_400000_NS6detail17trampoline_kernelINS0_14default_configENS1_20scan_config_selectorIiEEZZNS1_9scan_implILNS1_25lookback_scan_determinismE0ELb0ELb0ES3_PiS8_iN6thrust23THRUST_200600_302600_NS4plusIvEEiEEDaPvRmT3_T4_T5_mT6_P12ihipStream_tbENKUlT_T0_E_clISt17integral_constantIbLb0EESP_IbLb1EEEEDaSL_SM_EUlSL_E_NS1_11comp_targetILNS1_3genE9ELNS1_11target_archE1100ELNS1_3gpuE3ELNS1_3repE0EEENS1_30default_config_static_selectorELNS0_4arch9wavefront6targetE1EEEvT1_
	.p2align	8
	.type	_ZN7rocprim17ROCPRIM_400000_NS6detail17trampoline_kernelINS0_14default_configENS1_20scan_config_selectorIiEEZZNS1_9scan_implILNS1_25lookback_scan_determinismE0ELb0ELb0ES3_PiS8_iN6thrust23THRUST_200600_302600_NS4plusIvEEiEEDaPvRmT3_T4_T5_mT6_P12ihipStream_tbENKUlT_T0_E_clISt17integral_constantIbLb0EESP_IbLb1EEEEDaSL_SM_EUlSL_E_NS1_11comp_targetILNS1_3genE9ELNS1_11target_archE1100ELNS1_3gpuE3ELNS1_3repE0EEENS1_30default_config_static_selectorELNS0_4arch9wavefront6targetE1EEEvT1_,@function
_ZN7rocprim17ROCPRIM_400000_NS6detail17trampoline_kernelINS0_14default_configENS1_20scan_config_selectorIiEEZZNS1_9scan_implILNS1_25lookback_scan_determinismE0ELb0ELb0ES3_PiS8_iN6thrust23THRUST_200600_302600_NS4plusIvEEiEEDaPvRmT3_T4_T5_mT6_P12ihipStream_tbENKUlT_T0_E_clISt17integral_constantIbLb0EESP_IbLb1EEEEDaSL_SM_EUlSL_E_NS1_11comp_targetILNS1_3genE9ELNS1_11target_archE1100ELNS1_3gpuE3ELNS1_3repE0EEENS1_30default_config_static_selectorELNS0_4arch9wavefront6targetE1EEEvT1_: ; @_ZN7rocprim17ROCPRIM_400000_NS6detail17trampoline_kernelINS0_14default_configENS1_20scan_config_selectorIiEEZZNS1_9scan_implILNS1_25lookback_scan_determinismE0ELb0ELb0ES3_PiS8_iN6thrust23THRUST_200600_302600_NS4plusIvEEiEEDaPvRmT3_T4_T5_mT6_P12ihipStream_tbENKUlT_T0_E_clISt17integral_constantIbLb0EESP_IbLb1EEEEDaSL_SM_EUlSL_E_NS1_11comp_targetILNS1_3genE9ELNS1_11target_archE1100ELNS1_3gpuE3ELNS1_3repE0EEENS1_30default_config_static_selectorELNS0_4arch9wavefront6targetE1EEEvT1_
; %bb.0:
	.section	.rodata,"a",@progbits
	.p2align	6, 0x0
	.amdhsa_kernel _ZN7rocprim17ROCPRIM_400000_NS6detail17trampoline_kernelINS0_14default_configENS1_20scan_config_selectorIiEEZZNS1_9scan_implILNS1_25lookback_scan_determinismE0ELb0ELb0ES3_PiS8_iN6thrust23THRUST_200600_302600_NS4plusIvEEiEEDaPvRmT3_T4_T5_mT6_P12ihipStream_tbENKUlT_T0_E_clISt17integral_constantIbLb0EESP_IbLb1EEEEDaSL_SM_EUlSL_E_NS1_11comp_targetILNS1_3genE9ELNS1_11target_archE1100ELNS1_3gpuE3ELNS1_3repE0EEENS1_30default_config_static_selectorELNS0_4arch9wavefront6targetE1EEEvT1_
		.amdhsa_group_segment_fixed_size 0
		.amdhsa_private_segment_fixed_size 0
		.amdhsa_kernarg_size 96
		.amdhsa_user_sgpr_count 6
		.amdhsa_user_sgpr_private_segment_buffer 1
		.amdhsa_user_sgpr_dispatch_ptr 0
		.amdhsa_user_sgpr_queue_ptr 0
		.amdhsa_user_sgpr_kernarg_segment_ptr 1
		.amdhsa_user_sgpr_dispatch_id 0
		.amdhsa_user_sgpr_flat_scratch_init 0
		.amdhsa_user_sgpr_kernarg_preload_length 0
		.amdhsa_user_sgpr_kernarg_preload_offset 0
		.amdhsa_user_sgpr_private_segment_size 0
		.amdhsa_uses_dynamic_stack 0
		.amdhsa_system_sgpr_private_segment_wavefront_offset 0
		.amdhsa_system_sgpr_workgroup_id_x 1
		.amdhsa_system_sgpr_workgroup_id_y 0
		.amdhsa_system_sgpr_workgroup_id_z 0
		.amdhsa_system_sgpr_workgroup_info 0
		.amdhsa_system_vgpr_workitem_id 0
		.amdhsa_next_free_vgpr 1
		.amdhsa_next_free_sgpr 0
		.amdhsa_accum_offset 4
		.amdhsa_reserve_vcc 0
		.amdhsa_reserve_flat_scratch 0
		.amdhsa_float_round_mode_32 0
		.amdhsa_float_round_mode_16_64 0
		.amdhsa_float_denorm_mode_32 3
		.amdhsa_float_denorm_mode_16_64 3
		.amdhsa_dx10_clamp 1
		.amdhsa_ieee_mode 1
		.amdhsa_fp16_overflow 0
		.amdhsa_tg_split 0
		.amdhsa_exception_fp_ieee_invalid_op 0
		.amdhsa_exception_fp_denorm_src 0
		.amdhsa_exception_fp_ieee_div_zero 0
		.amdhsa_exception_fp_ieee_overflow 0
		.amdhsa_exception_fp_ieee_underflow 0
		.amdhsa_exception_fp_ieee_inexact 0
		.amdhsa_exception_int_div_zero 0
	.end_amdhsa_kernel
	.section	.text._ZN7rocprim17ROCPRIM_400000_NS6detail17trampoline_kernelINS0_14default_configENS1_20scan_config_selectorIiEEZZNS1_9scan_implILNS1_25lookback_scan_determinismE0ELb0ELb0ES3_PiS8_iN6thrust23THRUST_200600_302600_NS4plusIvEEiEEDaPvRmT3_T4_T5_mT6_P12ihipStream_tbENKUlT_T0_E_clISt17integral_constantIbLb0EESP_IbLb1EEEEDaSL_SM_EUlSL_E_NS1_11comp_targetILNS1_3genE9ELNS1_11target_archE1100ELNS1_3gpuE3ELNS1_3repE0EEENS1_30default_config_static_selectorELNS0_4arch9wavefront6targetE1EEEvT1_,"axG",@progbits,_ZN7rocprim17ROCPRIM_400000_NS6detail17trampoline_kernelINS0_14default_configENS1_20scan_config_selectorIiEEZZNS1_9scan_implILNS1_25lookback_scan_determinismE0ELb0ELb0ES3_PiS8_iN6thrust23THRUST_200600_302600_NS4plusIvEEiEEDaPvRmT3_T4_T5_mT6_P12ihipStream_tbENKUlT_T0_E_clISt17integral_constantIbLb0EESP_IbLb1EEEEDaSL_SM_EUlSL_E_NS1_11comp_targetILNS1_3genE9ELNS1_11target_archE1100ELNS1_3gpuE3ELNS1_3repE0EEENS1_30default_config_static_selectorELNS0_4arch9wavefront6targetE1EEEvT1_,comdat
.Lfunc_end92:
	.size	_ZN7rocprim17ROCPRIM_400000_NS6detail17trampoline_kernelINS0_14default_configENS1_20scan_config_selectorIiEEZZNS1_9scan_implILNS1_25lookback_scan_determinismE0ELb0ELb0ES3_PiS8_iN6thrust23THRUST_200600_302600_NS4plusIvEEiEEDaPvRmT3_T4_T5_mT6_P12ihipStream_tbENKUlT_T0_E_clISt17integral_constantIbLb0EESP_IbLb1EEEEDaSL_SM_EUlSL_E_NS1_11comp_targetILNS1_3genE9ELNS1_11target_archE1100ELNS1_3gpuE3ELNS1_3repE0EEENS1_30default_config_static_selectorELNS0_4arch9wavefront6targetE1EEEvT1_, .Lfunc_end92-_ZN7rocprim17ROCPRIM_400000_NS6detail17trampoline_kernelINS0_14default_configENS1_20scan_config_selectorIiEEZZNS1_9scan_implILNS1_25lookback_scan_determinismE0ELb0ELb0ES3_PiS8_iN6thrust23THRUST_200600_302600_NS4plusIvEEiEEDaPvRmT3_T4_T5_mT6_P12ihipStream_tbENKUlT_T0_E_clISt17integral_constantIbLb0EESP_IbLb1EEEEDaSL_SM_EUlSL_E_NS1_11comp_targetILNS1_3genE9ELNS1_11target_archE1100ELNS1_3gpuE3ELNS1_3repE0EEENS1_30default_config_static_selectorELNS0_4arch9wavefront6targetE1EEEvT1_
                                        ; -- End function
	.section	.AMDGPU.csdata,"",@progbits
; Kernel info:
; codeLenInByte = 0
; NumSgprs: 4
; NumVgprs: 0
; NumAgprs: 0
; TotalNumVgprs: 0
; ScratchSize: 0
; MemoryBound: 0
; FloatMode: 240
; IeeeMode: 1
; LDSByteSize: 0 bytes/workgroup (compile time only)
; SGPRBlocks: 0
; VGPRBlocks: 0
; NumSGPRsForWavesPerEU: 4
; NumVGPRsForWavesPerEU: 1
; AccumOffset: 4
; Occupancy: 8
; WaveLimiterHint : 0
; COMPUTE_PGM_RSRC2:SCRATCH_EN: 0
; COMPUTE_PGM_RSRC2:USER_SGPR: 6
; COMPUTE_PGM_RSRC2:TRAP_HANDLER: 0
; COMPUTE_PGM_RSRC2:TGID_X_EN: 1
; COMPUTE_PGM_RSRC2:TGID_Y_EN: 0
; COMPUTE_PGM_RSRC2:TGID_Z_EN: 0
; COMPUTE_PGM_RSRC2:TIDIG_COMP_CNT: 0
; COMPUTE_PGM_RSRC3_GFX90A:ACCUM_OFFSET: 0
; COMPUTE_PGM_RSRC3_GFX90A:TG_SPLIT: 0
	.section	.text._ZN7rocprim17ROCPRIM_400000_NS6detail17trampoline_kernelINS0_14default_configENS1_20scan_config_selectorIiEEZZNS1_9scan_implILNS1_25lookback_scan_determinismE0ELb0ELb0ES3_PiS8_iN6thrust23THRUST_200600_302600_NS4plusIvEEiEEDaPvRmT3_T4_T5_mT6_P12ihipStream_tbENKUlT_T0_E_clISt17integral_constantIbLb0EESP_IbLb1EEEEDaSL_SM_EUlSL_E_NS1_11comp_targetILNS1_3genE8ELNS1_11target_archE1030ELNS1_3gpuE2ELNS1_3repE0EEENS1_30default_config_static_selectorELNS0_4arch9wavefront6targetE1EEEvT1_,"axG",@progbits,_ZN7rocprim17ROCPRIM_400000_NS6detail17trampoline_kernelINS0_14default_configENS1_20scan_config_selectorIiEEZZNS1_9scan_implILNS1_25lookback_scan_determinismE0ELb0ELb0ES3_PiS8_iN6thrust23THRUST_200600_302600_NS4plusIvEEiEEDaPvRmT3_T4_T5_mT6_P12ihipStream_tbENKUlT_T0_E_clISt17integral_constantIbLb0EESP_IbLb1EEEEDaSL_SM_EUlSL_E_NS1_11comp_targetILNS1_3genE8ELNS1_11target_archE1030ELNS1_3gpuE2ELNS1_3repE0EEENS1_30default_config_static_selectorELNS0_4arch9wavefront6targetE1EEEvT1_,comdat
	.protected	_ZN7rocprim17ROCPRIM_400000_NS6detail17trampoline_kernelINS0_14default_configENS1_20scan_config_selectorIiEEZZNS1_9scan_implILNS1_25lookback_scan_determinismE0ELb0ELb0ES3_PiS8_iN6thrust23THRUST_200600_302600_NS4plusIvEEiEEDaPvRmT3_T4_T5_mT6_P12ihipStream_tbENKUlT_T0_E_clISt17integral_constantIbLb0EESP_IbLb1EEEEDaSL_SM_EUlSL_E_NS1_11comp_targetILNS1_3genE8ELNS1_11target_archE1030ELNS1_3gpuE2ELNS1_3repE0EEENS1_30default_config_static_selectorELNS0_4arch9wavefront6targetE1EEEvT1_ ; -- Begin function _ZN7rocprim17ROCPRIM_400000_NS6detail17trampoline_kernelINS0_14default_configENS1_20scan_config_selectorIiEEZZNS1_9scan_implILNS1_25lookback_scan_determinismE0ELb0ELb0ES3_PiS8_iN6thrust23THRUST_200600_302600_NS4plusIvEEiEEDaPvRmT3_T4_T5_mT6_P12ihipStream_tbENKUlT_T0_E_clISt17integral_constantIbLb0EESP_IbLb1EEEEDaSL_SM_EUlSL_E_NS1_11comp_targetILNS1_3genE8ELNS1_11target_archE1030ELNS1_3gpuE2ELNS1_3repE0EEENS1_30default_config_static_selectorELNS0_4arch9wavefront6targetE1EEEvT1_
	.globl	_ZN7rocprim17ROCPRIM_400000_NS6detail17trampoline_kernelINS0_14default_configENS1_20scan_config_selectorIiEEZZNS1_9scan_implILNS1_25lookback_scan_determinismE0ELb0ELb0ES3_PiS8_iN6thrust23THRUST_200600_302600_NS4plusIvEEiEEDaPvRmT3_T4_T5_mT6_P12ihipStream_tbENKUlT_T0_E_clISt17integral_constantIbLb0EESP_IbLb1EEEEDaSL_SM_EUlSL_E_NS1_11comp_targetILNS1_3genE8ELNS1_11target_archE1030ELNS1_3gpuE2ELNS1_3repE0EEENS1_30default_config_static_selectorELNS0_4arch9wavefront6targetE1EEEvT1_
	.p2align	8
	.type	_ZN7rocprim17ROCPRIM_400000_NS6detail17trampoline_kernelINS0_14default_configENS1_20scan_config_selectorIiEEZZNS1_9scan_implILNS1_25lookback_scan_determinismE0ELb0ELb0ES3_PiS8_iN6thrust23THRUST_200600_302600_NS4plusIvEEiEEDaPvRmT3_T4_T5_mT6_P12ihipStream_tbENKUlT_T0_E_clISt17integral_constantIbLb0EESP_IbLb1EEEEDaSL_SM_EUlSL_E_NS1_11comp_targetILNS1_3genE8ELNS1_11target_archE1030ELNS1_3gpuE2ELNS1_3repE0EEENS1_30default_config_static_selectorELNS0_4arch9wavefront6targetE1EEEvT1_,@function
_ZN7rocprim17ROCPRIM_400000_NS6detail17trampoline_kernelINS0_14default_configENS1_20scan_config_selectorIiEEZZNS1_9scan_implILNS1_25lookback_scan_determinismE0ELb0ELb0ES3_PiS8_iN6thrust23THRUST_200600_302600_NS4plusIvEEiEEDaPvRmT3_T4_T5_mT6_P12ihipStream_tbENKUlT_T0_E_clISt17integral_constantIbLb0EESP_IbLb1EEEEDaSL_SM_EUlSL_E_NS1_11comp_targetILNS1_3genE8ELNS1_11target_archE1030ELNS1_3gpuE2ELNS1_3repE0EEENS1_30default_config_static_selectorELNS0_4arch9wavefront6targetE1EEEvT1_: ; @_ZN7rocprim17ROCPRIM_400000_NS6detail17trampoline_kernelINS0_14default_configENS1_20scan_config_selectorIiEEZZNS1_9scan_implILNS1_25lookback_scan_determinismE0ELb0ELb0ES3_PiS8_iN6thrust23THRUST_200600_302600_NS4plusIvEEiEEDaPvRmT3_T4_T5_mT6_P12ihipStream_tbENKUlT_T0_E_clISt17integral_constantIbLb0EESP_IbLb1EEEEDaSL_SM_EUlSL_E_NS1_11comp_targetILNS1_3genE8ELNS1_11target_archE1030ELNS1_3gpuE2ELNS1_3repE0EEENS1_30default_config_static_selectorELNS0_4arch9wavefront6targetE1EEEvT1_
; %bb.0:
	.section	.rodata,"a",@progbits
	.p2align	6, 0x0
	.amdhsa_kernel _ZN7rocprim17ROCPRIM_400000_NS6detail17trampoline_kernelINS0_14default_configENS1_20scan_config_selectorIiEEZZNS1_9scan_implILNS1_25lookback_scan_determinismE0ELb0ELb0ES3_PiS8_iN6thrust23THRUST_200600_302600_NS4plusIvEEiEEDaPvRmT3_T4_T5_mT6_P12ihipStream_tbENKUlT_T0_E_clISt17integral_constantIbLb0EESP_IbLb1EEEEDaSL_SM_EUlSL_E_NS1_11comp_targetILNS1_3genE8ELNS1_11target_archE1030ELNS1_3gpuE2ELNS1_3repE0EEENS1_30default_config_static_selectorELNS0_4arch9wavefront6targetE1EEEvT1_
		.amdhsa_group_segment_fixed_size 0
		.amdhsa_private_segment_fixed_size 0
		.amdhsa_kernarg_size 96
		.amdhsa_user_sgpr_count 6
		.amdhsa_user_sgpr_private_segment_buffer 1
		.amdhsa_user_sgpr_dispatch_ptr 0
		.amdhsa_user_sgpr_queue_ptr 0
		.amdhsa_user_sgpr_kernarg_segment_ptr 1
		.amdhsa_user_sgpr_dispatch_id 0
		.amdhsa_user_sgpr_flat_scratch_init 0
		.amdhsa_user_sgpr_kernarg_preload_length 0
		.amdhsa_user_sgpr_kernarg_preload_offset 0
		.amdhsa_user_sgpr_private_segment_size 0
		.amdhsa_uses_dynamic_stack 0
		.amdhsa_system_sgpr_private_segment_wavefront_offset 0
		.amdhsa_system_sgpr_workgroup_id_x 1
		.amdhsa_system_sgpr_workgroup_id_y 0
		.amdhsa_system_sgpr_workgroup_id_z 0
		.amdhsa_system_sgpr_workgroup_info 0
		.amdhsa_system_vgpr_workitem_id 0
		.amdhsa_next_free_vgpr 1
		.amdhsa_next_free_sgpr 0
		.amdhsa_accum_offset 4
		.amdhsa_reserve_vcc 0
		.amdhsa_reserve_flat_scratch 0
		.amdhsa_float_round_mode_32 0
		.amdhsa_float_round_mode_16_64 0
		.amdhsa_float_denorm_mode_32 3
		.amdhsa_float_denorm_mode_16_64 3
		.amdhsa_dx10_clamp 1
		.amdhsa_ieee_mode 1
		.amdhsa_fp16_overflow 0
		.amdhsa_tg_split 0
		.amdhsa_exception_fp_ieee_invalid_op 0
		.amdhsa_exception_fp_denorm_src 0
		.amdhsa_exception_fp_ieee_div_zero 0
		.amdhsa_exception_fp_ieee_overflow 0
		.amdhsa_exception_fp_ieee_underflow 0
		.amdhsa_exception_fp_ieee_inexact 0
		.amdhsa_exception_int_div_zero 0
	.end_amdhsa_kernel
	.section	.text._ZN7rocprim17ROCPRIM_400000_NS6detail17trampoline_kernelINS0_14default_configENS1_20scan_config_selectorIiEEZZNS1_9scan_implILNS1_25lookback_scan_determinismE0ELb0ELb0ES3_PiS8_iN6thrust23THRUST_200600_302600_NS4plusIvEEiEEDaPvRmT3_T4_T5_mT6_P12ihipStream_tbENKUlT_T0_E_clISt17integral_constantIbLb0EESP_IbLb1EEEEDaSL_SM_EUlSL_E_NS1_11comp_targetILNS1_3genE8ELNS1_11target_archE1030ELNS1_3gpuE2ELNS1_3repE0EEENS1_30default_config_static_selectorELNS0_4arch9wavefront6targetE1EEEvT1_,"axG",@progbits,_ZN7rocprim17ROCPRIM_400000_NS6detail17trampoline_kernelINS0_14default_configENS1_20scan_config_selectorIiEEZZNS1_9scan_implILNS1_25lookback_scan_determinismE0ELb0ELb0ES3_PiS8_iN6thrust23THRUST_200600_302600_NS4plusIvEEiEEDaPvRmT3_T4_T5_mT6_P12ihipStream_tbENKUlT_T0_E_clISt17integral_constantIbLb0EESP_IbLb1EEEEDaSL_SM_EUlSL_E_NS1_11comp_targetILNS1_3genE8ELNS1_11target_archE1030ELNS1_3gpuE2ELNS1_3repE0EEENS1_30default_config_static_selectorELNS0_4arch9wavefront6targetE1EEEvT1_,comdat
.Lfunc_end93:
	.size	_ZN7rocprim17ROCPRIM_400000_NS6detail17trampoline_kernelINS0_14default_configENS1_20scan_config_selectorIiEEZZNS1_9scan_implILNS1_25lookback_scan_determinismE0ELb0ELb0ES3_PiS8_iN6thrust23THRUST_200600_302600_NS4plusIvEEiEEDaPvRmT3_T4_T5_mT6_P12ihipStream_tbENKUlT_T0_E_clISt17integral_constantIbLb0EESP_IbLb1EEEEDaSL_SM_EUlSL_E_NS1_11comp_targetILNS1_3genE8ELNS1_11target_archE1030ELNS1_3gpuE2ELNS1_3repE0EEENS1_30default_config_static_selectorELNS0_4arch9wavefront6targetE1EEEvT1_, .Lfunc_end93-_ZN7rocprim17ROCPRIM_400000_NS6detail17trampoline_kernelINS0_14default_configENS1_20scan_config_selectorIiEEZZNS1_9scan_implILNS1_25lookback_scan_determinismE0ELb0ELb0ES3_PiS8_iN6thrust23THRUST_200600_302600_NS4plusIvEEiEEDaPvRmT3_T4_T5_mT6_P12ihipStream_tbENKUlT_T0_E_clISt17integral_constantIbLb0EESP_IbLb1EEEEDaSL_SM_EUlSL_E_NS1_11comp_targetILNS1_3genE8ELNS1_11target_archE1030ELNS1_3gpuE2ELNS1_3repE0EEENS1_30default_config_static_selectorELNS0_4arch9wavefront6targetE1EEEvT1_
                                        ; -- End function
	.section	.AMDGPU.csdata,"",@progbits
; Kernel info:
; codeLenInByte = 0
; NumSgprs: 4
; NumVgprs: 0
; NumAgprs: 0
; TotalNumVgprs: 0
; ScratchSize: 0
; MemoryBound: 0
; FloatMode: 240
; IeeeMode: 1
; LDSByteSize: 0 bytes/workgroup (compile time only)
; SGPRBlocks: 0
; VGPRBlocks: 0
; NumSGPRsForWavesPerEU: 4
; NumVGPRsForWavesPerEU: 1
; AccumOffset: 4
; Occupancy: 8
; WaveLimiterHint : 0
; COMPUTE_PGM_RSRC2:SCRATCH_EN: 0
; COMPUTE_PGM_RSRC2:USER_SGPR: 6
; COMPUTE_PGM_RSRC2:TRAP_HANDLER: 0
; COMPUTE_PGM_RSRC2:TGID_X_EN: 1
; COMPUTE_PGM_RSRC2:TGID_Y_EN: 0
; COMPUTE_PGM_RSRC2:TGID_Z_EN: 0
; COMPUTE_PGM_RSRC2:TIDIG_COMP_CNT: 0
; COMPUTE_PGM_RSRC3_GFX90A:ACCUM_OFFSET: 0
; COMPUTE_PGM_RSRC3_GFX90A:TG_SPLIT: 0
	.section	.text._ZN7rocprim17ROCPRIM_400000_NS6detail17trampoline_kernelINS0_14default_configENS1_20scan_config_selectorIiEEZZNS1_9scan_implILNS1_25lookback_scan_determinismE0ELb0ELb0ES3_PiS8_iN6thrust23THRUST_200600_302600_NS4plusIvEEiEEDaPvRmT3_T4_T5_mT6_P12ihipStream_tbENKUlT_T0_E_clISt17integral_constantIbLb0EESP_IbLb1EEEEDaSL_SM_EUlSL_E0_NS1_11comp_targetILNS1_3genE0ELNS1_11target_archE4294967295ELNS1_3gpuE0ELNS1_3repE0EEENS1_30default_config_static_selectorELNS0_4arch9wavefront6targetE1EEEvT1_,"axG",@progbits,_ZN7rocprim17ROCPRIM_400000_NS6detail17trampoline_kernelINS0_14default_configENS1_20scan_config_selectorIiEEZZNS1_9scan_implILNS1_25lookback_scan_determinismE0ELb0ELb0ES3_PiS8_iN6thrust23THRUST_200600_302600_NS4plusIvEEiEEDaPvRmT3_T4_T5_mT6_P12ihipStream_tbENKUlT_T0_E_clISt17integral_constantIbLb0EESP_IbLb1EEEEDaSL_SM_EUlSL_E0_NS1_11comp_targetILNS1_3genE0ELNS1_11target_archE4294967295ELNS1_3gpuE0ELNS1_3repE0EEENS1_30default_config_static_selectorELNS0_4arch9wavefront6targetE1EEEvT1_,comdat
	.protected	_ZN7rocprim17ROCPRIM_400000_NS6detail17trampoline_kernelINS0_14default_configENS1_20scan_config_selectorIiEEZZNS1_9scan_implILNS1_25lookback_scan_determinismE0ELb0ELb0ES3_PiS8_iN6thrust23THRUST_200600_302600_NS4plusIvEEiEEDaPvRmT3_T4_T5_mT6_P12ihipStream_tbENKUlT_T0_E_clISt17integral_constantIbLb0EESP_IbLb1EEEEDaSL_SM_EUlSL_E0_NS1_11comp_targetILNS1_3genE0ELNS1_11target_archE4294967295ELNS1_3gpuE0ELNS1_3repE0EEENS1_30default_config_static_selectorELNS0_4arch9wavefront6targetE1EEEvT1_ ; -- Begin function _ZN7rocprim17ROCPRIM_400000_NS6detail17trampoline_kernelINS0_14default_configENS1_20scan_config_selectorIiEEZZNS1_9scan_implILNS1_25lookback_scan_determinismE0ELb0ELb0ES3_PiS8_iN6thrust23THRUST_200600_302600_NS4plusIvEEiEEDaPvRmT3_T4_T5_mT6_P12ihipStream_tbENKUlT_T0_E_clISt17integral_constantIbLb0EESP_IbLb1EEEEDaSL_SM_EUlSL_E0_NS1_11comp_targetILNS1_3genE0ELNS1_11target_archE4294967295ELNS1_3gpuE0ELNS1_3repE0EEENS1_30default_config_static_selectorELNS0_4arch9wavefront6targetE1EEEvT1_
	.globl	_ZN7rocprim17ROCPRIM_400000_NS6detail17trampoline_kernelINS0_14default_configENS1_20scan_config_selectorIiEEZZNS1_9scan_implILNS1_25lookback_scan_determinismE0ELb0ELb0ES3_PiS8_iN6thrust23THRUST_200600_302600_NS4plusIvEEiEEDaPvRmT3_T4_T5_mT6_P12ihipStream_tbENKUlT_T0_E_clISt17integral_constantIbLb0EESP_IbLb1EEEEDaSL_SM_EUlSL_E0_NS1_11comp_targetILNS1_3genE0ELNS1_11target_archE4294967295ELNS1_3gpuE0ELNS1_3repE0EEENS1_30default_config_static_selectorELNS0_4arch9wavefront6targetE1EEEvT1_
	.p2align	8
	.type	_ZN7rocprim17ROCPRIM_400000_NS6detail17trampoline_kernelINS0_14default_configENS1_20scan_config_selectorIiEEZZNS1_9scan_implILNS1_25lookback_scan_determinismE0ELb0ELb0ES3_PiS8_iN6thrust23THRUST_200600_302600_NS4plusIvEEiEEDaPvRmT3_T4_T5_mT6_P12ihipStream_tbENKUlT_T0_E_clISt17integral_constantIbLb0EESP_IbLb1EEEEDaSL_SM_EUlSL_E0_NS1_11comp_targetILNS1_3genE0ELNS1_11target_archE4294967295ELNS1_3gpuE0ELNS1_3repE0EEENS1_30default_config_static_selectorELNS0_4arch9wavefront6targetE1EEEvT1_,@function
_ZN7rocprim17ROCPRIM_400000_NS6detail17trampoline_kernelINS0_14default_configENS1_20scan_config_selectorIiEEZZNS1_9scan_implILNS1_25lookback_scan_determinismE0ELb0ELb0ES3_PiS8_iN6thrust23THRUST_200600_302600_NS4plusIvEEiEEDaPvRmT3_T4_T5_mT6_P12ihipStream_tbENKUlT_T0_E_clISt17integral_constantIbLb0EESP_IbLb1EEEEDaSL_SM_EUlSL_E0_NS1_11comp_targetILNS1_3genE0ELNS1_11target_archE4294967295ELNS1_3gpuE0ELNS1_3repE0EEENS1_30default_config_static_selectorELNS0_4arch9wavefront6targetE1EEEvT1_: ; @_ZN7rocprim17ROCPRIM_400000_NS6detail17trampoline_kernelINS0_14default_configENS1_20scan_config_selectorIiEEZZNS1_9scan_implILNS1_25lookback_scan_determinismE0ELb0ELb0ES3_PiS8_iN6thrust23THRUST_200600_302600_NS4plusIvEEiEEDaPvRmT3_T4_T5_mT6_P12ihipStream_tbENKUlT_T0_E_clISt17integral_constantIbLb0EESP_IbLb1EEEEDaSL_SM_EUlSL_E0_NS1_11comp_targetILNS1_3genE0ELNS1_11target_archE4294967295ELNS1_3gpuE0ELNS1_3repE0EEENS1_30default_config_static_selectorELNS0_4arch9wavefront6targetE1EEEvT1_
; %bb.0:
	.section	.rodata,"a",@progbits
	.p2align	6, 0x0
	.amdhsa_kernel _ZN7rocprim17ROCPRIM_400000_NS6detail17trampoline_kernelINS0_14default_configENS1_20scan_config_selectorIiEEZZNS1_9scan_implILNS1_25lookback_scan_determinismE0ELb0ELb0ES3_PiS8_iN6thrust23THRUST_200600_302600_NS4plusIvEEiEEDaPvRmT3_T4_T5_mT6_P12ihipStream_tbENKUlT_T0_E_clISt17integral_constantIbLb0EESP_IbLb1EEEEDaSL_SM_EUlSL_E0_NS1_11comp_targetILNS1_3genE0ELNS1_11target_archE4294967295ELNS1_3gpuE0ELNS1_3repE0EEENS1_30default_config_static_selectorELNS0_4arch9wavefront6targetE1EEEvT1_
		.amdhsa_group_segment_fixed_size 0
		.amdhsa_private_segment_fixed_size 0
		.amdhsa_kernarg_size 32
		.amdhsa_user_sgpr_count 6
		.amdhsa_user_sgpr_private_segment_buffer 1
		.amdhsa_user_sgpr_dispatch_ptr 0
		.amdhsa_user_sgpr_queue_ptr 0
		.amdhsa_user_sgpr_kernarg_segment_ptr 1
		.amdhsa_user_sgpr_dispatch_id 0
		.amdhsa_user_sgpr_flat_scratch_init 0
		.amdhsa_user_sgpr_kernarg_preload_length 0
		.amdhsa_user_sgpr_kernarg_preload_offset 0
		.amdhsa_user_sgpr_private_segment_size 0
		.amdhsa_uses_dynamic_stack 0
		.amdhsa_system_sgpr_private_segment_wavefront_offset 0
		.amdhsa_system_sgpr_workgroup_id_x 1
		.amdhsa_system_sgpr_workgroup_id_y 0
		.amdhsa_system_sgpr_workgroup_id_z 0
		.amdhsa_system_sgpr_workgroup_info 0
		.amdhsa_system_vgpr_workitem_id 0
		.amdhsa_next_free_vgpr 1
		.amdhsa_next_free_sgpr 0
		.amdhsa_accum_offset 4
		.amdhsa_reserve_vcc 0
		.amdhsa_reserve_flat_scratch 0
		.amdhsa_float_round_mode_32 0
		.amdhsa_float_round_mode_16_64 0
		.amdhsa_float_denorm_mode_32 3
		.amdhsa_float_denorm_mode_16_64 3
		.amdhsa_dx10_clamp 1
		.amdhsa_ieee_mode 1
		.amdhsa_fp16_overflow 0
		.amdhsa_tg_split 0
		.amdhsa_exception_fp_ieee_invalid_op 0
		.amdhsa_exception_fp_denorm_src 0
		.amdhsa_exception_fp_ieee_div_zero 0
		.amdhsa_exception_fp_ieee_overflow 0
		.amdhsa_exception_fp_ieee_underflow 0
		.amdhsa_exception_fp_ieee_inexact 0
		.amdhsa_exception_int_div_zero 0
	.end_amdhsa_kernel
	.section	.text._ZN7rocprim17ROCPRIM_400000_NS6detail17trampoline_kernelINS0_14default_configENS1_20scan_config_selectorIiEEZZNS1_9scan_implILNS1_25lookback_scan_determinismE0ELb0ELb0ES3_PiS8_iN6thrust23THRUST_200600_302600_NS4plusIvEEiEEDaPvRmT3_T4_T5_mT6_P12ihipStream_tbENKUlT_T0_E_clISt17integral_constantIbLb0EESP_IbLb1EEEEDaSL_SM_EUlSL_E0_NS1_11comp_targetILNS1_3genE0ELNS1_11target_archE4294967295ELNS1_3gpuE0ELNS1_3repE0EEENS1_30default_config_static_selectorELNS0_4arch9wavefront6targetE1EEEvT1_,"axG",@progbits,_ZN7rocprim17ROCPRIM_400000_NS6detail17trampoline_kernelINS0_14default_configENS1_20scan_config_selectorIiEEZZNS1_9scan_implILNS1_25lookback_scan_determinismE0ELb0ELb0ES3_PiS8_iN6thrust23THRUST_200600_302600_NS4plusIvEEiEEDaPvRmT3_T4_T5_mT6_P12ihipStream_tbENKUlT_T0_E_clISt17integral_constantIbLb0EESP_IbLb1EEEEDaSL_SM_EUlSL_E0_NS1_11comp_targetILNS1_3genE0ELNS1_11target_archE4294967295ELNS1_3gpuE0ELNS1_3repE0EEENS1_30default_config_static_selectorELNS0_4arch9wavefront6targetE1EEEvT1_,comdat
.Lfunc_end94:
	.size	_ZN7rocprim17ROCPRIM_400000_NS6detail17trampoline_kernelINS0_14default_configENS1_20scan_config_selectorIiEEZZNS1_9scan_implILNS1_25lookback_scan_determinismE0ELb0ELb0ES3_PiS8_iN6thrust23THRUST_200600_302600_NS4plusIvEEiEEDaPvRmT3_T4_T5_mT6_P12ihipStream_tbENKUlT_T0_E_clISt17integral_constantIbLb0EESP_IbLb1EEEEDaSL_SM_EUlSL_E0_NS1_11comp_targetILNS1_3genE0ELNS1_11target_archE4294967295ELNS1_3gpuE0ELNS1_3repE0EEENS1_30default_config_static_selectorELNS0_4arch9wavefront6targetE1EEEvT1_, .Lfunc_end94-_ZN7rocprim17ROCPRIM_400000_NS6detail17trampoline_kernelINS0_14default_configENS1_20scan_config_selectorIiEEZZNS1_9scan_implILNS1_25lookback_scan_determinismE0ELb0ELb0ES3_PiS8_iN6thrust23THRUST_200600_302600_NS4plusIvEEiEEDaPvRmT3_T4_T5_mT6_P12ihipStream_tbENKUlT_T0_E_clISt17integral_constantIbLb0EESP_IbLb1EEEEDaSL_SM_EUlSL_E0_NS1_11comp_targetILNS1_3genE0ELNS1_11target_archE4294967295ELNS1_3gpuE0ELNS1_3repE0EEENS1_30default_config_static_selectorELNS0_4arch9wavefront6targetE1EEEvT1_
                                        ; -- End function
	.section	.AMDGPU.csdata,"",@progbits
; Kernel info:
; codeLenInByte = 0
; NumSgprs: 4
; NumVgprs: 0
; NumAgprs: 0
; TotalNumVgprs: 0
; ScratchSize: 0
; MemoryBound: 0
; FloatMode: 240
; IeeeMode: 1
; LDSByteSize: 0 bytes/workgroup (compile time only)
; SGPRBlocks: 0
; VGPRBlocks: 0
; NumSGPRsForWavesPerEU: 4
; NumVGPRsForWavesPerEU: 1
; AccumOffset: 4
; Occupancy: 8
; WaveLimiterHint : 0
; COMPUTE_PGM_RSRC2:SCRATCH_EN: 0
; COMPUTE_PGM_RSRC2:USER_SGPR: 6
; COMPUTE_PGM_RSRC2:TRAP_HANDLER: 0
; COMPUTE_PGM_RSRC2:TGID_X_EN: 1
; COMPUTE_PGM_RSRC2:TGID_Y_EN: 0
; COMPUTE_PGM_RSRC2:TGID_Z_EN: 0
; COMPUTE_PGM_RSRC2:TIDIG_COMP_CNT: 0
; COMPUTE_PGM_RSRC3_GFX90A:ACCUM_OFFSET: 0
; COMPUTE_PGM_RSRC3_GFX90A:TG_SPLIT: 0
	.section	.text._ZN7rocprim17ROCPRIM_400000_NS6detail17trampoline_kernelINS0_14default_configENS1_20scan_config_selectorIiEEZZNS1_9scan_implILNS1_25lookback_scan_determinismE0ELb0ELb0ES3_PiS8_iN6thrust23THRUST_200600_302600_NS4plusIvEEiEEDaPvRmT3_T4_T5_mT6_P12ihipStream_tbENKUlT_T0_E_clISt17integral_constantIbLb0EESP_IbLb1EEEEDaSL_SM_EUlSL_E0_NS1_11comp_targetILNS1_3genE5ELNS1_11target_archE942ELNS1_3gpuE9ELNS1_3repE0EEENS1_30default_config_static_selectorELNS0_4arch9wavefront6targetE1EEEvT1_,"axG",@progbits,_ZN7rocprim17ROCPRIM_400000_NS6detail17trampoline_kernelINS0_14default_configENS1_20scan_config_selectorIiEEZZNS1_9scan_implILNS1_25lookback_scan_determinismE0ELb0ELb0ES3_PiS8_iN6thrust23THRUST_200600_302600_NS4plusIvEEiEEDaPvRmT3_T4_T5_mT6_P12ihipStream_tbENKUlT_T0_E_clISt17integral_constantIbLb0EESP_IbLb1EEEEDaSL_SM_EUlSL_E0_NS1_11comp_targetILNS1_3genE5ELNS1_11target_archE942ELNS1_3gpuE9ELNS1_3repE0EEENS1_30default_config_static_selectorELNS0_4arch9wavefront6targetE1EEEvT1_,comdat
	.protected	_ZN7rocprim17ROCPRIM_400000_NS6detail17trampoline_kernelINS0_14default_configENS1_20scan_config_selectorIiEEZZNS1_9scan_implILNS1_25lookback_scan_determinismE0ELb0ELb0ES3_PiS8_iN6thrust23THRUST_200600_302600_NS4plusIvEEiEEDaPvRmT3_T4_T5_mT6_P12ihipStream_tbENKUlT_T0_E_clISt17integral_constantIbLb0EESP_IbLb1EEEEDaSL_SM_EUlSL_E0_NS1_11comp_targetILNS1_3genE5ELNS1_11target_archE942ELNS1_3gpuE9ELNS1_3repE0EEENS1_30default_config_static_selectorELNS0_4arch9wavefront6targetE1EEEvT1_ ; -- Begin function _ZN7rocprim17ROCPRIM_400000_NS6detail17trampoline_kernelINS0_14default_configENS1_20scan_config_selectorIiEEZZNS1_9scan_implILNS1_25lookback_scan_determinismE0ELb0ELb0ES3_PiS8_iN6thrust23THRUST_200600_302600_NS4plusIvEEiEEDaPvRmT3_T4_T5_mT6_P12ihipStream_tbENKUlT_T0_E_clISt17integral_constantIbLb0EESP_IbLb1EEEEDaSL_SM_EUlSL_E0_NS1_11comp_targetILNS1_3genE5ELNS1_11target_archE942ELNS1_3gpuE9ELNS1_3repE0EEENS1_30default_config_static_selectorELNS0_4arch9wavefront6targetE1EEEvT1_
	.globl	_ZN7rocprim17ROCPRIM_400000_NS6detail17trampoline_kernelINS0_14default_configENS1_20scan_config_selectorIiEEZZNS1_9scan_implILNS1_25lookback_scan_determinismE0ELb0ELb0ES3_PiS8_iN6thrust23THRUST_200600_302600_NS4plusIvEEiEEDaPvRmT3_T4_T5_mT6_P12ihipStream_tbENKUlT_T0_E_clISt17integral_constantIbLb0EESP_IbLb1EEEEDaSL_SM_EUlSL_E0_NS1_11comp_targetILNS1_3genE5ELNS1_11target_archE942ELNS1_3gpuE9ELNS1_3repE0EEENS1_30default_config_static_selectorELNS0_4arch9wavefront6targetE1EEEvT1_
	.p2align	8
	.type	_ZN7rocprim17ROCPRIM_400000_NS6detail17trampoline_kernelINS0_14default_configENS1_20scan_config_selectorIiEEZZNS1_9scan_implILNS1_25lookback_scan_determinismE0ELb0ELb0ES3_PiS8_iN6thrust23THRUST_200600_302600_NS4plusIvEEiEEDaPvRmT3_T4_T5_mT6_P12ihipStream_tbENKUlT_T0_E_clISt17integral_constantIbLb0EESP_IbLb1EEEEDaSL_SM_EUlSL_E0_NS1_11comp_targetILNS1_3genE5ELNS1_11target_archE942ELNS1_3gpuE9ELNS1_3repE0EEENS1_30default_config_static_selectorELNS0_4arch9wavefront6targetE1EEEvT1_,@function
_ZN7rocprim17ROCPRIM_400000_NS6detail17trampoline_kernelINS0_14default_configENS1_20scan_config_selectorIiEEZZNS1_9scan_implILNS1_25lookback_scan_determinismE0ELb0ELb0ES3_PiS8_iN6thrust23THRUST_200600_302600_NS4plusIvEEiEEDaPvRmT3_T4_T5_mT6_P12ihipStream_tbENKUlT_T0_E_clISt17integral_constantIbLb0EESP_IbLb1EEEEDaSL_SM_EUlSL_E0_NS1_11comp_targetILNS1_3genE5ELNS1_11target_archE942ELNS1_3gpuE9ELNS1_3repE0EEENS1_30default_config_static_selectorELNS0_4arch9wavefront6targetE1EEEvT1_: ; @_ZN7rocprim17ROCPRIM_400000_NS6detail17trampoline_kernelINS0_14default_configENS1_20scan_config_selectorIiEEZZNS1_9scan_implILNS1_25lookback_scan_determinismE0ELb0ELb0ES3_PiS8_iN6thrust23THRUST_200600_302600_NS4plusIvEEiEEDaPvRmT3_T4_T5_mT6_P12ihipStream_tbENKUlT_T0_E_clISt17integral_constantIbLb0EESP_IbLb1EEEEDaSL_SM_EUlSL_E0_NS1_11comp_targetILNS1_3genE5ELNS1_11target_archE942ELNS1_3gpuE9ELNS1_3repE0EEENS1_30default_config_static_selectorELNS0_4arch9wavefront6targetE1EEEvT1_
; %bb.0:
	.section	.rodata,"a",@progbits
	.p2align	6, 0x0
	.amdhsa_kernel _ZN7rocprim17ROCPRIM_400000_NS6detail17trampoline_kernelINS0_14default_configENS1_20scan_config_selectorIiEEZZNS1_9scan_implILNS1_25lookback_scan_determinismE0ELb0ELb0ES3_PiS8_iN6thrust23THRUST_200600_302600_NS4plusIvEEiEEDaPvRmT3_T4_T5_mT6_P12ihipStream_tbENKUlT_T0_E_clISt17integral_constantIbLb0EESP_IbLb1EEEEDaSL_SM_EUlSL_E0_NS1_11comp_targetILNS1_3genE5ELNS1_11target_archE942ELNS1_3gpuE9ELNS1_3repE0EEENS1_30default_config_static_selectorELNS0_4arch9wavefront6targetE1EEEvT1_
		.amdhsa_group_segment_fixed_size 0
		.amdhsa_private_segment_fixed_size 0
		.amdhsa_kernarg_size 32
		.amdhsa_user_sgpr_count 6
		.amdhsa_user_sgpr_private_segment_buffer 1
		.amdhsa_user_sgpr_dispatch_ptr 0
		.amdhsa_user_sgpr_queue_ptr 0
		.amdhsa_user_sgpr_kernarg_segment_ptr 1
		.amdhsa_user_sgpr_dispatch_id 0
		.amdhsa_user_sgpr_flat_scratch_init 0
		.amdhsa_user_sgpr_kernarg_preload_length 0
		.amdhsa_user_sgpr_kernarg_preload_offset 0
		.amdhsa_user_sgpr_private_segment_size 0
		.amdhsa_uses_dynamic_stack 0
		.amdhsa_system_sgpr_private_segment_wavefront_offset 0
		.amdhsa_system_sgpr_workgroup_id_x 1
		.amdhsa_system_sgpr_workgroup_id_y 0
		.amdhsa_system_sgpr_workgroup_id_z 0
		.amdhsa_system_sgpr_workgroup_info 0
		.amdhsa_system_vgpr_workitem_id 0
		.amdhsa_next_free_vgpr 1
		.amdhsa_next_free_sgpr 0
		.amdhsa_accum_offset 4
		.amdhsa_reserve_vcc 0
		.amdhsa_reserve_flat_scratch 0
		.amdhsa_float_round_mode_32 0
		.amdhsa_float_round_mode_16_64 0
		.amdhsa_float_denorm_mode_32 3
		.amdhsa_float_denorm_mode_16_64 3
		.amdhsa_dx10_clamp 1
		.amdhsa_ieee_mode 1
		.amdhsa_fp16_overflow 0
		.amdhsa_tg_split 0
		.amdhsa_exception_fp_ieee_invalid_op 0
		.amdhsa_exception_fp_denorm_src 0
		.amdhsa_exception_fp_ieee_div_zero 0
		.amdhsa_exception_fp_ieee_overflow 0
		.amdhsa_exception_fp_ieee_underflow 0
		.amdhsa_exception_fp_ieee_inexact 0
		.amdhsa_exception_int_div_zero 0
	.end_amdhsa_kernel
	.section	.text._ZN7rocprim17ROCPRIM_400000_NS6detail17trampoline_kernelINS0_14default_configENS1_20scan_config_selectorIiEEZZNS1_9scan_implILNS1_25lookback_scan_determinismE0ELb0ELb0ES3_PiS8_iN6thrust23THRUST_200600_302600_NS4plusIvEEiEEDaPvRmT3_T4_T5_mT6_P12ihipStream_tbENKUlT_T0_E_clISt17integral_constantIbLb0EESP_IbLb1EEEEDaSL_SM_EUlSL_E0_NS1_11comp_targetILNS1_3genE5ELNS1_11target_archE942ELNS1_3gpuE9ELNS1_3repE0EEENS1_30default_config_static_selectorELNS0_4arch9wavefront6targetE1EEEvT1_,"axG",@progbits,_ZN7rocprim17ROCPRIM_400000_NS6detail17trampoline_kernelINS0_14default_configENS1_20scan_config_selectorIiEEZZNS1_9scan_implILNS1_25lookback_scan_determinismE0ELb0ELb0ES3_PiS8_iN6thrust23THRUST_200600_302600_NS4plusIvEEiEEDaPvRmT3_T4_T5_mT6_P12ihipStream_tbENKUlT_T0_E_clISt17integral_constantIbLb0EESP_IbLb1EEEEDaSL_SM_EUlSL_E0_NS1_11comp_targetILNS1_3genE5ELNS1_11target_archE942ELNS1_3gpuE9ELNS1_3repE0EEENS1_30default_config_static_selectorELNS0_4arch9wavefront6targetE1EEEvT1_,comdat
.Lfunc_end95:
	.size	_ZN7rocprim17ROCPRIM_400000_NS6detail17trampoline_kernelINS0_14default_configENS1_20scan_config_selectorIiEEZZNS1_9scan_implILNS1_25lookback_scan_determinismE0ELb0ELb0ES3_PiS8_iN6thrust23THRUST_200600_302600_NS4plusIvEEiEEDaPvRmT3_T4_T5_mT6_P12ihipStream_tbENKUlT_T0_E_clISt17integral_constantIbLb0EESP_IbLb1EEEEDaSL_SM_EUlSL_E0_NS1_11comp_targetILNS1_3genE5ELNS1_11target_archE942ELNS1_3gpuE9ELNS1_3repE0EEENS1_30default_config_static_selectorELNS0_4arch9wavefront6targetE1EEEvT1_, .Lfunc_end95-_ZN7rocprim17ROCPRIM_400000_NS6detail17trampoline_kernelINS0_14default_configENS1_20scan_config_selectorIiEEZZNS1_9scan_implILNS1_25lookback_scan_determinismE0ELb0ELb0ES3_PiS8_iN6thrust23THRUST_200600_302600_NS4plusIvEEiEEDaPvRmT3_T4_T5_mT6_P12ihipStream_tbENKUlT_T0_E_clISt17integral_constantIbLb0EESP_IbLb1EEEEDaSL_SM_EUlSL_E0_NS1_11comp_targetILNS1_3genE5ELNS1_11target_archE942ELNS1_3gpuE9ELNS1_3repE0EEENS1_30default_config_static_selectorELNS0_4arch9wavefront6targetE1EEEvT1_
                                        ; -- End function
	.section	.AMDGPU.csdata,"",@progbits
; Kernel info:
; codeLenInByte = 0
; NumSgprs: 4
; NumVgprs: 0
; NumAgprs: 0
; TotalNumVgprs: 0
; ScratchSize: 0
; MemoryBound: 0
; FloatMode: 240
; IeeeMode: 1
; LDSByteSize: 0 bytes/workgroup (compile time only)
; SGPRBlocks: 0
; VGPRBlocks: 0
; NumSGPRsForWavesPerEU: 4
; NumVGPRsForWavesPerEU: 1
; AccumOffset: 4
; Occupancy: 8
; WaveLimiterHint : 0
; COMPUTE_PGM_RSRC2:SCRATCH_EN: 0
; COMPUTE_PGM_RSRC2:USER_SGPR: 6
; COMPUTE_PGM_RSRC2:TRAP_HANDLER: 0
; COMPUTE_PGM_RSRC2:TGID_X_EN: 1
; COMPUTE_PGM_RSRC2:TGID_Y_EN: 0
; COMPUTE_PGM_RSRC2:TGID_Z_EN: 0
; COMPUTE_PGM_RSRC2:TIDIG_COMP_CNT: 0
; COMPUTE_PGM_RSRC3_GFX90A:ACCUM_OFFSET: 0
; COMPUTE_PGM_RSRC3_GFX90A:TG_SPLIT: 0
	.section	.text._ZN7rocprim17ROCPRIM_400000_NS6detail17trampoline_kernelINS0_14default_configENS1_20scan_config_selectorIiEEZZNS1_9scan_implILNS1_25lookback_scan_determinismE0ELb0ELb0ES3_PiS8_iN6thrust23THRUST_200600_302600_NS4plusIvEEiEEDaPvRmT3_T4_T5_mT6_P12ihipStream_tbENKUlT_T0_E_clISt17integral_constantIbLb0EESP_IbLb1EEEEDaSL_SM_EUlSL_E0_NS1_11comp_targetILNS1_3genE4ELNS1_11target_archE910ELNS1_3gpuE8ELNS1_3repE0EEENS1_30default_config_static_selectorELNS0_4arch9wavefront6targetE1EEEvT1_,"axG",@progbits,_ZN7rocprim17ROCPRIM_400000_NS6detail17trampoline_kernelINS0_14default_configENS1_20scan_config_selectorIiEEZZNS1_9scan_implILNS1_25lookback_scan_determinismE0ELb0ELb0ES3_PiS8_iN6thrust23THRUST_200600_302600_NS4plusIvEEiEEDaPvRmT3_T4_T5_mT6_P12ihipStream_tbENKUlT_T0_E_clISt17integral_constantIbLb0EESP_IbLb1EEEEDaSL_SM_EUlSL_E0_NS1_11comp_targetILNS1_3genE4ELNS1_11target_archE910ELNS1_3gpuE8ELNS1_3repE0EEENS1_30default_config_static_selectorELNS0_4arch9wavefront6targetE1EEEvT1_,comdat
	.protected	_ZN7rocprim17ROCPRIM_400000_NS6detail17trampoline_kernelINS0_14default_configENS1_20scan_config_selectorIiEEZZNS1_9scan_implILNS1_25lookback_scan_determinismE0ELb0ELb0ES3_PiS8_iN6thrust23THRUST_200600_302600_NS4plusIvEEiEEDaPvRmT3_T4_T5_mT6_P12ihipStream_tbENKUlT_T0_E_clISt17integral_constantIbLb0EESP_IbLb1EEEEDaSL_SM_EUlSL_E0_NS1_11comp_targetILNS1_3genE4ELNS1_11target_archE910ELNS1_3gpuE8ELNS1_3repE0EEENS1_30default_config_static_selectorELNS0_4arch9wavefront6targetE1EEEvT1_ ; -- Begin function _ZN7rocprim17ROCPRIM_400000_NS6detail17trampoline_kernelINS0_14default_configENS1_20scan_config_selectorIiEEZZNS1_9scan_implILNS1_25lookback_scan_determinismE0ELb0ELb0ES3_PiS8_iN6thrust23THRUST_200600_302600_NS4plusIvEEiEEDaPvRmT3_T4_T5_mT6_P12ihipStream_tbENKUlT_T0_E_clISt17integral_constantIbLb0EESP_IbLb1EEEEDaSL_SM_EUlSL_E0_NS1_11comp_targetILNS1_3genE4ELNS1_11target_archE910ELNS1_3gpuE8ELNS1_3repE0EEENS1_30default_config_static_selectorELNS0_4arch9wavefront6targetE1EEEvT1_
	.globl	_ZN7rocprim17ROCPRIM_400000_NS6detail17trampoline_kernelINS0_14default_configENS1_20scan_config_selectorIiEEZZNS1_9scan_implILNS1_25lookback_scan_determinismE0ELb0ELb0ES3_PiS8_iN6thrust23THRUST_200600_302600_NS4plusIvEEiEEDaPvRmT3_T4_T5_mT6_P12ihipStream_tbENKUlT_T0_E_clISt17integral_constantIbLb0EESP_IbLb1EEEEDaSL_SM_EUlSL_E0_NS1_11comp_targetILNS1_3genE4ELNS1_11target_archE910ELNS1_3gpuE8ELNS1_3repE0EEENS1_30default_config_static_selectorELNS0_4arch9wavefront6targetE1EEEvT1_
	.p2align	8
	.type	_ZN7rocprim17ROCPRIM_400000_NS6detail17trampoline_kernelINS0_14default_configENS1_20scan_config_selectorIiEEZZNS1_9scan_implILNS1_25lookback_scan_determinismE0ELb0ELb0ES3_PiS8_iN6thrust23THRUST_200600_302600_NS4plusIvEEiEEDaPvRmT3_T4_T5_mT6_P12ihipStream_tbENKUlT_T0_E_clISt17integral_constantIbLb0EESP_IbLb1EEEEDaSL_SM_EUlSL_E0_NS1_11comp_targetILNS1_3genE4ELNS1_11target_archE910ELNS1_3gpuE8ELNS1_3repE0EEENS1_30default_config_static_selectorELNS0_4arch9wavefront6targetE1EEEvT1_,@function
_ZN7rocprim17ROCPRIM_400000_NS6detail17trampoline_kernelINS0_14default_configENS1_20scan_config_selectorIiEEZZNS1_9scan_implILNS1_25lookback_scan_determinismE0ELb0ELb0ES3_PiS8_iN6thrust23THRUST_200600_302600_NS4plusIvEEiEEDaPvRmT3_T4_T5_mT6_P12ihipStream_tbENKUlT_T0_E_clISt17integral_constantIbLb0EESP_IbLb1EEEEDaSL_SM_EUlSL_E0_NS1_11comp_targetILNS1_3genE4ELNS1_11target_archE910ELNS1_3gpuE8ELNS1_3repE0EEENS1_30default_config_static_selectorELNS0_4arch9wavefront6targetE1EEEvT1_: ; @_ZN7rocprim17ROCPRIM_400000_NS6detail17trampoline_kernelINS0_14default_configENS1_20scan_config_selectorIiEEZZNS1_9scan_implILNS1_25lookback_scan_determinismE0ELb0ELb0ES3_PiS8_iN6thrust23THRUST_200600_302600_NS4plusIvEEiEEDaPvRmT3_T4_T5_mT6_P12ihipStream_tbENKUlT_T0_E_clISt17integral_constantIbLb0EESP_IbLb1EEEEDaSL_SM_EUlSL_E0_NS1_11comp_targetILNS1_3genE4ELNS1_11target_archE910ELNS1_3gpuE8ELNS1_3repE0EEENS1_30default_config_static_selectorELNS0_4arch9wavefront6targetE1EEEvT1_
; %bb.0:
	s_load_dwordx4 s[20:23], s[4:5], 0x0
	v_lshlrev_b32_e32 v20, 2, v0
	s_waitcnt lgkmcnt(0)
	s_load_dword s23, s[20:21], 0x0
	v_cmp_gt_u32_e32 vcc, s22, v0
	s_waitcnt lgkmcnt(0)
	v_mov_b32_e32 v1, s23
	s_and_saveexec_b64 s[0:1], vcc
	s_cbranch_execz .LBB96_2
; %bb.1:
	global_load_dword v1, v20, s[20:21]
.LBB96_2:
	s_or_b64 exec, exec, s[0:1]
	v_or_b32_e32 v2, 0x80, v0
	v_cmp_gt_u32_e64 s[0:1], s22, v2
	v_mov_b32_e32 v2, s23
	s_and_saveexec_b64 s[2:3], s[0:1]
	s_cbranch_execz .LBB96_4
; %bb.3:
	global_load_dword v2, v20, s[20:21] offset:512
.LBB96_4:
	s_or_b64 exec, exec, s[2:3]
	v_or_b32_e32 v3, 0x100, v0
	v_cmp_gt_u32_e64 s[2:3], s22, v3
	v_mov_b32_e32 v3, s23
	s_and_saveexec_b64 s[6:7], s[2:3]
	s_cbranch_execz .LBB96_6
; %bb.5:
	global_load_dword v3, v20, s[20:21] offset:1024
.LBB96_6:
	;; [unrolled: 9-line block ×7, first 2 shown]
	s_or_b64 exec, exec, s[14:15]
	v_or_b32_e32 v10, 0x400, v0
	v_cmp_gt_u32_e64 s[14:15], s22, v10
	v_mov_b32_e32 v9, s23
	s_and_saveexec_b64 s[16:17], s[14:15]
	s_cbranch_execz .LBB96_18
; %bb.17:
	v_lshlrev_b32_e32 v9, 2, v10
	global_load_dword v9, v9, s[20:21]
.LBB96_18:
	s_or_b64 exec, exec, s[16:17]
	v_or_b32_e32 v11, 0x480, v0
	v_cmp_gt_u32_e64 s[16:17], s22, v11
	v_mov_b32_e32 v10, s23
	s_and_saveexec_b64 s[22:23], s[16:17]
	s_cbranch_execz .LBB96_20
; %bb.19:
	v_lshlrev_b32_e32 v10, 2, v11
	global_load_dword v10, v10, s[20:21]
.LBB96_20:
	s_or_b64 exec, exec, s[22:23]
	s_waitcnt vmcnt(0)
	ds_write2st64_b32 v20, v1, v2 offset1:2
	ds_write2st64_b32 v20, v3, v4 offset0:4 offset1:6
	ds_write2st64_b32 v20, v5, v6 offset0:8 offset1:10
	;; [unrolled: 1-line block ×4, first 2 shown]
	v_mad_u32_u24 v1, v0, 36, v20
	s_waitcnt lgkmcnt(0)
	s_barrier
	ds_read2_b64 v[6:9], v1 offset1:1
	ds_read2_b64 v[2:5], v1 offset0:2 offset1:3
	ds_read_b64 v[18:19], v1 offset:32
	v_lshrrev_b32_e32 v21, 3, v0
	v_and_b32_e32 v21, 12, v21
	s_waitcnt lgkmcnt(2)
	v_add_u32_e32 v1, v7, v6
	v_add_u32_e32 v14, v1, v8
	;; [unrolled: 1-line block ×3, first 2 shown]
	s_waitcnt lgkmcnt(1)
	v_add_u32_e32 v10, v15, v2
	v_add_u32_e32 v11, v10, v3
	;; [unrolled: 1-line block ×4, first 2 shown]
	s_waitcnt lgkmcnt(0)
	v_add_u32_e32 v16, v13, v18
	v_add_u32_e32 v17, v16, v19
	;; [unrolled: 1-line block ×3, first 2 shown]
	v_cmp_gt_u32_e64 s[20:21], 64, v0
	s_barrier
	ds_write_b32 v21, v17
	s_waitcnt lgkmcnt(0)
	s_barrier
	s_and_saveexec_b64 s[22:23], s[20:21]
	s_cbranch_execz .LBB96_22
; %bb.21:
	v_lshlrev_b32_e32 v21, 1, v0
	v_lshrrev_b32_e32 v22, 4, v0
	v_add_lshl_u32 v21, v22, v21, 2
	ds_read2_b32 v[22:23], v21 offset1:1
	v_mbcnt_lo_u32_b32 v24, -1, 0
	v_mbcnt_hi_u32_b32 v24, -1, v24
	v_and_b32_e32 v25, 15, v24
	v_cmp_ne_u32_e64 s[20:21], 0, v25
	s_waitcnt lgkmcnt(0)
	v_add_u32_e32 v23, v23, v22
	; wave barrier
	s_nop 1
	v_mov_b32_dpp v26, v23 row_shr:1 row_mask:0xf bank_mask:0xf
	v_cndmask_b32_e64 v26, 0, v26, s[20:21]
	v_add_u32_e32 v23, v26, v23
	v_cmp_lt_u32_e64 s[20:21], 1, v25
	s_nop 0
	v_mov_b32_dpp v26, v23 row_shr:2 row_mask:0xf bank_mask:0xf
	v_cndmask_b32_e64 v26, 0, v26, s[20:21]
	v_add_u32_e32 v23, v23, v26
	v_cmp_lt_u32_e64 s[20:21], 3, v25
	;; [unrolled: 5-line block ×3, first 2 shown]
	s_nop 0
	v_mov_b32_dpp v26, v23 row_shr:8 row_mask:0xf bank_mask:0xf
	v_cndmask_b32_e64 v25, 0, v26, s[20:21]
	v_add_u32_e32 v23, v23, v25
	v_bfe_i32 v26, v24, 4, 1
	v_cmp_lt_u32_e64 s[20:21], 31, v24
	v_mov_b32_dpp v25, v23 row_bcast:15 row_mask:0xf bank_mask:0xf
	v_and_b32_e32 v25, v26, v25
	v_add_u32_e32 v23, v23, v25
	v_and_b32_e32 v26, 64, v24
	s_nop 0
	v_mov_b32_dpp v25, v23 row_bcast:31 row_mask:0xf bank_mask:0xf
	v_cndmask_b32_e64 v25, 0, v25, s[20:21]
	v_add_u32_e32 v23, v23, v25
	v_add_u32_e32 v25, -1, v24
	v_cmp_lt_i32_e64 s[20:21], v25, v26
	v_cndmask_b32_e64 v24, v25, v24, s[20:21]
	v_lshlrev_b32_e32 v24, 2, v24
	ds_bpermute_b32 v23, v24, v23
	v_cmp_eq_u32_e64 s[20:21], 0, v0
	s_waitcnt lgkmcnt(0)
	v_add_u32_e32 v22, v23, v22
	v_cndmask_b32_e64 v22, v22, v17, s[20:21]
	ds_write_b32 v21, v22
	; wave barrier
	ds_read_b32 v23, v21 offset:4
	s_waitcnt lgkmcnt(0)
	v_add_u32_e32 v22, v23, v22
	ds_write_b32 v21, v22 offset:4
.LBB96_22:
	s_or_b64 exec, exec, s[22:23]
	s_load_dwordx2 s[20:21], s[4:5], 0x18
	v_cmp_ne_u32_e64 s[4:5], 0, v0
	v_mov_b32_e32 v22, v17
	s_waitcnt lgkmcnt(0)
	s_barrier
	s_and_saveexec_b64 s[22:23], s[4:5]
	s_cbranch_execz .LBB96_24
; %bb.23:
	v_add_u32_e32 v21, -1, v0
	v_lshrrev_b32_e32 v22, 5, v21
	v_add_lshl_u32 v21, v22, v21, 2
	ds_read_b32 v22, v21
.LBB96_24:
	s_or_b64 exec, exec, s[22:23]
	v_mul_u32_u24_e32 v21, 36, v0
	v_mov_b32_e32 v0, v6
	s_and_saveexec_b64 s[22:23], s[4:5]
	s_cbranch_execz .LBB96_26
; %bb.25:
	s_waitcnt lgkmcnt(0)
	v_add_u32_e32 v0, v22, v6
	v_add_u32_e32 v1, v0, v7
	;; [unrolled: 1-line block ×10, first 2 shown]
	;;#ASMSTART
	;;#ASMEND
.LBB96_26:
	s_or_b64 exec, exec, s[22:23]
	v_add_u32_e32 v2, v20, v21
	s_waitcnt lgkmcnt(0)
	s_barrier
	ds_write2_b64 v2, v[0:1], v[14:15] offset1:1
	ds_write2_b64 v2, v[10:11], v[12:13] offset0:2 offset1:3
	ds_write_b64 v2, v[16:17] offset:32
	s_waitcnt lgkmcnt(0)
	s_barrier
	ds_read2st64_b32 v[8:9], v20 offset0:2 offset1:4
	ds_read2st64_b32 v[6:7], v20 offset0:6 offset1:8
	ds_read2st64_b32 v[4:5], v20 offset0:10 offset1:12
	ds_read2st64_b32 v[2:3], v20 offset0:14 offset1:16
	ds_read_b32 v10, v20 offset:4608
	v_mov_b32_e32 v1, s21
	v_add_co_u32_e64 v0, s[4:5], s20, v20
	v_addc_co_u32_e64 v1, s[4:5], 0, v1, s[4:5]
	s_and_saveexec_b64 s[4:5], vcc
	s_cbranch_execnz .LBB96_37
; %bb.27:
	s_or_b64 exec, exec, s[4:5]
	s_and_saveexec_b64 s[4:5], s[0:1]
	s_cbranch_execnz .LBB96_38
.LBB96_28:
	s_or_b64 exec, exec, s[4:5]
	s_and_saveexec_b64 s[0:1], s[2:3]
	s_cbranch_execnz .LBB96_39
.LBB96_29:
	s_or_b64 exec, exec, s[0:1]
	s_and_saveexec_b64 s[0:1], s[18:19]
	s_cbranch_execnz .LBB96_40
.LBB96_30:
	s_or_b64 exec, exec, s[0:1]
	s_and_saveexec_b64 s[0:1], s[6:7]
	s_cbranch_execnz .LBB96_41
.LBB96_31:
	s_or_b64 exec, exec, s[0:1]
	s_and_saveexec_b64 s[0:1], s[8:9]
	s_cbranch_execnz .LBB96_42
.LBB96_32:
	s_or_b64 exec, exec, s[0:1]
	s_and_saveexec_b64 s[0:1], s[10:11]
	s_cbranch_execnz .LBB96_43
.LBB96_33:
	s_or_b64 exec, exec, s[0:1]
	s_and_saveexec_b64 s[0:1], s[12:13]
	s_cbranch_execnz .LBB96_44
.LBB96_34:
	s_or_b64 exec, exec, s[0:1]
	s_and_saveexec_b64 s[0:1], s[14:15]
	s_cbranch_execnz .LBB96_45
.LBB96_35:
	s_or_b64 exec, exec, s[0:1]
	s_and_saveexec_b64 s[0:1], s[16:17]
	s_cbranch_execnz .LBB96_46
.LBB96_36:
	s_endpgm
.LBB96_37:
	ds_read_b32 v11, v20
	s_waitcnt lgkmcnt(0)
	global_store_dword v[0:1], v11, off
	s_or_b64 exec, exec, s[4:5]
	s_and_saveexec_b64 s[4:5], s[0:1]
	s_cbranch_execz .LBB96_28
.LBB96_38:
	s_waitcnt lgkmcnt(4)
	global_store_dword v[0:1], v8, off offset:512
	s_or_b64 exec, exec, s[4:5]
	s_and_saveexec_b64 s[0:1], s[2:3]
	s_cbranch_execz .LBB96_29
.LBB96_39:
	s_waitcnt lgkmcnt(4)
	global_store_dword v[0:1], v9, off offset:1024
	s_or_b64 exec, exec, s[0:1]
	s_and_saveexec_b64 s[0:1], s[18:19]
	s_cbranch_execz .LBB96_30
.LBB96_40:
	s_waitcnt lgkmcnt(3)
	global_store_dword v[0:1], v6, off offset:1536
	s_or_b64 exec, exec, s[0:1]
	s_and_saveexec_b64 s[0:1], s[6:7]
	s_cbranch_execz .LBB96_31
.LBB96_41:
	s_waitcnt lgkmcnt(3)
	global_store_dword v[0:1], v7, off offset:2048
	s_or_b64 exec, exec, s[0:1]
	s_and_saveexec_b64 s[0:1], s[8:9]
	s_cbranch_execz .LBB96_32
.LBB96_42:
	s_waitcnt lgkmcnt(2)
	global_store_dword v[0:1], v4, off offset:2560
	s_or_b64 exec, exec, s[0:1]
	s_and_saveexec_b64 s[0:1], s[10:11]
	s_cbranch_execz .LBB96_33
.LBB96_43:
	s_waitcnt lgkmcnt(2)
	global_store_dword v[0:1], v5, off offset:3072
	s_or_b64 exec, exec, s[0:1]
	s_and_saveexec_b64 s[0:1], s[12:13]
	s_cbranch_execz .LBB96_34
.LBB96_44:
	s_waitcnt lgkmcnt(1)
	global_store_dword v[0:1], v2, off offset:3584
	s_or_b64 exec, exec, s[0:1]
	s_and_saveexec_b64 s[0:1], s[14:15]
	s_cbranch_execz .LBB96_35
.LBB96_45:
	s_waitcnt lgkmcnt(2)
	v_add_co_u32_e32 v4, vcc, 0x1000, v0
	v_addc_co_u32_e32 v5, vcc, 0, v1, vcc
	s_waitcnt lgkmcnt(1)
	global_store_dword v[4:5], v3, off
	s_or_b64 exec, exec, s[0:1]
	s_and_saveexec_b64 s[0:1], s[16:17]
	s_cbranch_execz .LBB96_36
.LBB96_46:
	v_add_co_u32_e32 v0, vcc, 0x1000, v0
	v_addc_co_u32_e32 v1, vcc, 0, v1, vcc
	s_waitcnt lgkmcnt(0)
	global_store_dword v[0:1], v10, off offset:512
	s_endpgm
	.section	.rodata,"a",@progbits
	.p2align	6, 0x0
	.amdhsa_kernel _ZN7rocprim17ROCPRIM_400000_NS6detail17trampoline_kernelINS0_14default_configENS1_20scan_config_selectorIiEEZZNS1_9scan_implILNS1_25lookback_scan_determinismE0ELb0ELb0ES3_PiS8_iN6thrust23THRUST_200600_302600_NS4plusIvEEiEEDaPvRmT3_T4_T5_mT6_P12ihipStream_tbENKUlT_T0_E_clISt17integral_constantIbLb0EESP_IbLb1EEEEDaSL_SM_EUlSL_E0_NS1_11comp_targetILNS1_3genE4ELNS1_11target_archE910ELNS1_3gpuE8ELNS1_3repE0EEENS1_30default_config_static_selectorELNS0_4arch9wavefront6targetE1EEEvT1_
		.amdhsa_group_segment_fixed_size 5120
		.amdhsa_private_segment_fixed_size 0
		.amdhsa_kernarg_size 32
		.amdhsa_user_sgpr_count 6
		.amdhsa_user_sgpr_private_segment_buffer 1
		.amdhsa_user_sgpr_dispatch_ptr 0
		.amdhsa_user_sgpr_queue_ptr 0
		.amdhsa_user_sgpr_kernarg_segment_ptr 1
		.amdhsa_user_sgpr_dispatch_id 0
		.amdhsa_user_sgpr_flat_scratch_init 0
		.amdhsa_user_sgpr_kernarg_preload_length 0
		.amdhsa_user_sgpr_kernarg_preload_offset 0
		.amdhsa_user_sgpr_private_segment_size 0
		.amdhsa_uses_dynamic_stack 0
		.amdhsa_system_sgpr_private_segment_wavefront_offset 0
		.amdhsa_system_sgpr_workgroup_id_x 1
		.amdhsa_system_sgpr_workgroup_id_y 0
		.amdhsa_system_sgpr_workgroup_id_z 0
		.amdhsa_system_sgpr_workgroup_info 0
		.amdhsa_system_vgpr_workitem_id 0
		.amdhsa_next_free_vgpr 27
		.amdhsa_next_free_sgpr 24
		.amdhsa_accum_offset 28
		.amdhsa_reserve_vcc 1
		.amdhsa_reserve_flat_scratch 0
		.amdhsa_float_round_mode_32 0
		.amdhsa_float_round_mode_16_64 0
		.amdhsa_float_denorm_mode_32 3
		.amdhsa_float_denorm_mode_16_64 3
		.amdhsa_dx10_clamp 1
		.amdhsa_ieee_mode 1
		.amdhsa_fp16_overflow 0
		.amdhsa_tg_split 0
		.amdhsa_exception_fp_ieee_invalid_op 0
		.amdhsa_exception_fp_denorm_src 0
		.amdhsa_exception_fp_ieee_div_zero 0
		.amdhsa_exception_fp_ieee_overflow 0
		.amdhsa_exception_fp_ieee_underflow 0
		.amdhsa_exception_fp_ieee_inexact 0
		.amdhsa_exception_int_div_zero 0
	.end_amdhsa_kernel
	.section	.text._ZN7rocprim17ROCPRIM_400000_NS6detail17trampoline_kernelINS0_14default_configENS1_20scan_config_selectorIiEEZZNS1_9scan_implILNS1_25lookback_scan_determinismE0ELb0ELb0ES3_PiS8_iN6thrust23THRUST_200600_302600_NS4plusIvEEiEEDaPvRmT3_T4_T5_mT6_P12ihipStream_tbENKUlT_T0_E_clISt17integral_constantIbLb0EESP_IbLb1EEEEDaSL_SM_EUlSL_E0_NS1_11comp_targetILNS1_3genE4ELNS1_11target_archE910ELNS1_3gpuE8ELNS1_3repE0EEENS1_30default_config_static_selectorELNS0_4arch9wavefront6targetE1EEEvT1_,"axG",@progbits,_ZN7rocprim17ROCPRIM_400000_NS6detail17trampoline_kernelINS0_14default_configENS1_20scan_config_selectorIiEEZZNS1_9scan_implILNS1_25lookback_scan_determinismE0ELb0ELb0ES3_PiS8_iN6thrust23THRUST_200600_302600_NS4plusIvEEiEEDaPvRmT3_T4_T5_mT6_P12ihipStream_tbENKUlT_T0_E_clISt17integral_constantIbLb0EESP_IbLb1EEEEDaSL_SM_EUlSL_E0_NS1_11comp_targetILNS1_3genE4ELNS1_11target_archE910ELNS1_3gpuE8ELNS1_3repE0EEENS1_30default_config_static_selectorELNS0_4arch9wavefront6targetE1EEEvT1_,comdat
.Lfunc_end96:
	.size	_ZN7rocprim17ROCPRIM_400000_NS6detail17trampoline_kernelINS0_14default_configENS1_20scan_config_selectorIiEEZZNS1_9scan_implILNS1_25lookback_scan_determinismE0ELb0ELb0ES3_PiS8_iN6thrust23THRUST_200600_302600_NS4plusIvEEiEEDaPvRmT3_T4_T5_mT6_P12ihipStream_tbENKUlT_T0_E_clISt17integral_constantIbLb0EESP_IbLb1EEEEDaSL_SM_EUlSL_E0_NS1_11comp_targetILNS1_3genE4ELNS1_11target_archE910ELNS1_3gpuE8ELNS1_3repE0EEENS1_30default_config_static_selectorELNS0_4arch9wavefront6targetE1EEEvT1_, .Lfunc_end96-_ZN7rocprim17ROCPRIM_400000_NS6detail17trampoline_kernelINS0_14default_configENS1_20scan_config_selectorIiEEZZNS1_9scan_implILNS1_25lookback_scan_determinismE0ELb0ELb0ES3_PiS8_iN6thrust23THRUST_200600_302600_NS4plusIvEEiEEDaPvRmT3_T4_T5_mT6_P12ihipStream_tbENKUlT_T0_E_clISt17integral_constantIbLb0EESP_IbLb1EEEEDaSL_SM_EUlSL_E0_NS1_11comp_targetILNS1_3genE4ELNS1_11target_archE910ELNS1_3gpuE8ELNS1_3repE0EEENS1_30default_config_static_selectorELNS0_4arch9wavefront6targetE1EEEvT1_
                                        ; -- End function
	.section	.AMDGPU.csdata,"",@progbits
; Kernel info:
; codeLenInByte = 1556
; NumSgprs: 28
; NumVgprs: 27
; NumAgprs: 0
; TotalNumVgprs: 27
; ScratchSize: 0
; MemoryBound: 0
; FloatMode: 240
; IeeeMode: 1
; LDSByteSize: 5120 bytes/workgroup (compile time only)
; SGPRBlocks: 3
; VGPRBlocks: 3
; NumSGPRsForWavesPerEU: 28
; NumVGPRsForWavesPerEU: 27
; AccumOffset: 28
; Occupancy: 6
; WaveLimiterHint : 0
; COMPUTE_PGM_RSRC2:SCRATCH_EN: 0
; COMPUTE_PGM_RSRC2:USER_SGPR: 6
; COMPUTE_PGM_RSRC2:TRAP_HANDLER: 0
; COMPUTE_PGM_RSRC2:TGID_X_EN: 1
; COMPUTE_PGM_RSRC2:TGID_Y_EN: 0
; COMPUTE_PGM_RSRC2:TGID_Z_EN: 0
; COMPUTE_PGM_RSRC2:TIDIG_COMP_CNT: 0
; COMPUTE_PGM_RSRC3_GFX90A:ACCUM_OFFSET: 6
; COMPUTE_PGM_RSRC3_GFX90A:TG_SPLIT: 0
	.section	.text._ZN7rocprim17ROCPRIM_400000_NS6detail17trampoline_kernelINS0_14default_configENS1_20scan_config_selectorIiEEZZNS1_9scan_implILNS1_25lookback_scan_determinismE0ELb0ELb0ES3_PiS8_iN6thrust23THRUST_200600_302600_NS4plusIvEEiEEDaPvRmT3_T4_T5_mT6_P12ihipStream_tbENKUlT_T0_E_clISt17integral_constantIbLb0EESP_IbLb1EEEEDaSL_SM_EUlSL_E0_NS1_11comp_targetILNS1_3genE3ELNS1_11target_archE908ELNS1_3gpuE7ELNS1_3repE0EEENS1_30default_config_static_selectorELNS0_4arch9wavefront6targetE1EEEvT1_,"axG",@progbits,_ZN7rocprim17ROCPRIM_400000_NS6detail17trampoline_kernelINS0_14default_configENS1_20scan_config_selectorIiEEZZNS1_9scan_implILNS1_25lookback_scan_determinismE0ELb0ELb0ES3_PiS8_iN6thrust23THRUST_200600_302600_NS4plusIvEEiEEDaPvRmT3_T4_T5_mT6_P12ihipStream_tbENKUlT_T0_E_clISt17integral_constantIbLb0EESP_IbLb1EEEEDaSL_SM_EUlSL_E0_NS1_11comp_targetILNS1_3genE3ELNS1_11target_archE908ELNS1_3gpuE7ELNS1_3repE0EEENS1_30default_config_static_selectorELNS0_4arch9wavefront6targetE1EEEvT1_,comdat
	.protected	_ZN7rocprim17ROCPRIM_400000_NS6detail17trampoline_kernelINS0_14default_configENS1_20scan_config_selectorIiEEZZNS1_9scan_implILNS1_25lookback_scan_determinismE0ELb0ELb0ES3_PiS8_iN6thrust23THRUST_200600_302600_NS4plusIvEEiEEDaPvRmT3_T4_T5_mT6_P12ihipStream_tbENKUlT_T0_E_clISt17integral_constantIbLb0EESP_IbLb1EEEEDaSL_SM_EUlSL_E0_NS1_11comp_targetILNS1_3genE3ELNS1_11target_archE908ELNS1_3gpuE7ELNS1_3repE0EEENS1_30default_config_static_selectorELNS0_4arch9wavefront6targetE1EEEvT1_ ; -- Begin function _ZN7rocprim17ROCPRIM_400000_NS6detail17trampoline_kernelINS0_14default_configENS1_20scan_config_selectorIiEEZZNS1_9scan_implILNS1_25lookback_scan_determinismE0ELb0ELb0ES3_PiS8_iN6thrust23THRUST_200600_302600_NS4plusIvEEiEEDaPvRmT3_T4_T5_mT6_P12ihipStream_tbENKUlT_T0_E_clISt17integral_constantIbLb0EESP_IbLb1EEEEDaSL_SM_EUlSL_E0_NS1_11comp_targetILNS1_3genE3ELNS1_11target_archE908ELNS1_3gpuE7ELNS1_3repE0EEENS1_30default_config_static_selectorELNS0_4arch9wavefront6targetE1EEEvT1_
	.globl	_ZN7rocprim17ROCPRIM_400000_NS6detail17trampoline_kernelINS0_14default_configENS1_20scan_config_selectorIiEEZZNS1_9scan_implILNS1_25lookback_scan_determinismE0ELb0ELb0ES3_PiS8_iN6thrust23THRUST_200600_302600_NS4plusIvEEiEEDaPvRmT3_T4_T5_mT6_P12ihipStream_tbENKUlT_T0_E_clISt17integral_constantIbLb0EESP_IbLb1EEEEDaSL_SM_EUlSL_E0_NS1_11comp_targetILNS1_3genE3ELNS1_11target_archE908ELNS1_3gpuE7ELNS1_3repE0EEENS1_30default_config_static_selectorELNS0_4arch9wavefront6targetE1EEEvT1_
	.p2align	8
	.type	_ZN7rocprim17ROCPRIM_400000_NS6detail17trampoline_kernelINS0_14default_configENS1_20scan_config_selectorIiEEZZNS1_9scan_implILNS1_25lookback_scan_determinismE0ELb0ELb0ES3_PiS8_iN6thrust23THRUST_200600_302600_NS4plusIvEEiEEDaPvRmT3_T4_T5_mT6_P12ihipStream_tbENKUlT_T0_E_clISt17integral_constantIbLb0EESP_IbLb1EEEEDaSL_SM_EUlSL_E0_NS1_11comp_targetILNS1_3genE3ELNS1_11target_archE908ELNS1_3gpuE7ELNS1_3repE0EEENS1_30default_config_static_selectorELNS0_4arch9wavefront6targetE1EEEvT1_,@function
_ZN7rocprim17ROCPRIM_400000_NS6detail17trampoline_kernelINS0_14default_configENS1_20scan_config_selectorIiEEZZNS1_9scan_implILNS1_25lookback_scan_determinismE0ELb0ELb0ES3_PiS8_iN6thrust23THRUST_200600_302600_NS4plusIvEEiEEDaPvRmT3_T4_T5_mT6_P12ihipStream_tbENKUlT_T0_E_clISt17integral_constantIbLb0EESP_IbLb1EEEEDaSL_SM_EUlSL_E0_NS1_11comp_targetILNS1_3genE3ELNS1_11target_archE908ELNS1_3gpuE7ELNS1_3repE0EEENS1_30default_config_static_selectorELNS0_4arch9wavefront6targetE1EEEvT1_: ; @_ZN7rocprim17ROCPRIM_400000_NS6detail17trampoline_kernelINS0_14default_configENS1_20scan_config_selectorIiEEZZNS1_9scan_implILNS1_25lookback_scan_determinismE0ELb0ELb0ES3_PiS8_iN6thrust23THRUST_200600_302600_NS4plusIvEEiEEDaPvRmT3_T4_T5_mT6_P12ihipStream_tbENKUlT_T0_E_clISt17integral_constantIbLb0EESP_IbLb1EEEEDaSL_SM_EUlSL_E0_NS1_11comp_targetILNS1_3genE3ELNS1_11target_archE908ELNS1_3gpuE7ELNS1_3repE0EEENS1_30default_config_static_selectorELNS0_4arch9wavefront6targetE1EEEvT1_
; %bb.0:
	.section	.rodata,"a",@progbits
	.p2align	6, 0x0
	.amdhsa_kernel _ZN7rocprim17ROCPRIM_400000_NS6detail17trampoline_kernelINS0_14default_configENS1_20scan_config_selectorIiEEZZNS1_9scan_implILNS1_25lookback_scan_determinismE0ELb0ELb0ES3_PiS8_iN6thrust23THRUST_200600_302600_NS4plusIvEEiEEDaPvRmT3_T4_T5_mT6_P12ihipStream_tbENKUlT_T0_E_clISt17integral_constantIbLb0EESP_IbLb1EEEEDaSL_SM_EUlSL_E0_NS1_11comp_targetILNS1_3genE3ELNS1_11target_archE908ELNS1_3gpuE7ELNS1_3repE0EEENS1_30default_config_static_selectorELNS0_4arch9wavefront6targetE1EEEvT1_
		.amdhsa_group_segment_fixed_size 0
		.amdhsa_private_segment_fixed_size 0
		.amdhsa_kernarg_size 32
		.amdhsa_user_sgpr_count 6
		.amdhsa_user_sgpr_private_segment_buffer 1
		.amdhsa_user_sgpr_dispatch_ptr 0
		.amdhsa_user_sgpr_queue_ptr 0
		.amdhsa_user_sgpr_kernarg_segment_ptr 1
		.amdhsa_user_sgpr_dispatch_id 0
		.amdhsa_user_sgpr_flat_scratch_init 0
		.amdhsa_user_sgpr_kernarg_preload_length 0
		.amdhsa_user_sgpr_kernarg_preload_offset 0
		.amdhsa_user_sgpr_private_segment_size 0
		.amdhsa_uses_dynamic_stack 0
		.amdhsa_system_sgpr_private_segment_wavefront_offset 0
		.amdhsa_system_sgpr_workgroup_id_x 1
		.amdhsa_system_sgpr_workgroup_id_y 0
		.amdhsa_system_sgpr_workgroup_id_z 0
		.amdhsa_system_sgpr_workgroup_info 0
		.amdhsa_system_vgpr_workitem_id 0
		.amdhsa_next_free_vgpr 1
		.amdhsa_next_free_sgpr 0
		.amdhsa_accum_offset 4
		.amdhsa_reserve_vcc 0
		.amdhsa_reserve_flat_scratch 0
		.amdhsa_float_round_mode_32 0
		.amdhsa_float_round_mode_16_64 0
		.amdhsa_float_denorm_mode_32 3
		.amdhsa_float_denorm_mode_16_64 3
		.amdhsa_dx10_clamp 1
		.amdhsa_ieee_mode 1
		.amdhsa_fp16_overflow 0
		.amdhsa_tg_split 0
		.amdhsa_exception_fp_ieee_invalid_op 0
		.amdhsa_exception_fp_denorm_src 0
		.amdhsa_exception_fp_ieee_div_zero 0
		.amdhsa_exception_fp_ieee_overflow 0
		.amdhsa_exception_fp_ieee_underflow 0
		.amdhsa_exception_fp_ieee_inexact 0
		.amdhsa_exception_int_div_zero 0
	.end_amdhsa_kernel
	.section	.text._ZN7rocprim17ROCPRIM_400000_NS6detail17trampoline_kernelINS0_14default_configENS1_20scan_config_selectorIiEEZZNS1_9scan_implILNS1_25lookback_scan_determinismE0ELb0ELb0ES3_PiS8_iN6thrust23THRUST_200600_302600_NS4plusIvEEiEEDaPvRmT3_T4_T5_mT6_P12ihipStream_tbENKUlT_T0_E_clISt17integral_constantIbLb0EESP_IbLb1EEEEDaSL_SM_EUlSL_E0_NS1_11comp_targetILNS1_3genE3ELNS1_11target_archE908ELNS1_3gpuE7ELNS1_3repE0EEENS1_30default_config_static_selectorELNS0_4arch9wavefront6targetE1EEEvT1_,"axG",@progbits,_ZN7rocprim17ROCPRIM_400000_NS6detail17trampoline_kernelINS0_14default_configENS1_20scan_config_selectorIiEEZZNS1_9scan_implILNS1_25lookback_scan_determinismE0ELb0ELb0ES3_PiS8_iN6thrust23THRUST_200600_302600_NS4plusIvEEiEEDaPvRmT3_T4_T5_mT6_P12ihipStream_tbENKUlT_T0_E_clISt17integral_constantIbLb0EESP_IbLb1EEEEDaSL_SM_EUlSL_E0_NS1_11comp_targetILNS1_3genE3ELNS1_11target_archE908ELNS1_3gpuE7ELNS1_3repE0EEENS1_30default_config_static_selectorELNS0_4arch9wavefront6targetE1EEEvT1_,comdat
.Lfunc_end97:
	.size	_ZN7rocprim17ROCPRIM_400000_NS6detail17trampoline_kernelINS0_14default_configENS1_20scan_config_selectorIiEEZZNS1_9scan_implILNS1_25lookback_scan_determinismE0ELb0ELb0ES3_PiS8_iN6thrust23THRUST_200600_302600_NS4plusIvEEiEEDaPvRmT3_T4_T5_mT6_P12ihipStream_tbENKUlT_T0_E_clISt17integral_constantIbLb0EESP_IbLb1EEEEDaSL_SM_EUlSL_E0_NS1_11comp_targetILNS1_3genE3ELNS1_11target_archE908ELNS1_3gpuE7ELNS1_3repE0EEENS1_30default_config_static_selectorELNS0_4arch9wavefront6targetE1EEEvT1_, .Lfunc_end97-_ZN7rocprim17ROCPRIM_400000_NS6detail17trampoline_kernelINS0_14default_configENS1_20scan_config_selectorIiEEZZNS1_9scan_implILNS1_25lookback_scan_determinismE0ELb0ELb0ES3_PiS8_iN6thrust23THRUST_200600_302600_NS4plusIvEEiEEDaPvRmT3_T4_T5_mT6_P12ihipStream_tbENKUlT_T0_E_clISt17integral_constantIbLb0EESP_IbLb1EEEEDaSL_SM_EUlSL_E0_NS1_11comp_targetILNS1_3genE3ELNS1_11target_archE908ELNS1_3gpuE7ELNS1_3repE0EEENS1_30default_config_static_selectorELNS0_4arch9wavefront6targetE1EEEvT1_
                                        ; -- End function
	.section	.AMDGPU.csdata,"",@progbits
; Kernel info:
; codeLenInByte = 0
; NumSgprs: 4
; NumVgprs: 0
; NumAgprs: 0
; TotalNumVgprs: 0
; ScratchSize: 0
; MemoryBound: 0
; FloatMode: 240
; IeeeMode: 1
; LDSByteSize: 0 bytes/workgroup (compile time only)
; SGPRBlocks: 0
; VGPRBlocks: 0
; NumSGPRsForWavesPerEU: 4
; NumVGPRsForWavesPerEU: 1
; AccumOffset: 4
; Occupancy: 8
; WaveLimiterHint : 0
; COMPUTE_PGM_RSRC2:SCRATCH_EN: 0
; COMPUTE_PGM_RSRC2:USER_SGPR: 6
; COMPUTE_PGM_RSRC2:TRAP_HANDLER: 0
; COMPUTE_PGM_RSRC2:TGID_X_EN: 1
; COMPUTE_PGM_RSRC2:TGID_Y_EN: 0
; COMPUTE_PGM_RSRC2:TGID_Z_EN: 0
; COMPUTE_PGM_RSRC2:TIDIG_COMP_CNT: 0
; COMPUTE_PGM_RSRC3_GFX90A:ACCUM_OFFSET: 0
; COMPUTE_PGM_RSRC3_GFX90A:TG_SPLIT: 0
	.section	.text._ZN7rocprim17ROCPRIM_400000_NS6detail17trampoline_kernelINS0_14default_configENS1_20scan_config_selectorIiEEZZNS1_9scan_implILNS1_25lookback_scan_determinismE0ELb0ELb0ES3_PiS8_iN6thrust23THRUST_200600_302600_NS4plusIvEEiEEDaPvRmT3_T4_T5_mT6_P12ihipStream_tbENKUlT_T0_E_clISt17integral_constantIbLb0EESP_IbLb1EEEEDaSL_SM_EUlSL_E0_NS1_11comp_targetILNS1_3genE2ELNS1_11target_archE906ELNS1_3gpuE6ELNS1_3repE0EEENS1_30default_config_static_selectorELNS0_4arch9wavefront6targetE1EEEvT1_,"axG",@progbits,_ZN7rocprim17ROCPRIM_400000_NS6detail17trampoline_kernelINS0_14default_configENS1_20scan_config_selectorIiEEZZNS1_9scan_implILNS1_25lookback_scan_determinismE0ELb0ELb0ES3_PiS8_iN6thrust23THRUST_200600_302600_NS4plusIvEEiEEDaPvRmT3_T4_T5_mT6_P12ihipStream_tbENKUlT_T0_E_clISt17integral_constantIbLb0EESP_IbLb1EEEEDaSL_SM_EUlSL_E0_NS1_11comp_targetILNS1_3genE2ELNS1_11target_archE906ELNS1_3gpuE6ELNS1_3repE0EEENS1_30default_config_static_selectorELNS0_4arch9wavefront6targetE1EEEvT1_,comdat
	.protected	_ZN7rocprim17ROCPRIM_400000_NS6detail17trampoline_kernelINS0_14default_configENS1_20scan_config_selectorIiEEZZNS1_9scan_implILNS1_25lookback_scan_determinismE0ELb0ELb0ES3_PiS8_iN6thrust23THRUST_200600_302600_NS4plusIvEEiEEDaPvRmT3_T4_T5_mT6_P12ihipStream_tbENKUlT_T0_E_clISt17integral_constantIbLb0EESP_IbLb1EEEEDaSL_SM_EUlSL_E0_NS1_11comp_targetILNS1_3genE2ELNS1_11target_archE906ELNS1_3gpuE6ELNS1_3repE0EEENS1_30default_config_static_selectorELNS0_4arch9wavefront6targetE1EEEvT1_ ; -- Begin function _ZN7rocprim17ROCPRIM_400000_NS6detail17trampoline_kernelINS0_14default_configENS1_20scan_config_selectorIiEEZZNS1_9scan_implILNS1_25lookback_scan_determinismE0ELb0ELb0ES3_PiS8_iN6thrust23THRUST_200600_302600_NS4plusIvEEiEEDaPvRmT3_T4_T5_mT6_P12ihipStream_tbENKUlT_T0_E_clISt17integral_constantIbLb0EESP_IbLb1EEEEDaSL_SM_EUlSL_E0_NS1_11comp_targetILNS1_3genE2ELNS1_11target_archE906ELNS1_3gpuE6ELNS1_3repE0EEENS1_30default_config_static_selectorELNS0_4arch9wavefront6targetE1EEEvT1_
	.globl	_ZN7rocprim17ROCPRIM_400000_NS6detail17trampoline_kernelINS0_14default_configENS1_20scan_config_selectorIiEEZZNS1_9scan_implILNS1_25lookback_scan_determinismE0ELb0ELb0ES3_PiS8_iN6thrust23THRUST_200600_302600_NS4plusIvEEiEEDaPvRmT3_T4_T5_mT6_P12ihipStream_tbENKUlT_T0_E_clISt17integral_constantIbLb0EESP_IbLb1EEEEDaSL_SM_EUlSL_E0_NS1_11comp_targetILNS1_3genE2ELNS1_11target_archE906ELNS1_3gpuE6ELNS1_3repE0EEENS1_30default_config_static_selectorELNS0_4arch9wavefront6targetE1EEEvT1_
	.p2align	8
	.type	_ZN7rocprim17ROCPRIM_400000_NS6detail17trampoline_kernelINS0_14default_configENS1_20scan_config_selectorIiEEZZNS1_9scan_implILNS1_25lookback_scan_determinismE0ELb0ELb0ES3_PiS8_iN6thrust23THRUST_200600_302600_NS4plusIvEEiEEDaPvRmT3_T4_T5_mT6_P12ihipStream_tbENKUlT_T0_E_clISt17integral_constantIbLb0EESP_IbLb1EEEEDaSL_SM_EUlSL_E0_NS1_11comp_targetILNS1_3genE2ELNS1_11target_archE906ELNS1_3gpuE6ELNS1_3repE0EEENS1_30default_config_static_selectorELNS0_4arch9wavefront6targetE1EEEvT1_,@function
_ZN7rocprim17ROCPRIM_400000_NS6detail17trampoline_kernelINS0_14default_configENS1_20scan_config_selectorIiEEZZNS1_9scan_implILNS1_25lookback_scan_determinismE0ELb0ELb0ES3_PiS8_iN6thrust23THRUST_200600_302600_NS4plusIvEEiEEDaPvRmT3_T4_T5_mT6_P12ihipStream_tbENKUlT_T0_E_clISt17integral_constantIbLb0EESP_IbLb1EEEEDaSL_SM_EUlSL_E0_NS1_11comp_targetILNS1_3genE2ELNS1_11target_archE906ELNS1_3gpuE6ELNS1_3repE0EEENS1_30default_config_static_selectorELNS0_4arch9wavefront6targetE1EEEvT1_: ; @_ZN7rocprim17ROCPRIM_400000_NS6detail17trampoline_kernelINS0_14default_configENS1_20scan_config_selectorIiEEZZNS1_9scan_implILNS1_25lookback_scan_determinismE0ELb0ELb0ES3_PiS8_iN6thrust23THRUST_200600_302600_NS4plusIvEEiEEDaPvRmT3_T4_T5_mT6_P12ihipStream_tbENKUlT_T0_E_clISt17integral_constantIbLb0EESP_IbLb1EEEEDaSL_SM_EUlSL_E0_NS1_11comp_targetILNS1_3genE2ELNS1_11target_archE906ELNS1_3gpuE6ELNS1_3repE0EEENS1_30default_config_static_selectorELNS0_4arch9wavefront6targetE1EEEvT1_
; %bb.0:
	.section	.rodata,"a",@progbits
	.p2align	6, 0x0
	.amdhsa_kernel _ZN7rocprim17ROCPRIM_400000_NS6detail17trampoline_kernelINS0_14default_configENS1_20scan_config_selectorIiEEZZNS1_9scan_implILNS1_25lookback_scan_determinismE0ELb0ELb0ES3_PiS8_iN6thrust23THRUST_200600_302600_NS4plusIvEEiEEDaPvRmT3_T4_T5_mT6_P12ihipStream_tbENKUlT_T0_E_clISt17integral_constantIbLb0EESP_IbLb1EEEEDaSL_SM_EUlSL_E0_NS1_11comp_targetILNS1_3genE2ELNS1_11target_archE906ELNS1_3gpuE6ELNS1_3repE0EEENS1_30default_config_static_selectorELNS0_4arch9wavefront6targetE1EEEvT1_
		.amdhsa_group_segment_fixed_size 0
		.amdhsa_private_segment_fixed_size 0
		.amdhsa_kernarg_size 32
		.amdhsa_user_sgpr_count 6
		.amdhsa_user_sgpr_private_segment_buffer 1
		.amdhsa_user_sgpr_dispatch_ptr 0
		.amdhsa_user_sgpr_queue_ptr 0
		.amdhsa_user_sgpr_kernarg_segment_ptr 1
		.amdhsa_user_sgpr_dispatch_id 0
		.amdhsa_user_sgpr_flat_scratch_init 0
		.amdhsa_user_sgpr_kernarg_preload_length 0
		.amdhsa_user_sgpr_kernarg_preload_offset 0
		.amdhsa_user_sgpr_private_segment_size 0
		.amdhsa_uses_dynamic_stack 0
		.amdhsa_system_sgpr_private_segment_wavefront_offset 0
		.amdhsa_system_sgpr_workgroup_id_x 1
		.amdhsa_system_sgpr_workgroup_id_y 0
		.amdhsa_system_sgpr_workgroup_id_z 0
		.amdhsa_system_sgpr_workgroup_info 0
		.amdhsa_system_vgpr_workitem_id 0
		.amdhsa_next_free_vgpr 1
		.amdhsa_next_free_sgpr 0
		.amdhsa_accum_offset 4
		.amdhsa_reserve_vcc 0
		.amdhsa_reserve_flat_scratch 0
		.amdhsa_float_round_mode_32 0
		.amdhsa_float_round_mode_16_64 0
		.amdhsa_float_denorm_mode_32 3
		.amdhsa_float_denorm_mode_16_64 3
		.amdhsa_dx10_clamp 1
		.amdhsa_ieee_mode 1
		.amdhsa_fp16_overflow 0
		.amdhsa_tg_split 0
		.amdhsa_exception_fp_ieee_invalid_op 0
		.amdhsa_exception_fp_denorm_src 0
		.amdhsa_exception_fp_ieee_div_zero 0
		.amdhsa_exception_fp_ieee_overflow 0
		.amdhsa_exception_fp_ieee_underflow 0
		.amdhsa_exception_fp_ieee_inexact 0
		.amdhsa_exception_int_div_zero 0
	.end_amdhsa_kernel
	.section	.text._ZN7rocprim17ROCPRIM_400000_NS6detail17trampoline_kernelINS0_14default_configENS1_20scan_config_selectorIiEEZZNS1_9scan_implILNS1_25lookback_scan_determinismE0ELb0ELb0ES3_PiS8_iN6thrust23THRUST_200600_302600_NS4plusIvEEiEEDaPvRmT3_T4_T5_mT6_P12ihipStream_tbENKUlT_T0_E_clISt17integral_constantIbLb0EESP_IbLb1EEEEDaSL_SM_EUlSL_E0_NS1_11comp_targetILNS1_3genE2ELNS1_11target_archE906ELNS1_3gpuE6ELNS1_3repE0EEENS1_30default_config_static_selectorELNS0_4arch9wavefront6targetE1EEEvT1_,"axG",@progbits,_ZN7rocprim17ROCPRIM_400000_NS6detail17trampoline_kernelINS0_14default_configENS1_20scan_config_selectorIiEEZZNS1_9scan_implILNS1_25lookback_scan_determinismE0ELb0ELb0ES3_PiS8_iN6thrust23THRUST_200600_302600_NS4plusIvEEiEEDaPvRmT3_T4_T5_mT6_P12ihipStream_tbENKUlT_T0_E_clISt17integral_constantIbLb0EESP_IbLb1EEEEDaSL_SM_EUlSL_E0_NS1_11comp_targetILNS1_3genE2ELNS1_11target_archE906ELNS1_3gpuE6ELNS1_3repE0EEENS1_30default_config_static_selectorELNS0_4arch9wavefront6targetE1EEEvT1_,comdat
.Lfunc_end98:
	.size	_ZN7rocprim17ROCPRIM_400000_NS6detail17trampoline_kernelINS0_14default_configENS1_20scan_config_selectorIiEEZZNS1_9scan_implILNS1_25lookback_scan_determinismE0ELb0ELb0ES3_PiS8_iN6thrust23THRUST_200600_302600_NS4plusIvEEiEEDaPvRmT3_T4_T5_mT6_P12ihipStream_tbENKUlT_T0_E_clISt17integral_constantIbLb0EESP_IbLb1EEEEDaSL_SM_EUlSL_E0_NS1_11comp_targetILNS1_3genE2ELNS1_11target_archE906ELNS1_3gpuE6ELNS1_3repE0EEENS1_30default_config_static_selectorELNS0_4arch9wavefront6targetE1EEEvT1_, .Lfunc_end98-_ZN7rocprim17ROCPRIM_400000_NS6detail17trampoline_kernelINS0_14default_configENS1_20scan_config_selectorIiEEZZNS1_9scan_implILNS1_25lookback_scan_determinismE0ELb0ELb0ES3_PiS8_iN6thrust23THRUST_200600_302600_NS4plusIvEEiEEDaPvRmT3_T4_T5_mT6_P12ihipStream_tbENKUlT_T0_E_clISt17integral_constantIbLb0EESP_IbLb1EEEEDaSL_SM_EUlSL_E0_NS1_11comp_targetILNS1_3genE2ELNS1_11target_archE906ELNS1_3gpuE6ELNS1_3repE0EEENS1_30default_config_static_selectorELNS0_4arch9wavefront6targetE1EEEvT1_
                                        ; -- End function
	.section	.AMDGPU.csdata,"",@progbits
; Kernel info:
; codeLenInByte = 0
; NumSgprs: 4
; NumVgprs: 0
; NumAgprs: 0
; TotalNumVgprs: 0
; ScratchSize: 0
; MemoryBound: 0
; FloatMode: 240
; IeeeMode: 1
; LDSByteSize: 0 bytes/workgroup (compile time only)
; SGPRBlocks: 0
; VGPRBlocks: 0
; NumSGPRsForWavesPerEU: 4
; NumVGPRsForWavesPerEU: 1
; AccumOffset: 4
; Occupancy: 8
; WaveLimiterHint : 0
; COMPUTE_PGM_RSRC2:SCRATCH_EN: 0
; COMPUTE_PGM_RSRC2:USER_SGPR: 6
; COMPUTE_PGM_RSRC2:TRAP_HANDLER: 0
; COMPUTE_PGM_RSRC2:TGID_X_EN: 1
; COMPUTE_PGM_RSRC2:TGID_Y_EN: 0
; COMPUTE_PGM_RSRC2:TGID_Z_EN: 0
; COMPUTE_PGM_RSRC2:TIDIG_COMP_CNT: 0
; COMPUTE_PGM_RSRC3_GFX90A:ACCUM_OFFSET: 0
; COMPUTE_PGM_RSRC3_GFX90A:TG_SPLIT: 0
	.section	.text._ZN7rocprim17ROCPRIM_400000_NS6detail17trampoline_kernelINS0_14default_configENS1_20scan_config_selectorIiEEZZNS1_9scan_implILNS1_25lookback_scan_determinismE0ELb0ELb0ES3_PiS8_iN6thrust23THRUST_200600_302600_NS4plusIvEEiEEDaPvRmT3_T4_T5_mT6_P12ihipStream_tbENKUlT_T0_E_clISt17integral_constantIbLb0EESP_IbLb1EEEEDaSL_SM_EUlSL_E0_NS1_11comp_targetILNS1_3genE10ELNS1_11target_archE1201ELNS1_3gpuE5ELNS1_3repE0EEENS1_30default_config_static_selectorELNS0_4arch9wavefront6targetE1EEEvT1_,"axG",@progbits,_ZN7rocprim17ROCPRIM_400000_NS6detail17trampoline_kernelINS0_14default_configENS1_20scan_config_selectorIiEEZZNS1_9scan_implILNS1_25lookback_scan_determinismE0ELb0ELb0ES3_PiS8_iN6thrust23THRUST_200600_302600_NS4plusIvEEiEEDaPvRmT3_T4_T5_mT6_P12ihipStream_tbENKUlT_T0_E_clISt17integral_constantIbLb0EESP_IbLb1EEEEDaSL_SM_EUlSL_E0_NS1_11comp_targetILNS1_3genE10ELNS1_11target_archE1201ELNS1_3gpuE5ELNS1_3repE0EEENS1_30default_config_static_selectorELNS0_4arch9wavefront6targetE1EEEvT1_,comdat
	.protected	_ZN7rocprim17ROCPRIM_400000_NS6detail17trampoline_kernelINS0_14default_configENS1_20scan_config_selectorIiEEZZNS1_9scan_implILNS1_25lookback_scan_determinismE0ELb0ELb0ES3_PiS8_iN6thrust23THRUST_200600_302600_NS4plusIvEEiEEDaPvRmT3_T4_T5_mT6_P12ihipStream_tbENKUlT_T0_E_clISt17integral_constantIbLb0EESP_IbLb1EEEEDaSL_SM_EUlSL_E0_NS1_11comp_targetILNS1_3genE10ELNS1_11target_archE1201ELNS1_3gpuE5ELNS1_3repE0EEENS1_30default_config_static_selectorELNS0_4arch9wavefront6targetE1EEEvT1_ ; -- Begin function _ZN7rocprim17ROCPRIM_400000_NS6detail17trampoline_kernelINS0_14default_configENS1_20scan_config_selectorIiEEZZNS1_9scan_implILNS1_25lookback_scan_determinismE0ELb0ELb0ES3_PiS8_iN6thrust23THRUST_200600_302600_NS4plusIvEEiEEDaPvRmT3_T4_T5_mT6_P12ihipStream_tbENKUlT_T0_E_clISt17integral_constantIbLb0EESP_IbLb1EEEEDaSL_SM_EUlSL_E0_NS1_11comp_targetILNS1_3genE10ELNS1_11target_archE1201ELNS1_3gpuE5ELNS1_3repE0EEENS1_30default_config_static_selectorELNS0_4arch9wavefront6targetE1EEEvT1_
	.globl	_ZN7rocprim17ROCPRIM_400000_NS6detail17trampoline_kernelINS0_14default_configENS1_20scan_config_selectorIiEEZZNS1_9scan_implILNS1_25lookback_scan_determinismE0ELb0ELb0ES3_PiS8_iN6thrust23THRUST_200600_302600_NS4plusIvEEiEEDaPvRmT3_T4_T5_mT6_P12ihipStream_tbENKUlT_T0_E_clISt17integral_constantIbLb0EESP_IbLb1EEEEDaSL_SM_EUlSL_E0_NS1_11comp_targetILNS1_3genE10ELNS1_11target_archE1201ELNS1_3gpuE5ELNS1_3repE0EEENS1_30default_config_static_selectorELNS0_4arch9wavefront6targetE1EEEvT1_
	.p2align	8
	.type	_ZN7rocprim17ROCPRIM_400000_NS6detail17trampoline_kernelINS0_14default_configENS1_20scan_config_selectorIiEEZZNS1_9scan_implILNS1_25lookback_scan_determinismE0ELb0ELb0ES3_PiS8_iN6thrust23THRUST_200600_302600_NS4plusIvEEiEEDaPvRmT3_T4_T5_mT6_P12ihipStream_tbENKUlT_T0_E_clISt17integral_constantIbLb0EESP_IbLb1EEEEDaSL_SM_EUlSL_E0_NS1_11comp_targetILNS1_3genE10ELNS1_11target_archE1201ELNS1_3gpuE5ELNS1_3repE0EEENS1_30default_config_static_selectorELNS0_4arch9wavefront6targetE1EEEvT1_,@function
_ZN7rocprim17ROCPRIM_400000_NS6detail17trampoline_kernelINS0_14default_configENS1_20scan_config_selectorIiEEZZNS1_9scan_implILNS1_25lookback_scan_determinismE0ELb0ELb0ES3_PiS8_iN6thrust23THRUST_200600_302600_NS4plusIvEEiEEDaPvRmT3_T4_T5_mT6_P12ihipStream_tbENKUlT_T0_E_clISt17integral_constantIbLb0EESP_IbLb1EEEEDaSL_SM_EUlSL_E0_NS1_11comp_targetILNS1_3genE10ELNS1_11target_archE1201ELNS1_3gpuE5ELNS1_3repE0EEENS1_30default_config_static_selectorELNS0_4arch9wavefront6targetE1EEEvT1_: ; @_ZN7rocprim17ROCPRIM_400000_NS6detail17trampoline_kernelINS0_14default_configENS1_20scan_config_selectorIiEEZZNS1_9scan_implILNS1_25lookback_scan_determinismE0ELb0ELb0ES3_PiS8_iN6thrust23THRUST_200600_302600_NS4plusIvEEiEEDaPvRmT3_T4_T5_mT6_P12ihipStream_tbENKUlT_T0_E_clISt17integral_constantIbLb0EESP_IbLb1EEEEDaSL_SM_EUlSL_E0_NS1_11comp_targetILNS1_3genE10ELNS1_11target_archE1201ELNS1_3gpuE5ELNS1_3repE0EEENS1_30default_config_static_selectorELNS0_4arch9wavefront6targetE1EEEvT1_
; %bb.0:
	.section	.rodata,"a",@progbits
	.p2align	6, 0x0
	.amdhsa_kernel _ZN7rocprim17ROCPRIM_400000_NS6detail17trampoline_kernelINS0_14default_configENS1_20scan_config_selectorIiEEZZNS1_9scan_implILNS1_25lookback_scan_determinismE0ELb0ELb0ES3_PiS8_iN6thrust23THRUST_200600_302600_NS4plusIvEEiEEDaPvRmT3_T4_T5_mT6_P12ihipStream_tbENKUlT_T0_E_clISt17integral_constantIbLb0EESP_IbLb1EEEEDaSL_SM_EUlSL_E0_NS1_11comp_targetILNS1_3genE10ELNS1_11target_archE1201ELNS1_3gpuE5ELNS1_3repE0EEENS1_30default_config_static_selectorELNS0_4arch9wavefront6targetE1EEEvT1_
		.amdhsa_group_segment_fixed_size 0
		.amdhsa_private_segment_fixed_size 0
		.amdhsa_kernarg_size 32
		.amdhsa_user_sgpr_count 6
		.amdhsa_user_sgpr_private_segment_buffer 1
		.amdhsa_user_sgpr_dispatch_ptr 0
		.amdhsa_user_sgpr_queue_ptr 0
		.amdhsa_user_sgpr_kernarg_segment_ptr 1
		.amdhsa_user_sgpr_dispatch_id 0
		.amdhsa_user_sgpr_flat_scratch_init 0
		.amdhsa_user_sgpr_kernarg_preload_length 0
		.amdhsa_user_sgpr_kernarg_preload_offset 0
		.amdhsa_user_sgpr_private_segment_size 0
		.amdhsa_uses_dynamic_stack 0
		.amdhsa_system_sgpr_private_segment_wavefront_offset 0
		.amdhsa_system_sgpr_workgroup_id_x 1
		.amdhsa_system_sgpr_workgroup_id_y 0
		.amdhsa_system_sgpr_workgroup_id_z 0
		.amdhsa_system_sgpr_workgroup_info 0
		.amdhsa_system_vgpr_workitem_id 0
		.amdhsa_next_free_vgpr 1
		.amdhsa_next_free_sgpr 0
		.amdhsa_accum_offset 4
		.amdhsa_reserve_vcc 0
		.amdhsa_reserve_flat_scratch 0
		.amdhsa_float_round_mode_32 0
		.amdhsa_float_round_mode_16_64 0
		.amdhsa_float_denorm_mode_32 3
		.amdhsa_float_denorm_mode_16_64 3
		.amdhsa_dx10_clamp 1
		.amdhsa_ieee_mode 1
		.amdhsa_fp16_overflow 0
		.amdhsa_tg_split 0
		.amdhsa_exception_fp_ieee_invalid_op 0
		.amdhsa_exception_fp_denorm_src 0
		.amdhsa_exception_fp_ieee_div_zero 0
		.amdhsa_exception_fp_ieee_overflow 0
		.amdhsa_exception_fp_ieee_underflow 0
		.amdhsa_exception_fp_ieee_inexact 0
		.amdhsa_exception_int_div_zero 0
	.end_amdhsa_kernel
	.section	.text._ZN7rocprim17ROCPRIM_400000_NS6detail17trampoline_kernelINS0_14default_configENS1_20scan_config_selectorIiEEZZNS1_9scan_implILNS1_25lookback_scan_determinismE0ELb0ELb0ES3_PiS8_iN6thrust23THRUST_200600_302600_NS4plusIvEEiEEDaPvRmT3_T4_T5_mT6_P12ihipStream_tbENKUlT_T0_E_clISt17integral_constantIbLb0EESP_IbLb1EEEEDaSL_SM_EUlSL_E0_NS1_11comp_targetILNS1_3genE10ELNS1_11target_archE1201ELNS1_3gpuE5ELNS1_3repE0EEENS1_30default_config_static_selectorELNS0_4arch9wavefront6targetE1EEEvT1_,"axG",@progbits,_ZN7rocprim17ROCPRIM_400000_NS6detail17trampoline_kernelINS0_14default_configENS1_20scan_config_selectorIiEEZZNS1_9scan_implILNS1_25lookback_scan_determinismE0ELb0ELb0ES3_PiS8_iN6thrust23THRUST_200600_302600_NS4plusIvEEiEEDaPvRmT3_T4_T5_mT6_P12ihipStream_tbENKUlT_T0_E_clISt17integral_constantIbLb0EESP_IbLb1EEEEDaSL_SM_EUlSL_E0_NS1_11comp_targetILNS1_3genE10ELNS1_11target_archE1201ELNS1_3gpuE5ELNS1_3repE0EEENS1_30default_config_static_selectorELNS0_4arch9wavefront6targetE1EEEvT1_,comdat
.Lfunc_end99:
	.size	_ZN7rocprim17ROCPRIM_400000_NS6detail17trampoline_kernelINS0_14default_configENS1_20scan_config_selectorIiEEZZNS1_9scan_implILNS1_25lookback_scan_determinismE0ELb0ELb0ES3_PiS8_iN6thrust23THRUST_200600_302600_NS4plusIvEEiEEDaPvRmT3_T4_T5_mT6_P12ihipStream_tbENKUlT_T0_E_clISt17integral_constantIbLb0EESP_IbLb1EEEEDaSL_SM_EUlSL_E0_NS1_11comp_targetILNS1_3genE10ELNS1_11target_archE1201ELNS1_3gpuE5ELNS1_3repE0EEENS1_30default_config_static_selectorELNS0_4arch9wavefront6targetE1EEEvT1_, .Lfunc_end99-_ZN7rocprim17ROCPRIM_400000_NS6detail17trampoline_kernelINS0_14default_configENS1_20scan_config_selectorIiEEZZNS1_9scan_implILNS1_25lookback_scan_determinismE0ELb0ELb0ES3_PiS8_iN6thrust23THRUST_200600_302600_NS4plusIvEEiEEDaPvRmT3_T4_T5_mT6_P12ihipStream_tbENKUlT_T0_E_clISt17integral_constantIbLb0EESP_IbLb1EEEEDaSL_SM_EUlSL_E0_NS1_11comp_targetILNS1_3genE10ELNS1_11target_archE1201ELNS1_3gpuE5ELNS1_3repE0EEENS1_30default_config_static_selectorELNS0_4arch9wavefront6targetE1EEEvT1_
                                        ; -- End function
	.section	.AMDGPU.csdata,"",@progbits
; Kernel info:
; codeLenInByte = 0
; NumSgprs: 4
; NumVgprs: 0
; NumAgprs: 0
; TotalNumVgprs: 0
; ScratchSize: 0
; MemoryBound: 0
; FloatMode: 240
; IeeeMode: 1
; LDSByteSize: 0 bytes/workgroup (compile time only)
; SGPRBlocks: 0
; VGPRBlocks: 0
; NumSGPRsForWavesPerEU: 4
; NumVGPRsForWavesPerEU: 1
; AccumOffset: 4
; Occupancy: 8
; WaveLimiterHint : 0
; COMPUTE_PGM_RSRC2:SCRATCH_EN: 0
; COMPUTE_PGM_RSRC2:USER_SGPR: 6
; COMPUTE_PGM_RSRC2:TRAP_HANDLER: 0
; COMPUTE_PGM_RSRC2:TGID_X_EN: 1
; COMPUTE_PGM_RSRC2:TGID_Y_EN: 0
; COMPUTE_PGM_RSRC2:TGID_Z_EN: 0
; COMPUTE_PGM_RSRC2:TIDIG_COMP_CNT: 0
; COMPUTE_PGM_RSRC3_GFX90A:ACCUM_OFFSET: 0
; COMPUTE_PGM_RSRC3_GFX90A:TG_SPLIT: 0
	.section	.text._ZN7rocprim17ROCPRIM_400000_NS6detail17trampoline_kernelINS0_14default_configENS1_20scan_config_selectorIiEEZZNS1_9scan_implILNS1_25lookback_scan_determinismE0ELb0ELb0ES3_PiS8_iN6thrust23THRUST_200600_302600_NS4plusIvEEiEEDaPvRmT3_T4_T5_mT6_P12ihipStream_tbENKUlT_T0_E_clISt17integral_constantIbLb0EESP_IbLb1EEEEDaSL_SM_EUlSL_E0_NS1_11comp_targetILNS1_3genE10ELNS1_11target_archE1200ELNS1_3gpuE4ELNS1_3repE0EEENS1_30default_config_static_selectorELNS0_4arch9wavefront6targetE1EEEvT1_,"axG",@progbits,_ZN7rocprim17ROCPRIM_400000_NS6detail17trampoline_kernelINS0_14default_configENS1_20scan_config_selectorIiEEZZNS1_9scan_implILNS1_25lookback_scan_determinismE0ELb0ELb0ES3_PiS8_iN6thrust23THRUST_200600_302600_NS4plusIvEEiEEDaPvRmT3_T4_T5_mT6_P12ihipStream_tbENKUlT_T0_E_clISt17integral_constantIbLb0EESP_IbLb1EEEEDaSL_SM_EUlSL_E0_NS1_11comp_targetILNS1_3genE10ELNS1_11target_archE1200ELNS1_3gpuE4ELNS1_3repE0EEENS1_30default_config_static_selectorELNS0_4arch9wavefront6targetE1EEEvT1_,comdat
	.protected	_ZN7rocprim17ROCPRIM_400000_NS6detail17trampoline_kernelINS0_14default_configENS1_20scan_config_selectorIiEEZZNS1_9scan_implILNS1_25lookback_scan_determinismE0ELb0ELb0ES3_PiS8_iN6thrust23THRUST_200600_302600_NS4plusIvEEiEEDaPvRmT3_T4_T5_mT6_P12ihipStream_tbENKUlT_T0_E_clISt17integral_constantIbLb0EESP_IbLb1EEEEDaSL_SM_EUlSL_E0_NS1_11comp_targetILNS1_3genE10ELNS1_11target_archE1200ELNS1_3gpuE4ELNS1_3repE0EEENS1_30default_config_static_selectorELNS0_4arch9wavefront6targetE1EEEvT1_ ; -- Begin function _ZN7rocprim17ROCPRIM_400000_NS6detail17trampoline_kernelINS0_14default_configENS1_20scan_config_selectorIiEEZZNS1_9scan_implILNS1_25lookback_scan_determinismE0ELb0ELb0ES3_PiS8_iN6thrust23THRUST_200600_302600_NS4plusIvEEiEEDaPvRmT3_T4_T5_mT6_P12ihipStream_tbENKUlT_T0_E_clISt17integral_constantIbLb0EESP_IbLb1EEEEDaSL_SM_EUlSL_E0_NS1_11comp_targetILNS1_3genE10ELNS1_11target_archE1200ELNS1_3gpuE4ELNS1_3repE0EEENS1_30default_config_static_selectorELNS0_4arch9wavefront6targetE1EEEvT1_
	.globl	_ZN7rocprim17ROCPRIM_400000_NS6detail17trampoline_kernelINS0_14default_configENS1_20scan_config_selectorIiEEZZNS1_9scan_implILNS1_25lookback_scan_determinismE0ELb0ELb0ES3_PiS8_iN6thrust23THRUST_200600_302600_NS4plusIvEEiEEDaPvRmT3_T4_T5_mT6_P12ihipStream_tbENKUlT_T0_E_clISt17integral_constantIbLb0EESP_IbLb1EEEEDaSL_SM_EUlSL_E0_NS1_11comp_targetILNS1_3genE10ELNS1_11target_archE1200ELNS1_3gpuE4ELNS1_3repE0EEENS1_30default_config_static_selectorELNS0_4arch9wavefront6targetE1EEEvT1_
	.p2align	8
	.type	_ZN7rocprim17ROCPRIM_400000_NS6detail17trampoline_kernelINS0_14default_configENS1_20scan_config_selectorIiEEZZNS1_9scan_implILNS1_25lookback_scan_determinismE0ELb0ELb0ES3_PiS8_iN6thrust23THRUST_200600_302600_NS4plusIvEEiEEDaPvRmT3_T4_T5_mT6_P12ihipStream_tbENKUlT_T0_E_clISt17integral_constantIbLb0EESP_IbLb1EEEEDaSL_SM_EUlSL_E0_NS1_11comp_targetILNS1_3genE10ELNS1_11target_archE1200ELNS1_3gpuE4ELNS1_3repE0EEENS1_30default_config_static_selectorELNS0_4arch9wavefront6targetE1EEEvT1_,@function
_ZN7rocprim17ROCPRIM_400000_NS6detail17trampoline_kernelINS0_14default_configENS1_20scan_config_selectorIiEEZZNS1_9scan_implILNS1_25lookback_scan_determinismE0ELb0ELb0ES3_PiS8_iN6thrust23THRUST_200600_302600_NS4plusIvEEiEEDaPvRmT3_T4_T5_mT6_P12ihipStream_tbENKUlT_T0_E_clISt17integral_constantIbLb0EESP_IbLb1EEEEDaSL_SM_EUlSL_E0_NS1_11comp_targetILNS1_3genE10ELNS1_11target_archE1200ELNS1_3gpuE4ELNS1_3repE0EEENS1_30default_config_static_selectorELNS0_4arch9wavefront6targetE1EEEvT1_: ; @_ZN7rocprim17ROCPRIM_400000_NS6detail17trampoline_kernelINS0_14default_configENS1_20scan_config_selectorIiEEZZNS1_9scan_implILNS1_25lookback_scan_determinismE0ELb0ELb0ES3_PiS8_iN6thrust23THRUST_200600_302600_NS4plusIvEEiEEDaPvRmT3_T4_T5_mT6_P12ihipStream_tbENKUlT_T0_E_clISt17integral_constantIbLb0EESP_IbLb1EEEEDaSL_SM_EUlSL_E0_NS1_11comp_targetILNS1_3genE10ELNS1_11target_archE1200ELNS1_3gpuE4ELNS1_3repE0EEENS1_30default_config_static_selectorELNS0_4arch9wavefront6targetE1EEEvT1_
; %bb.0:
	.section	.rodata,"a",@progbits
	.p2align	6, 0x0
	.amdhsa_kernel _ZN7rocprim17ROCPRIM_400000_NS6detail17trampoline_kernelINS0_14default_configENS1_20scan_config_selectorIiEEZZNS1_9scan_implILNS1_25lookback_scan_determinismE0ELb0ELb0ES3_PiS8_iN6thrust23THRUST_200600_302600_NS4plusIvEEiEEDaPvRmT3_T4_T5_mT6_P12ihipStream_tbENKUlT_T0_E_clISt17integral_constantIbLb0EESP_IbLb1EEEEDaSL_SM_EUlSL_E0_NS1_11comp_targetILNS1_3genE10ELNS1_11target_archE1200ELNS1_3gpuE4ELNS1_3repE0EEENS1_30default_config_static_selectorELNS0_4arch9wavefront6targetE1EEEvT1_
		.amdhsa_group_segment_fixed_size 0
		.amdhsa_private_segment_fixed_size 0
		.amdhsa_kernarg_size 32
		.amdhsa_user_sgpr_count 6
		.amdhsa_user_sgpr_private_segment_buffer 1
		.amdhsa_user_sgpr_dispatch_ptr 0
		.amdhsa_user_sgpr_queue_ptr 0
		.amdhsa_user_sgpr_kernarg_segment_ptr 1
		.amdhsa_user_sgpr_dispatch_id 0
		.amdhsa_user_sgpr_flat_scratch_init 0
		.amdhsa_user_sgpr_kernarg_preload_length 0
		.amdhsa_user_sgpr_kernarg_preload_offset 0
		.amdhsa_user_sgpr_private_segment_size 0
		.amdhsa_uses_dynamic_stack 0
		.amdhsa_system_sgpr_private_segment_wavefront_offset 0
		.amdhsa_system_sgpr_workgroup_id_x 1
		.amdhsa_system_sgpr_workgroup_id_y 0
		.amdhsa_system_sgpr_workgroup_id_z 0
		.amdhsa_system_sgpr_workgroup_info 0
		.amdhsa_system_vgpr_workitem_id 0
		.amdhsa_next_free_vgpr 1
		.amdhsa_next_free_sgpr 0
		.amdhsa_accum_offset 4
		.amdhsa_reserve_vcc 0
		.amdhsa_reserve_flat_scratch 0
		.amdhsa_float_round_mode_32 0
		.amdhsa_float_round_mode_16_64 0
		.amdhsa_float_denorm_mode_32 3
		.amdhsa_float_denorm_mode_16_64 3
		.amdhsa_dx10_clamp 1
		.amdhsa_ieee_mode 1
		.amdhsa_fp16_overflow 0
		.amdhsa_tg_split 0
		.amdhsa_exception_fp_ieee_invalid_op 0
		.amdhsa_exception_fp_denorm_src 0
		.amdhsa_exception_fp_ieee_div_zero 0
		.amdhsa_exception_fp_ieee_overflow 0
		.amdhsa_exception_fp_ieee_underflow 0
		.amdhsa_exception_fp_ieee_inexact 0
		.amdhsa_exception_int_div_zero 0
	.end_amdhsa_kernel
	.section	.text._ZN7rocprim17ROCPRIM_400000_NS6detail17trampoline_kernelINS0_14default_configENS1_20scan_config_selectorIiEEZZNS1_9scan_implILNS1_25lookback_scan_determinismE0ELb0ELb0ES3_PiS8_iN6thrust23THRUST_200600_302600_NS4plusIvEEiEEDaPvRmT3_T4_T5_mT6_P12ihipStream_tbENKUlT_T0_E_clISt17integral_constantIbLb0EESP_IbLb1EEEEDaSL_SM_EUlSL_E0_NS1_11comp_targetILNS1_3genE10ELNS1_11target_archE1200ELNS1_3gpuE4ELNS1_3repE0EEENS1_30default_config_static_selectorELNS0_4arch9wavefront6targetE1EEEvT1_,"axG",@progbits,_ZN7rocprim17ROCPRIM_400000_NS6detail17trampoline_kernelINS0_14default_configENS1_20scan_config_selectorIiEEZZNS1_9scan_implILNS1_25lookback_scan_determinismE0ELb0ELb0ES3_PiS8_iN6thrust23THRUST_200600_302600_NS4plusIvEEiEEDaPvRmT3_T4_T5_mT6_P12ihipStream_tbENKUlT_T0_E_clISt17integral_constantIbLb0EESP_IbLb1EEEEDaSL_SM_EUlSL_E0_NS1_11comp_targetILNS1_3genE10ELNS1_11target_archE1200ELNS1_3gpuE4ELNS1_3repE0EEENS1_30default_config_static_selectorELNS0_4arch9wavefront6targetE1EEEvT1_,comdat
.Lfunc_end100:
	.size	_ZN7rocprim17ROCPRIM_400000_NS6detail17trampoline_kernelINS0_14default_configENS1_20scan_config_selectorIiEEZZNS1_9scan_implILNS1_25lookback_scan_determinismE0ELb0ELb0ES3_PiS8_iN6thrust23THRUST_200600_302600_NS4plusIvEEiEEDaPvRmT3_T4_T5_mT6_P12ihipStream_tbENKUlT_T0_E_clISt17integral_constantIbLb0EESP_IbLb1EEEEDaSL_SM_EUlSL_E0_NS1_11comp_targetILNS1_3genE10ELNS1_11target_archE1200ELNS1_3gpuE4ELNS1_3repE0EEENS1_30default_config_static_selectorELNS0_4arch9wavefront6targetE1EEEvT1_, .Lfunc_end100-_ZN7rocprim17ROCPRIM_400000_NS6detail17trampoline_kernelINS0_14default_configENS1_20scan_config_selectorIiEEZZNS1_9scan_implILNS1_25lookback_scan_determinismE0ELb0ELb0ES3_PiS8_iN6thrust23THRUST_200600_302600_NS4plusIvEEiEEDaPvRmT3_T4_T5_mT6_P12ihipStream_tbENKUlT_T0_E_clISt17integral_constantIbLb0EESP_IbLb1EEEEDaSL_SM_EUlSL_E0_NS1_11comp_targetILNS1_3genE10ELNS1_11target_archE1200ELNS1_3gpuE4ELNS1_3repE0EEENS1_30default_config_static_selectorELNS0_4arch9wavefront6targetE1EEEvT1_
                                        ; -- End function
	.section	.AMDGPU.csdata,"",@progbits
; Kernel info:
; codeLenInByte = 0
; NumSgprs: 4
; NumVgprs: 0
; NumAgprs: 0
; TotalNumVgprs: 0
; ScratchSize: 0
; MemoryBound: 0
; FloatMode: 240
; IeeeMode: 1
; LDSByteSize: 0 bytes/workgroup (compile time only)
; SGPRBlocks: 0
; VGPRBlocks: 0
; NumSGPRsForWavesPerEU: 4
; NumVGPRsForWavesPerEU: 1
; AccumOffset: 4
; Occupancy: 8
; WaveLimiterHint : 0
; COMPUTE_PGM_RSRC2:SCRATCH_EN: 0
; COMPUTE_PGM_RSRC2:USER_SGPR: 6
; COMPUTE_PGM_RSRC2:TRAP_HANDLER: 0
; COMPUTE_PGM_RSRC2:TGID_X_EN: 1
; COMPUTE_PGM_RSRC2:TGID_Y_EN: 0
; COMPUTE_PGM_RSRC2:TGID_Z_EN: 0
; COMPUTE_PGM_RSRC2:TIDIG_COMP_CNT: 0
; COMPUTE_PGM_RSRC3_GFX90A:ACCUM_OFFSET: 0
; COMPUTE_PGM_RSRC3_GFX90A:TG_SPLIT: 0
	.section	.text._ZN7rocprim17ROCPRIM_400000_NS6detail17trampoline_kernelINS0_14default_configENS1_20scan_config_selectorIiEEZZNS1_9scan_implILNS1_25lookback_scan_determinismE0ELb0ELb0ES3_PiS8_iN6thrust23THRUST_200600_302600_NS4plusIvEEiEEDaPvRmT3_T4_T5_mT6_P12ihipStream_tbENKUlT_T0_E_clISt17integral_constantIbLb0EESP_IbLb1EEEEDaSL_SM_EUlSL_E0_NS1_11comp_targetILNS1_3genE9ELNS1_11target_archE1100ELNS1_3gpuE3ELNS1_3repE0EEENS1_30default_config_static_selectorELNS0_4arch9wavefront6targetE1EEEvT1_,"axG",@progbits,_ZN7rocprim17ROCPRIM_400000_NS6detail17trampoline_kernelINS0_14default_configENS1_20scan_config_selectorIiEEZZNS1_9scan_implILNS1_25lookback_scan_determinismE0ELb0ELb0ES3_PiS8_iN6thrust23THRUST_200600_302600_NS4plusIvEEiEEDaPvRmT3_T4_T5_mT6_P12ihipStream_tbENKUlT_T0_E_clISt17integral_constantIbLb0EESP_IbLb1EEEEDaSL_SM_EUlSL_E0_NS1_11comp_targetILNS1_3genE9ELNS1_11target_archE1100ELNS1_3gpuE3ELNS1_3repE0EEENS1_30default_config_static_selectorELNS0_4arch9wavefront6targetE1EEEvT1_,comdat
	.protected	_ZN7rocprim17ROCPRIM_400000_NS6detail17trampoline_kernelINS0_14default_configENS1_20scan_config_selectorIiEEZZNS1_9scan_implILNS1_25lookback_scan_determinismE0ELb0ELb0ES3_PiS8_iN6thrust23THRUST_200600_302600_NS4plusIvEEiEEDaPvRmT3_T4_T5_mT6_P12ihipStream_tbENKUlT_T0_E_clISt17integral_constantIbLb0EESP_IbLb1EEEEDaSL_SM_EUlSL_E0_NS1_11comp_targetILNS1_3genE9ELNS1_11target_archE1100ELNS1_3gpuE3ELNS1_3repE0EEENS1_30default_config_static_selectorELNS0_4arch9wavefront6targetE1EEEvT1_ ; -- Begin function _ZN7rocprim17ROCPRIM_400000_NS6detail17trampoline_kernelINS0_14default_configENS1_20scan_config_selectorIiEEZZNS1_9scan_implILNS1_25lookback_scan_determinismE0ELb0ELb0ES3_PiS8_iN6thrust23THRUST_200600_302600_NS4plusIvEEiEEDaPvRmT3_T4_T5_mT6_P12ihipStream_tbENKUlT_T0_E_clISt17integral_constantIbLb0EESP_IbLb1EEEEDaSL_SM_EUlSL_E0_NS1_11comp_targetILNS1_3genE9ELNS1_11target_archE1100ELNS1_3gpuE3ELNS1_3repE0EEENS1_30default_config_static_selectorELNS0_4arch9wavefront6targetE1EEEvT1_
	.globl	_ZN7rocprim17ROCPRIM_400000_NS6detail17trampoline_kernelINS0_14default_configENS1_20scan_config_selectorIiEEZZNS1_9scan_implILNS1_25lookback_scan_determinismE0ELb0ELb0ES3_PiS8_iN6thrust23THRUST_200600_302600_NS4plusIvEEiEEDaPvRmT3_T4_T5_mT6_P12ihipStream_tbENKUlT_T0_E_clISt17integral_constantIbLb0EESP_IbLb1EEEEDaSL_SM_EUlSL_E0_NS1_11comp_targetILNS1_3genE9ELNS1_11target_archE1100ELNS1_3gpuE3ELNS1_3repE0EEENS1_30default_config_static_selectorELNS0_4arch9wavefront6targetE1EEEvT1_
	.p2align	8
	.type	_ZN7rocprim17ROCPRIM_400000_NS6detail17trampoline_kernelINS0_14default_configENS1_20scan_config_selectorIiEEZZNS1_9scan_implILNS1_25lookback_scan_determinismE0ELb0ELb0ES3_PiS8_iN6thrust23THRUST_200600_302600_NS4plusIvEEiEEDaPvRmT3_T4_T5_mT6_P12ihipStream_tbENKUlT_T0_E_clISt17integral_constantIbLb0EESP_IbLb1EEEEDaSL_SM_EUlSL_E0_NS1_11comp_targetILNS1_3genE9ELNS1_11target_archE1100ELNS1_3gpuE3ELNS1_3repE0EEENS1_30default_config_static_selectorELNS0_4arch9wavefront6targetE1EEEvT1_,@function
_ZN7rocprim17ROCPRIM_400000_NS6detail17trampoline_kernelINS0_14default_configENS1_20scan_config_selectorIiEEZZNS1_9scan_implILNS1_25lookback_scan_determinismE0ELb0ELb0ES3_PiS8_iN6thrust23THRUST_200600_302600_NS4plusIvEEiEEDaPvRmT3_T4_T5_mT6_P12ihipStream_tbENKUlT_T0_E_clISt17integral_constantIbLb0EESP_IbLb1EEEEDaSL_SM_EUlSL_E0_NS1_11comp_targetILNS1_3genE9ELNS1_11target_archE1100ELNS1_3gpuE3ELNS1_3repE0EEENS1_30default_config_static_selectorELNS0_4arch9wavefront6targetE1EEEvT1_: ; @_ZN7rocprim17ROCPRIM_400000_NS6detail17trampoline_kernelINS0_14default_configENS1_20scan_config_selectorIiEEZZNS1_9scan_implILNS1_25lookback_scan_determinismE0ELb0ELb0ES3_PiS8_iN6thrust23THRUST_200600_302600_NS4plusIvEEiEEDaPvRmT3_T4_T5_mT6_P12ihipStream_tbENKUlT_T0_E_clISt17integral_constantIbLb0EESP_IbLb1EEEEDaSL_SM_EUlSL_E0_NS1_11comp_targetILNS1_3genE9ELNS1_11target_archE1100ELNS1_3gpuE3ELNS1_3repE0EEENS1_30default_config_static_selectorELNS0_4arch9wavefront6targetE1EEEvT1_
; %bb.0:
	.section	.rodata,"a",@progbits
	.p2align	6, 0x0
	.amdhsa_kernel _ZN7rocprim17ROCPRIM_400000_NS6detail17trampoline_kernelINS0_14default_configENS1_20scan_config_selectorIiEEZZNS1_9scan_implILNS1_25lookback_scan_determinismE0ELb0ELb0ES3_PiS8_iN6thrust23THRUST_200600_302600_NS4plusIvEEiEEDaPvRmT3_T4_T5_mT6_P12ihipStream_tbENKUlT_T0_E_clISt17integral_constantIbLb0EESP_IbLb1EEEEDaSL_SM_EUlSL_E0_NS1_11comp_targetILNS1_3genE9ELNS1_11target_archE1100ELNS1_3gpuE3ELNS1_3repE0EEENS1_30default_config_static_selectorELNS0_4arch9wavefront6targetE1EEEvT1_
		.amdhsa_group_segment_fixed_size 0
		.amdhsa_private_segment_fixed_size 0
		.amdhsa_kernarg_size 32
		.amdhsa_user_sgpr_count 6
		.amdhsa_user_sgpr_private_segment_buffer 1
		.amdhsa_user_sgpr_dispatch_ptr 0
		.amdhsa_user_sgpr_queue_ptr 0
		.amdhsa_user_sgpr_kernarg_segment_ptr 1
		.amdhsa_user_sgpr_dispatch_id 0
		.amdhsa_user_sgpr_flat_scratch_init 0
		.amdhsa_user_sgpr_kernarg_preload_length 0
		.amdhsa_user_sgpr_kernarg_preload_offset 0
		.amdhsa_user_sgpr_private_segment_size 0
		.amdhsa_uses_dynamic_stack 0
		.amdhsa_system_sgpr_private_segment_wavefront_offset 0
		.amdhsa_system_sgpr_workgroup_id_x 1
		.amdhsa_system_sgpr_workgroup_id_y 0
		.amdhsa_system_sgpr_workgroup_id_z 0
		.amdhsa_system_sgpr_workgroup_info 0
		.amdhsa_system_vgpr_workitem_id 0
		.amdhsa_next_free_vgpr 1
		.amdhsa_next_free_sgpr 0
		.amdhsa_accum_offset 4
		.amdhsa_reserve_vcc 0
		.amdhsa_reserve_flat_scratch 0
		.amdhsa_float_round_mode_32 0
		.amdhsa_float_round_mode_16_64 0
		.amdhsa_float_denorm_mode_32 3
		.amdhsa_float_denorm_mode_16_64 3
		.amdhsa_dx10_clamp 1
		.amdhsa_ieee_mode 1
		.amdhsa_fp16_overflow 0
		.amdhsa_tg_split 0
		.amdhsa_exception_fp_ieee_invalid_op 0
		.amdhsa_exception_fp_denorm_src 0
		.amdhsa_exception_fp_ieee_div_zero 0
		.amdhsa_exception_fp_ieee_overflow 0
		.amdhsa_exception_fp_ieee_underflow 0
		.amdhsa_exception_fp_ieee_inexact 0
		.amdhsa_exception_int_div_zero 0
	.end_amdhsa_kernel
	.section	.text._ZN7rocprim17ROCPRIM_400000_NS6detail17trampoline_kernelINS0_14default_configENS1_20scan_config_selectorIiEEZZNS1_9scan_implILNS1_25lookback_scan_determinismE0ELb0ELb0ES3_PiS8_iN6thrust23THRUST_200600_302600_NS4plusIvEEiEEDaPvRmT3_T4_T5_mT6_P12ihipStream_tbENKUlT_T0_E_clISt17integral_constantIbLb0EESP_IbLb1EEEEDaSL_SM_EUlSL_E0_NS1_11comp_targetILNS1_3genE9ELNS1_11target_archE1100ELNS1_3gpuE3ELNS1_3repE0EEENS1_30default_config_static_selectorELNS0_4arch9wavefront6targetE1EEEvT1_,"axG",@progbits,_ZN7rocprim17ROCPRIM_400000_NS6detail17trampoline_kernelINS0_14default_configENS1_20scan_config_selectorIiEEZZNS1_9scan_implILNS1_25lookback_scan_determinismE0ELb0ELb0ES3_PiS8_iN6thrust23THRUST_200600_302600_NS4plusIvEEiEEDaPvRmT3_T4_T5_mT6_P12ihipStream_tbENKUlT_T0_E_clISt17integral_constantIbLb0EESP_IbLb1EEEEDaSL_SM_EUlSL_E0_NS1_11comp_targetILNS1_3genE9ELNS1_11target_archE1100ELNS1_3gpuE3ELNS1_3repE0EEENS1_30default_config_static_selectorELNS0_4arch9wavefront6targetE1EEEvT1_,comdat
.Lfunc_end101:
	.size	_ZN7rocprim17ROCPRIM_400000_NS6detail17trampoline_kernelINS0_14default_configENS1_20scan_config_selectorIiEEZZNS1_9scan_implILNS1_25lookback_scan_determinismE0ELb0ELb0ES3_PiS8_iN6thrust23THRUST_200600_302600_NS4plusIvEEiEEDaPvRmT3_T4_T5_mT6_P12ihipStream_tbENKUlT_T0_E_clISt17integral_constantIbLb0EESP_IbLb1EEEEDaSL_SM_EUlSL_E0_NS1_11comp_targetILNS1_3genE9ELNS1_11target_archE1100ELNS1_3gpuE3ELNS1_3repE0EEENS1_30default_config_static_selectorELNS0_4arch9wavefront6targetE1EEEvT1_, .Lfunc_end101-_ZN7rocprim17ROCPRIM_400000_NS6detail17trampoline_kernelINS0_14default_configENS1_20scan_config_selectorIiEEZZNS1_9scan_implILNS1_25lookback_scan_determinismE0ELb0ELb0ES3_PiS8_iN6thrust23THRUST_200600_302600_NS4plusIvEEiEEDaPvRmT3_T4_T5_mT6_P12ihipStream_tbENKUlT_T0_E_clISt17integral_constantIbLb0EESP_IbLb1EEEEDaSL_SM_EUlSL_E0_NS1_11comp_targetILNS1_3genE9ELNS1_11target_archE1100ELNS1_3gpuE3ELNS1_3repE0EEENS1_30default_config_static_selectorELNS0_4arch9wavefront6targetE1EEEvT1_
                                        ; -- End function
	.section	.AMDGPU.csdata,"",@progbits
; Kernel info:
; codeLenInByte = 0
; NumSgprs: 4
; NumVgprs: 0
; NumAgprs: 0
; TotalNumVgprs: 0
; ScratchSize: 0
; MemoryBound: 0
; FloatMode: 240
; IeeeMode: 1
; LDSByteSize: 0 bytes/workgroup (compile time only)
; SGPRBlocks: 0
; VGPRBlocks: 0
; NumSGPRsForWavesPerEU: 4
; NumVGPRsForWavesPerEU: 1
; AccumOffset: 4
; Occupancy: 8
; WaveLimiterHint : 0
; COMPUTE_PGM_RSRC2:SCRATCH_EN: 0
; COMPUTE_PGM_RSRC2:USER_SGPR: 6
; COMPUTE_PGM_RSRC2:TRAP_HANDLER: 0
; COMPUTE_PGM_RSRC2:TGID_X_EN: 1
; COMPUTE_PGM_RSRC2:TGID_Y_EN: 0
; COMPUTE_PGM_RSRC2:TGID_Z_EN: 0
; COMPUTE_PGM_RSRC2:TIDIG_COMP_CNT: 0
; COMPUTE_PGM_RSRC3_GFX90A:ACCUM_OFFSET: 0
; COMPUTE_PGM_RSRC3_GFX90A:TG_SPLIT: 0
	.section	.text._ZN7rocprim17ROCPRIM_400000_NS6detail17trampoline_kernelINS0_14default_configENS1_20scan_config_selectorIiEEZZNS1_9scan_implILNS1_25lookback_scan_determinismE0ELb0ELb0ES3_PiS8_iN6thrust23THRUST_200600_302600_NS4plusIvEEiEEDaPvRmT3_T4_T5_mT6_P12ihipStream_tbENKUlT_T0_E_clISt17integral_constantIbLb0EESP_IbLb1EEEEDaSL_SM_EUlSL_E0_NS1_11comp_targetILNS1_3genE8ELNS1_11target_archE1030ELNS1_3gpuE2ELNS1_3repE0EEENS1_30default_config_static_selectorELNS0_4arch9wavefront6targetE1EEEvT1_,"axG",@progbits,_ZN7rocprim17ROCPRIM_400000_NS6detail17trampoline_kernelINS0_14default_configENS1_20scan_config_selectorIiEEZZNS1_9scan_implILNS1_25lookback_scan_determinismE0ELb0ELb0ES3_PiS8_iN6thrust23THRUST_200600_302600_NS4plusIvEEiEEDaPvRmT3_T4_T5_mT6_P12ihipStream_tbENKUlT_T0_E_clISt17integral_constantIbLb0EESP_IbLb1EEEEDaSL_SM_EUlSL_E0_NS1_11comp_targetILNS1_3genE8ELNS1_11target_archE1030ELNS1_3gpuE2ELNS1_3repE0EEENS1_30default_config_static_selectorELNS0_4arch9wavefront6targetE1EEEvT1_,comdat
	.protected	_ZN7rocprim17ROCPRIM_400000_NS6detail17trampoline_kernelINS0_14default_configENS1_20scan_config_selectorIiEEZZNS1_9scan_implILNS1_25lookback_scan_determinismE0ELb0ELb0ES3_PiS8_iN6thrust23THRUST_200600_302600_NS4plusIvEEiEEDaPvRmT3_T4_T5_mT6_P12ihipStream_tbENKUlT_T0_E_clISt17integral_constantIbLb0EESP_IbLb1EEEEDaSL_SM_EUlSL_E0_NS1_11comp_targetILNS1_3genE8ELNS1_11target_archE1030ELNS1_3gpuE2ELNS1_3repE0EEENS1_30default_config_static_selectorELNS0_4arch9wavefront6targetE1EEEvT1_ ; -- Begin function _ZN7rocprim17ROCPRIM_400000_NS6detail17trampoline_kernelINS0_14default_configENS1_20scan_config_selectorIiEEZZNS1_9scan_implILNS1_25lookback_scan_determinismE0ELb0ELb0ES3_PiS8_iN6thrust23THRUST_200600_302600_NS4plusIvEEiEEDaPvRmT3_T4_T5_mT6_P12ihipStream_tbENKUlT_T0_E_clISt17integral_constantIbLb0EESP_IbLb1EEEEDaSL_SM_EUlSL_E0_NS1_11comp_targetILNS1_3genE8ELNS1_11target_archE1030ELNS1_3gpuE2ELNS1_3repE0EEENS1_30default_config_static_selectorELNS0_4arch9wavefront6targetE1EEEvT1_
	.globl	_ZN7rocprim17ROCPRIM_400000_NS6detail17trampoline_kernelINS0_14default_configENS1_20scan_config_selectorIiEEZZNS1_9scan_implILNS1_25lookback_scan_determinismE0ELb0ELb0ES3_PiS8_iN6thrust23THRUST_200600_302600_NS4plusIvEEiEEDaPvRmT3_T4_T5_mT6_P12ihipStream_tbENKUlT_T0_E_clISt17integral_constantIbLb0EESP_IbLb1EEEEDaSL_SM_EUlSL_E0_NS1_11comp_targetILNS1_3genE8ELNS1_11target_archE1030ELNS1_3gpuE2ELNS1_3repE0EEENS1_30default_config_static_selectorELNS0_4arch9wavefront6targetE1EEEvT1_
	.p2align	8
	.type	_ZN7rocprim17ROCPRIM_400000_NS6detail17trampoline_kernelINS0_14default_configENS1_20scan_config_selectorIiEEZZNS1_9scan_implILNS1_25lookback_scan_determinismE0ELb0ELb0ES3_PiS8_iN6thrust23THRUST_200600_302600_NS4plusIvEEiEEDaPvRmT3_T4_T5_mT6_P12ihipStream_tbENKUlT_T0_E_clISt17integral_constantIbLb0EESP_IbLb1EEEEDaSL_SM_EUlSL_E0_NS1_11comp_targetILNS1_3genE8ELNS1_11target_archE1030ELNS1_3gpuE2ELNS1_3repE0EEENS1_30default_config_static_selectorELNS0_4arch9wavefront6targetE1EEEvT1_,@function
_ZN7rocprim17ROCPRIM_400000_NS6detail17trampoline_kernelINS0_14default_configENS1_20scan_config_selectorIiEEZZNS1_9scan_implILNS1_25lookback_scan_determinismE0ELb0ELb0ES3_PiS8_iN6thrust23THRUST_200600_302600_NS4plusIvEEiEEDaPvRmT3_T4_T5_mT6_P12ihipStream_tbENKUlT_T0_E_clISt17integral_constantIbLb0EESP_IbLb1EEEEDaSL_SM_EUlSL_E0_NS1_11comp_targetILNS1_3genE8ELNS1_11target_archE1030ELNS1_3gpuE2ELNS1_3repE0EEENS1_30default_config_static_selectorELNS0_4arch9wavefront6targetE1EEEvT1_: ; @_ZN7rocprim17ROCPRIM_400000_NS6detail17trampoline_kernelINS0_14default_configENS1_20scan_config_selectorIiEEZZNS1_9scan_implILNS1_25lookback_scan_determinismE0ELb0ELb0ES3_PiS8_iN6thrust23THRUST_200600_302600_NS4plusIvEEiEEDaPvRmT3_T4_T5_mT6_P12ihipStream_tbENKUlT_T0_E_clISt17integral_constantIbLb0EESP_IbLb1EEEEDaSL_SM_EUlSL_E0_NS1_11comp_targetILNS1_3genE8ELNS1_11target_archE1030ELNS1_3gpuE2ELNS1_3repE0EEENS1_30default_config_static_selectorELNS0_4arch9wavefront6targetE1EEEvT1_
; %bb.0:
	.section	.rodata,"a",@progbits
	.p2align	6, 0x0
	.amdhsa_kernel _ZN7rocprim17ROCPRIM_400000_NS6detail17trampoline_kernelINS0_14default_configENS1_20scan_config_selectorIiEEZZNS1_9scan_implILNS1_25lookback_scan_determinismE0ELb0ELb0ES3_PiS8_iN6thrust23THRUST_200600_302600_NS4plusIvEEiEEDaPvRmT3_T4_T5_mT6_P12ihipStream_tbENKUlT_T0_E_clISt17integral_constantIbLb0EESP_IbLb1EEEEDaSL_SM_EUlSL_E0_NS1_11comp_targetILNS1_3genE8ELNS1_11target_archE1030ELNS1_3gpuE2ELNS1_3repE0EEENS1_30default_config_static_selectorELNS0_4arch9wavefront6targetE1EEEvT1_
		.amdhsa_group_segment_fixed_size 0
		.amdhsa_private_segment_fixed_size 0
		.amdhsa_kernarg_size 32
		.amdhsa_user_sgpr_count 6
		.amdhsa_user_sgpr_private_segment_buffer 1
		.amdhsa_user_sgpr_dispatch_ptr 0
		.amdhsa_user_sgpr_queue_ptr 0
		.amdhsa_user_sgpr_kernarg_segment_ptr 1
		.amdhsa_user_sgpr_dispatch_id 0
		.amdhsa_user_sgpr_flat_scratch_init 0
		.amdhsa_user_sgpr_kernarg_preload_length 0
		.amdhsa_user_sgpr_kernarg_preload_offset 0
		.amdhsa_user_sgpr_private_segment_size 0
		.amdhsa_uses_dynamic_stack 0
		.amdhsa_system_sgpr_private_segment_wavefront_offset 0
		.amdhsa_system_sgpr_workgroup_id_x 1
		.amdhsa_system_sgpr_workgroup_id_y 0
		.amdhsa_system_sgpr_workgroup_id_z 0
		.amdhsa_system_sgpr_workgroup_info 0
		.amdhsa_system_vgpr_workitem_id 0
		.amdhsa_next_free_vgpr 1
		.amdhsa_next_free_sgpr 0
		.amdhsa_accum_offset 4
		.amdhsa_reserve_vcc 0
		.amdhsa_reserve_flat_scratch 0
		.amdhsa_float_round_mode_32 0
		.amdhsa_float_round_mode_16_64 0
		.amdhsa_float_denorm_mode_32 3
		.amdhsa_float_denorm_mode_16_64 3
		.amdhsa_dx10_clamp 1
		.amdhsa_ieee_mode 1
		.amdhsa_fp16_overflow 0
		.amdhsa_tg_split 0
		.amdhsa_exception_fp_ieee_invalid_op 0
		.amdhsa_exception_fp_denorm_src 0
		.amdhsa_exception_fp_ieee_div_zero 0
		.amdhsa_exception_fp_ieee_overflow 0
		.amdhsa_exception_fp_ieee_underflow 0
		.amdhsa_exception_fp_ieee_inexact 0
		.amdhsa_exception_int_div_zero 0
	.end_amdhsa_kernel
	.section	.text._ZN7rocprim17ROCPRIM_400000_NS6detail17trampoline_kernelINS0_14default_configENS1_20scan_config_selectorIiEEZZNS1_9scan_implILNS1_25lookback_scan_determinismE0ELb0ELb0ES3_PiS8_iN6thrust23THRUST_200600_302600_NS4plusIvEEiEEDaPvRmT3_T4_T5_mT6_P12ihipStream_tbENKUlT_T0_E_clISt17integral_constantIbLb0EESP_IbLb1EEEEDaSL_SM_EUlSL_E0_NS1_11comp_targetILNS1_3genE8ELNS1_11target_archE1030ELNS1_3gpuE2ELNS1_3repE0EEENS1_30default_config_static_selectorELNS0_4arch9wavefront6targetE1EEEvT1_,"axG",@progbits,_ZN7rocprim17ROCPRIM_400000_NS6detail17trampoline_kernelINS0_14default_configENS1_20scan_config_selectorIiEEZZNS1_9scan_implILNS1_25lookback_scan_determinismE0ELb0ELb0ES3_PiS8_iN6thrust23THRUST_200600_302600_NS4plusIvEEiEEDaPvRmT3_T4_T5_mT6_P12ihipStream_tbENKUlT_T0_E_clISt17integral_constantIbLb0EESP_IbLb1EEEEDaSL_SM_EUlSL_E0_NS1_11comp_targetILNS1_3genE8ELNS1_11target_archE1030ELNS1_3gpuE2ELNS1_3repE0EEENS1_30default_config_static_selectorELNS0_4arch9wavefront6targetE1EEEvT1_,comdat
.Lfunc_end102:
	.size	_ZN7rocprim17ROCPRIM_400000_NS6detail17trampoline_kernelINS0_14default_configENS1_20scan_config_selectorIiEEZZNS1_9scan_implILNS1_25lookback_scan_determinismE0ELb0ELb0ES3_PiS8_iN6thrust23THRUST_200600_302600_NS4plusIvEEiEEDaPvRmT3_T4_T5_mT6_P12ihipStream_tbENKUlT_T0_E_clISt17integral_constantIbLb0EESP_IbLb1EEEEDaSL_SM_EUlSL_E0_NS1_11comp_targetILNS1_3genE8ELNS1_11target_archE1030ELNS1_3gpuE2ELNS1_3repE0EEENS1_30default_config_static_selectorELNS0_4arch9wavefront6targetE1EEEvT1_, .Lfunc_end102-_ZN7rocprim17ROCPRIM_400000_NS6detail17trampoline_kernelINS0_14default_configENS1_20scan_config_selectorIiEEZZNS1_9scan_implILNS1_25lookback_scan_determinismE0ELb0ELb0ES3_PiS8_iN6thrust23THRUST_200600_302600_NS4plusIvEEiEEDaPvRmT3_T4_T5_mT6_P12ihipStream_tbENKUlT_T0_E_clISt17integral_constantIbLb0EESP_IbLb1EEEEDaSL_SM_EUlSL_E0_NS1_11comp_targetILNS1_3genE8ELNS1_11target_archE1030ELNS1_3gpuE2ELNS1_3repE0EEENS1_30default_config_static_selectorELNS0_4arch9wavefront6targetE1EEEvT1_
                                        ; -- End function
	.section	.AMDGPU.csdata,"",@progbits
; Kernel info:
; codeLenInByte = 0
; NumSgprs: 4
; NumVgprs: 0
; NumAgprs: 0
; TotalNumVgprs: 0
; ScratchSize: 0
; MemoryBound: 0
; FloatMode: 240
; IeeeMode: 1
; LDSByteSize: 0 bytes/workgroup (compile time only)
; SGPRBlocks: 0
; VGPRBlocks: 0
; NumSGPRsForWavesPerEU: 4
; NumVGPRsForWavesPerEU: 1
; AccumOffset: 4
; Occupancy: 8
; WaveLimiterHint : 0
; COMPUTE_PGM_RSRC2:SCRATCH_EN: 0
; COMPUTE_PGM_RSRC2:USER_SGPR: 6
; COMPUTE_PGM_RSRC2:TRAP_HANDLER: 0
; COMPUTE_PGM_RSRC2:TGID_X_EN: 1
; COMPUTE_PGM_RSRC2:TGID_Y_EN: 0
; COMPUTE_PGM_RSRC2:TGID_Z_EN: 0
; COMPUTE_PGM_RSRC2:TIDIG_COMP_CNT: 0
; COMPUTE_PGM_RSRC3_GFX90A:ACCUM_OFFSET: 0
; COMPUTE_PGM_RSRC3_GFX90A:TG_SPLIT: 0
	.section	.text._ZN7rocprim17ROCPRIM_400000_NS6detail31init_lookback_scan_state_kernelINS1_19lookback_scan_stateImLb0ELb1EEENS1_16block_id_wrapperIjLb0EEEEEvT_jT0_jPNS7_10value_typeE,"axG",@progbits,_ZN7rocprim17ROCPRIM_400000_NS6detail31init_lookback_scan_state_kernelINS1_19lookback_scan_stateImLb0ELb1EEENS1_16block_id_wrapperIjLb0EEEEEvT_jT0_jPNS7_10value_typeE,comdat
	.protected	_ZN7rocprim17ROCPRIM_400000_NS6detail31init_lookback_scan_state_kernelINS1_19lookback_scan_stateImLb0ELb1EEENS1_16block_id_wrapperIjLb0EEEEEvT_jT0_jPNS7_10value_typeE ; -- Begin function _ZN7rocprim17ROCPRIM_400000_NS6detail31init_lookback_scan_state_kernelINS1_19lookback_scan_stateImLb0ELb1EEENS1_16block_id_wrapperIjLb0EEEEEvT_jT0_jPNS7_10value_typeE
	.globl	_ZN7rocprim17ROCPRIM_400000_NS6detail31init_lookback_scan_state_kernelINS1_19lookback_scan_stateImLb0ELb1EEENS1_16block_id_wrapperIjLb0EEEEEvT_jT0_jPNS7_10value_typeE
	.p2align	8
	.type	_ZN7rocprim17ROCPRIM_400000_NS6detail31init_lookback_scan_state_kernelINS1_19lookback_scan_stateImLb0ELb1EEENS1_16block_id_wrapperIjLb0EEEEEvT_jT0_jPNS7_10value_typeE,@function
_ZN7rocprim17ROCPRIM_400000_NS6detail31init_lookback_scan_state_kernelINS1_19lookback_scan_stateImLb0ELb1EEENS1_16block_id_wrapperIjLb0EEEEEvT_jT0_jPNS7_10value_typeE: ; @_ZN7rocprim17ROCPRIM_400000_NS6detail31init_lookback_scan_state_kernelINS1_19lookback_scan_stateImLb0ELb1EEENS1_16block_id_wrapperIjLb0EEEEEvT_jT0_jPNS7_10value_typeE
; %bb.0:
	s_load_dword s7, s[4:5], 0x2c
	s_load_dwordx2 s[2:3], s[4:5], 0x18
	s_load_dwordx2 s[0:1], s[4:5], 0x0
	s_load_dword s12, s[4:5], 0x8
	s_waitcnt lgkmcnt(0)
	s_and_b32 s7, s7, 0xffff
	s_mul_i32 s6, s6, s7
	s_cmp_eq_u64 s[2:3], 0
	v_add_u32_e32 v0, s6, v0
	s_cbranch_scc1 .LBB103_8
; %bb.1:
	s_load_dword s6, s[4:5], 0x10
	s_mov_b32 s7, 0
	s_waitcnt lgkmcnt(0)
	s_cmp_lt_u32 s6, s12
	s_cselect_b32 s4, s6, 0
	v_cmp_eq_u32_e32 vcc, s4, v0
	s_and_saveexec_b64 s[4:5], vcc
	s_cbranch_execz .LBB103_7
; %bb.2:
	s_add_i32 s6, s6, 64
	s_lshl_b64 s[6:7], s[6:7], 4
	s_add_u32 s10, s0, s6
	s_addc_u32 s11, s1, s7
	v_pk_mov_b32 v[2:3], s[10:11], s[10:11] op_sel:[0,1]
	;;#ASMSTART
	global_load_dwordx4 v[2:5], v[2:3] off glc	
s_waitcnt vmcnt(0)
	;;#ASMEND
	v_mov_b32_e32 v7, 0
	v_and_b32_e32 v6, 0xff, v4
	s_mov_b64 s[8:9], 0
	v_cmp_eq_u64_e32 vcc, 0, v[6:7]
	s_and_saveexec_b64 s[6:7], vcc
	s_cbranch_execz .LBB103_6
; %bb.3:
	v_pk_mov_b32 v[8:9], s[10:11], s[10:11] op_sel:[0,1]
.LBB103_4:                              ; =>This Inner Loop Header: Depth=1
	;;#ASMSTART
	global_load_dwordx4 v[2:5], v[8:9] off glc	
s_waitcnt vmcnt(0)
	;;#ASMEND
	v_and_b32_e32 v6, 0xff, v4
	v_cmp_ne_u64_e32 vcc, 0, v[6:7]
	s_or_b64 s[8:9], vcc, s[8:9]
	s_andn2_b64 exec, exec, s[8:9]
	s_cbranch_execnz .LBB103_4
; %bb.5:
	s_or_b64 exec, exec, s[8:9]
.LBB103_6:
	s_or_b64 exec, exec, s[6:7]
	v_mov_b32_e32 v1, 0
	global_store_dwordx2 v1, v[2:3], s[2:3]
.LBB103_7:
	s_or_b64 exec, exec, s[4:5]
.LBB103_8:
	v_cmp_gt_u32_e32 vcc, s12, v0
	s_and_saveexec_b64 s[2:3], vcc
	s_cbranch_execnz .LBB103_11
; %bb.9:
	s_or_b64 exec, exec, s[2:3]
	v_cmp_gt_u32_e32 vcc, 64, v0
	s_and_saveexec_b64 s[2:3], vcc
	s_cbranch_execnz .LBB103_12
.LBB103_10:
	s_endpgm
.LBB103_11:
	v_add_u32_e32 v2, 64, v0
	v_mov_b32_e32 v3, 0
	v_lshlrev_b64 v[4:5], 4, v[2:3]
	v_mov_b32_e32 v1, s1
	v_add_co_u32_e32 v6, vcc, s0, v4
	v_addc_co_u32_e32 v7, vcc, v1, v5, vcc
	v_mov_b32_e32 v2, v3
	v_mov_b32_e32 v4, v3
	;; [unrolled: 1-line block ×3, first 2 shown]
	global_store_dwordx4 v[6:7], v[2:5], off
	s_or_b64 exec, exec, s[2:3]
	v_cmp_gt_u32_e32 vcc, 64, v0
	s_and_saveexec_b64 s[2:3], vcc
	s_cbranch_execz .LBB103_10
.LBB103_12:
	v_mov_b32_e32 v1, 0
	v_lshlrev_b64 v[2:3], 4, v[0:1]
	v_mov_b32_e32 v0, s1
	v_add_co_u32_e32 v4, vcc, s0, v2
	v_addc_co_u32_e32 v5, vcc, v0, v3, vcc
	v_mov_b32_e32 v2, 0xff
	v_mov_b32_e32 v0, v1
	;; [unrolled: 1-line block ×3, first 2 shown]
	global_store_dwordx4 v[4:5], v[0:3], off
	s_endpgm
	.section	.rodata,"a",@progbits
	.p2align	6, 0x0
	.amdhsa_kernel _ZN7rocprim17ROCPRIM_400000_NS6detail31init_lookback_scan_state_kernelINS1_19lookback_scan_stateImLb0ELb1EEENS1_16block_id_wrapperIjLb0EEEEEvT_jT0_jPNS7_10value_typeE
		.amdhsa_group_segment_fixed_size 0
		.amdhsa_private_segment_fixed_size 0
		.amdhsa_kernarg_size 288
		.amdhsa_user_sgpr_count 6
		.amdhsa_user_sgpr_private_segment_buffer 1
		.amdhsa_user_sgpr_dispatch_ptr 0
		.amdhsa_user_sgpr_queue_ptr 0
		.amdhsa_user_sgpr_kernarg_segment_ptr 1
		.amdhsa_user_sgpr_dispatch_id 0
		.amdhsa_user_sgpr_flat_scratch_init 0
		.amdhsa_user_sgpr_kernarg_preload_length 0
		.amdhsa_user_sgpr_kernarg_preload_offset 0
		.amdhsa_user_sgpr_private_segment_size 0
		.amdhsa_uses_dynamic_stack 0
		.amdhsa_system_sgpr_private_segment_wavefront_offset 0
		.amdhsa_system_sgpr_workgroup_id_x 1
		.amdhsa_system_sgpr_workgroup_id_y 0
		.amdhsa_system_sgpr_workgroup_id_z 0
		.amdhsa_system_sgpr_workgroup_info 0
		.amdhsa_system_vgpr_workitem_id 0
		.amdhsa_next_free_vgpr 10
		.amdhsa_next_free_sgpr 13
		.amdhsa_accum_offset 12
		.amdhsa_reserve_vcc 1
		.amdhsa_reserve_flat_scratch 0
		.amdhsa_float_round_mode_32 0
		.amdhsa_float_round_mode_16_64 0
		.amdhsa_float_denorm_mode_32 3
		.amdhsa_float_denorm_mode_16_64 3
		.amdhsa_dx10_clamp 1
		.amdhsa_ieee_mode 1
		.amdhsa_fp16_overflow 0
		.amdhsa_tg_split 0
		.amdhsa_exception_fp_ieee_invalid_op 0
		.amdhsa_exception_fp_denorm_src 0
		.amdhsa_exception_fp_ieee_div_zero 0
		.amdhsa_exception_fp_ieee_overflow 0
		.amdhsa_exception_fp_ieee_underflow 0
		.amdhsa_exception_fp_ieee_inexact 0
		.amdhsa_exception_int_div_zero 0
	.end_amdhsa_kernel
	.section	.text._ZN7rocprim17ROCPRIM_400000_NS6detail31init_lookback_scan_state_kernelINS1_19lookback_scan_stateImLb0ELb1EEENS1_16block_id_wrapperIjLb0EEEEEvT_jT0_jPNS7_10value_typeE,"axG",@progbits,_ZN7rocprim17ROCPRIM_400000_NS6detail31init_lookback_scan_state_kernelINS1_19lookback_scan_stateImLb0ELb1EEENS1_16block_id_wrapperIjLb0EEEEEvT_jT0_jPNS7_10value_typeE,comdat
.Lfunc_end103:
	.size	_ZN7rocprim17ROCPRIM_400000_NS6detail31init_lookback_scan_state_kernelINS1_19lookback_scan_stateImLb0ELb1EEENS1_16block_id_wrapperIjLb0EEEEEvT_jT0_jPNS7_10value_typeE, .Lfunc_end103-_ZN7rocprim17ROCPRIM_400000_NS6detail31init_lookback_scan_state_kernelINS1_19lookback_scan_stateImLb0ELb1EEENS1_16block_id_wrapperIjLb0EEEEEvT_jT0_jPNS7_10value_typeE
                                        ; -- End function
	.section	.AMDGPU.csdata,"",@progbits
; Kernel info:
; codeLenInByte = 384
; NumSgprs: 17
; NumVgprs: 10
; NumAgprs: 0
; TotalNumVgprs: 10
; ScratchSize: 0
; MemoryBound: 0
; FloatMode: 240
; IeeeMode: 1
; LDSByteSize: 0 bytes/workgroup (compile time only)
; SGPRBlocks: 2
; VGPRBlocks: 1
; NumSGPRsForWavesPerEU: 17
; NumVGPRsForWavesPerEU: 10
; AccumOffset: 12
; Occupancy: 8
; WaveLimiterHint : 0
; COMPUTE_PGM_RSRC2:SCRATCH_EN: 0
; COMPUTE_PGM_RSRC2:USER_SGPR: 6
; COMPUTE_PGM_RSRC2:TRAP_HANDLER: 0
; COMPUTE_PGM_RSRC2:TGID_X_EN: 1
; COMPUTE_PGM_RSRC2:TGID_Y_EN: 0
; COMPUTE_PGM_RSRC2:TGID_Z_EN: 0
; COMPUTE_PGM_RSRC2:TIDIG_COMP_CNT: 0
; COMPUTE_PGM_RSRC3_GFX90A:ACCUM_OFFSET: 2
; COMPUTE_PGM_RSRC3_GFX90A:TG_SPLIT: 0
	.section	.text._ZN7rocprim17ROCPRIM_400000_NS6detail17trampoline_kernelINS0_14default_configENS1_25partition_config_selectorILNS1_17partition_subalgoE5EiNS0_10empty_typeEbEEZZNS1_14partition_implILS5_5ELb0ES3_mPiPS6_N6thrust23THRUST_200600_302600_NS18transform_iteratorINSC_6detail9not_fun_tIN6dUtils8isNotOneIiEEEES9_NSC_11use_defaultESK_EENS0_5tupleIJS9_S6_EEENSM_IJSA_SA_EEES6_PlJS6_EEE10hipError_tPvRmT3_T4_T5_T6_T7_T9_mT8_P12ihipStream_tbDpT10_ENKUlT_T0_E_clISt17integral_constantIbLb0EES19_EEDaS14_S15_EUlS14_E_NS1_11comp_targetILNS1_3genE0ELNS1_11target_archE4294967295ELNS1_3gpuE0ELNS1_3repE0EEENS1_30default_config_static_selectorELNS0_4arch9wavefront6targetE1EEEvT1_,"axG",@progbits,_ZN7rocprim17ROCPRIM_400000_NS6detail17trampoline_kernelINS0_14default_configENS1_25partition_config_selectorILNS1_17partition_subalgoE5EiNS0_10empty_typeEbEEZZNS1_14partition_implILS5_5ELb0ES3_mPiPS6_N6thrust23THRUST_200600_302600_NS18transform_iteratorINSC_6detail9not_fun_tIN6dUtils8isNotOneIiEEEES9_NSC_11use_defaultESK_EENS0_5tupleIJS9_S6_EEENSM_IJSA_SA_EEES6_PlJS6_EEE10hipError_tPvRmT3_T4_T5_T6_T7_T9_mT8_P12ihipStream_tbDpT10_ENKUlT_T0_E_clISt17integral_constantIbLb0EES19_EEDaS14_S15_EUlS14_E_NS1_11comp_targetILNS1_3genE0ELNS1_11target_archE4294967295ELNS1_3gpuE0ELNS1_3repE0EEENS1_30default_config_static_selectorELNS0_4arch9wavefront6targetE1EEEvT1_,comdat
	.protected	_ZN7rocprim17ROCPRIM_400000_NS6detail17trampoline_kernelINS0_14default_configENS1_25partition_config_selectorILNS1_17partition_subalgoE5EiNS0_10empty_typeEbEEZZNS1_14partition_implILS5_5ELb0ES3_mPiPS6_N6thrust23THRUST_200600_302600_NS18transform_iteratorINSC_6detail9not_fun_tIN6dUtils8isNotOneIiEEEES9_NSC_11use_defaultESK_EENS0_5tupleIJS9_S6_EEENSM_IJSA_SA_EEES6_PlJS6_EEE10hipError_tPvRmT3_T4_T5_T6_T7_T9_mT8_P12ihipStream_tbDpT10_ENKUlT_T0_E_clISt17integral_constantIbLb0EES19_EEDaS14_S15_EUlS14_E_NS1_11comp_targetILNS1_3genE0ELNS1_11target_archE4294967295ELNS1_3gpuE0ELNS1_3repE0EEENS1_30default_config_static_selectorELNS0_4arch9wavefront6targetE1EEEvT1_ ; -- Begin function _ZN7rocprim17ROCPRIM_400000_NS6detail17trampoline_kernelINS0_14default_configENS1_25partition_config_selectorILNS1_17partition_subalgoE5EiNS0_10empty_typeEbEEZZNS1_14partition_implILS5_5ELb0ES3_mPiPS6_N6thrust23THRUST_200600_302600_NS18transform_iteratorINSC_6detail9not_fun_tIN6dUtils8isNotOneIiEEEES9_NSC_11use_defaultESK_EENS0_5tupleIJS9_S6_EEENSM_IJSA_SA_EEES6_PlJS6_EEE10hipError_tPvRmT3_T4_T5_T6_T7_T9_mT8_P12ihipStream_tbDpT10_ENKUlT_T0_E_clISt17integral_constantIbLb0EES19_EEDaS14_S15_EUlS14_E_NS1_11comp_targetILNS1_3genE0ELNS1_11target_archE4294967295ELNS1_3gpuE0ELNS1_3repE0EEENS1_30default_config_static_selectorELNS0_4arch9wavefront6targetE1EEEvT1_
	.globl	_ZN7rocprim17ROCPRIM_400000_NS6detail17trampoline_kernelINS0_14default_configENS1_25partition_config_selectorILNS1_17partition_subalgoE5EiNS0_10empty_typeEbEEZZNS1_14partition_implILS5_5ELb0ES3_mPiPS6_N6thrust23THRUST_200600_302600_NS18transform_iteratorINSC_6detail9not_fun_tIN6dUtils8isNotOneIiEEEES9_NSC_11use_defaultESK_EENS0_5tupleIJS9_S6_EEENSM_IJSA_SA_EEES6_PlJS6_EEE10hipError_tPvRmT3_T4_T5_T6_T7_T9_mT8_P12ihipStream_tbDpT10_ENKUlT_T0_E_clISt17integral_constantIbLb0EES19_EEDaS14_S15_EUlS14_E_NS1_11comp_targetILNS1_3genE0ELNS1_11target_archE4294967295ELNS1_3gpuE0ELNS1_3repE0EEENS1_30default_config_static_selectorELNS0_4arch9wavefront6targetE1EEEvT1_
	.p2align	8
	.type	_ZN7rocprim17ROCPRIM_400000_NS6detail17trampoline_kernelINS0_14default_configENS1_25partition_config_selectorILNS1_17partition_subalgoE5EiNS0_10empty_typeEbEEZZNS1_14partition_implILS5_5ELb0ES3_mPiPS6_N6thrust23THRUST_200600_302600_NS18transform_iteratorINSC_6detail9not_fun_tIN6dUtils8isNotOneIiEEEES9_NSC_11use_defaultESK_EENS0_5tupleIJS9_S6_EEENSM_IJSA_SA_EEES6_PlJS6_EEE10hipError_tPvRmT3_T4_T5_T6_T7_T9_mT8_P12ihipStream_tbDpT10_ENKUlT_T0_E_clISt17integral_constantIbLb0EES19_EEDaS14_S15_EUlS14_E_NS1_11comp_targetILNS1_3genE0ELNS1_11target_archE4294967295ELNS1_3gpuE0ELNS1_3repE0EEENS1_30default_config_static_selectorELNS0_4arch9wavefront6targetE1EEEvT1_,@function
_ZN7rocprim17ROCPRIM_400000_NS6detail17trampoline_kernelINS0_14default_configENS1_25partition_config_selectorILNS1_17partition_subalgoE5EiNS0_10empty_typeEbEEZZNS1_14partition_implILS5_5ELb0ES3_mPiPS6_N6thrust23THRUST_200600_302600_NS18transform_iteratorINSC_6detail9not_fun_tIN6dUtils8isNotOneIiEEEES9_NSC_11use_defaultESK_EENS0_5tupleIJS9_S6_EEENSM_IJSA_SA_EEES6_PlJS6_EEE10hipError_tPvRmT3_T4_T5_T6_T7_T9_mT8_P12ihipStream_tbDpT10_ENKUlT_T0_E_clISt17integral_constantIbLb0EES19_EEDaS14_S15_EUlS14_E_NS1_11comp_targetILNS1_3genE0ELNS1_11target_archE4294967295ELNS1_3gpuE0ELNS1_3repE0EEENS1_30default_config_static_selectorELNS0_4arch9wavefront6targetE1EEEvT1_: ; @_ZN7rocprim17ROCPRIM_400000_NS6detail17trampoline_kernelINS0_14default_configENS1_25partition_config_selectorILNS1_17partition_subalgoE5EiNS0_10empty_typeEbEEZZNS1_14partition_implILS5_5ELb0ES3_mPiPS6_N6thrust23THRUST_200600_302600_NS18transform_iteratorINSC_6detail9not_fun_tIN6dUtils8isNotOneIiEEEES9_NSC_11use_defaultESK_EENS0_5tupleIJS9_S6_EEENSM_IJSA_SA_EEES6_PlJS6_EEE10hipError_tPvRmT3_T4_T5_T6_T7_T9_mT8_P12ihipStream_tbDpT10_ENKUlT_T0_E_clISt17integral_constantIbLb0EES19_EEDaS14_S15_EUlS14_E_NS1_11comp_targetILNS1_3genE0ELNS1_11target_archE4294967295ELNS1_3gpuE0ELNS1_3repE0EEENS1_30default_config_static_selectorELNS0_4arch9wavefront6targetE1EEEvT1_
; %bb.0:
	.section	.rodata,"a",@progbits
	.p2align	6, 0x0
	.amdhsa_kernel _ZN7rocprim17ROCPRIM_400000_NS6detail17trampoline_kernelINS0_14default_configENS1_25partition_config_selectorILNS1_17partition_subalgoE5EiNS0_10empty_typeEbEEZZNS1_14partition_implILS5_5ELb0ES3_mPiPS6_N6thrust23THRUST_200600_302600_NS18transform_iteratorINSC_6detail9not_fun_tIN6dUtils8isNotOneIiEEEES9_NSC_11use_defaultESK_EENS0_5tupleIJS9_S6_EEENSM_IJSA_SA_EEES6_PlJS6_EEE10hipError_tPvRmT3_T4_T5_T6_T7_T9_mT8_P12ihipStream_tbDpT10_ENKUlT_T0_E_clISt17integral_constantIbLb0EES19_EEDaS14_S15_EUlS14_E_NS1_11comp_targetILNS1_3genE0ELNS1_11target_archE4294967295ELNS1_3gpuE0ELNS1_3repE0EEENS1_30default_config_static_selectorELNS0_4arch9wavefront6targetE1EEEvT1_
		.amdhsa_group_segment_fixed_size 0
		.amdhsa_private_segment_fixed_size 0
		.amdhsa_kernarg_size 120
		.amdhsa_user_sgpr_count 6
		.amdhsa_user_sgpr_private_segment_buffer 1
		.amdhsa_user_sgpr_dispatch_ptr 0
		.amdhsa_user_sgpr_queue_ptr 0
		.amdhsa_user_sgpr_kernarg_segment_ptr 1
		.amdhsa_user_sgpr_dispatch_id 0
		.amdhsa_user_sgpr_flat_scratch_init 0
		.amdhsa_user_sgpr_kernarg_preload_length 0
		.amdhsa_user_sgpr_kernarg_preload_offset 0
		.amdhsa_user_sgpr_private_segment_size 0
		.amdhsa_uses_dynamic_stack 0
		.amdhsa_system_sgpr_private_segment_wavefront_offset 0
		.amdhsa_system_sgpr_workgroup_id_x 1
		.amdhsa_system_sgpr_workgroup_id_y 0
		.amdhsa_system_sgpr_workgroup_id_z 0
		.amdhsa_system_sgpr_workgroup_info 0
		.amdhsa_system_vgpr_workitem_id 0
		.amdhsa_next_free_vgpr 1
		.amdhsa_next_free_sgpr 0
		.amdhsa_accum_offset 4
		.amdhsa_reserve_vcc 0
		.amdhsa_reserve_flat_scratch 0
		.amdhsa_float_round_mode_32 0
		.amdhsa_float_round_mode_16_64 0
		.amdhsa_float_denorm_mode_32 3
		.amdhsa_float_denorm_mode_16_64 3
		.amdhsa_dx10_clamp 1
		.amdhsa_ieee_mode 1
		.amdhsa_fp16_overflow 0
		.amdhsa_tg_split 0
		.amdhsa_exception_fp_ieee_invalid_op 0
		.amdhsa_exception_fp_denorm_src 0
		.amdhsa_exception_fp_ieee_div_zero 0
		.amdhsa_exception_fp_ieee_overflow 0
		.amdhsa_exception_fp_ieee_underflow 0
		.amdhsa_exception_fp_ieee_inexact 0
		.amdhsa_exception_int_div_zero 0
	.end_amdhsa_kernel
	.section	.text._ZN7rocprim17ROCPRIM_400000_NS6detail17trampoline_kernelINS0_14default_configENS1_25partition_config_selectorILNS1_17partition_subalgoE5EiNS0_10empty_typeEbEEZZNS1_14partition_implILS5_5ELb0ES3_mPiPS6_N6thrust23THRUST_200600_302600_NS18transform_iteratorINSC_6detail9not_fun_tIN6dUtils8isNotOneIiEEEES9_NSC_11use_defaultESK_EENS0_5tupleIJS9_S6_EEENSM_IJSA_SA_EEES6_PlJS6_EEE10hipError_tPvRmT3_T4_T5_T6_T7_T9_mT8_P12ihipStream_tbDpT10_ENKUlT_T0_E_clISt17integral_constantIbLb0EES19_EEDaS14_S15_EUlS14_E_NS1_11comp_targetILNS1_3genE0ELNS1_11target_archE4294967295ELNS1_3gpuE0ELNS1_3repE0EEENS1_30default_config_static_selectorELNS0_4arch9wavefront6targetE1EEEvT1_,"axG",@progbits,_ZN7rocprim17ROCPRIM_400000_NS6detail17trampoline_kernelINS0_14default_configENS1_25partition_config_selectorILNS1_17partition_subalgoE5EiNS0_10empty_typeEbEEZZNS1_14partition_implILS5_5ELb0ES3_mPiPS6_N6thrust23THRUST_200600_302600_NS18transform_iteratorINSC_6detail9not_fun_tIN6dUtils8isNotOneIiEEEES9_NSC_11use_defaultESK_EENS0_5tupleIJS9_S6_EEENSM_IJSA_SA_EEES6_PlJS6_EEE10hipError_tPvRmT3_T4_T5_T6_T7_T9_mT8_P12ihipStream_tbDpT10_ENKUlT_T0_E_clISt17integral_constantIbLb0EES19_EEDaS14_S15_EUlS14_E_NS1_11comp_targetILNS1_3genE0ELNS1_11target_archE4294967295ELNS1_3gpuE0ELNS1_3repE0EEENS1_30default_config_static_selectorELNS0_4arch9wavefront6targetE1EEEvT1_,comdat
.Lfunc_end104:
	.size	_ZN7rocprim17ROCPRIM_400000_NS6detail17trampoline_kernelINS0_14default_configENS1_25partition_config_selectorILNS1_17partition_subalgoE5EiNS0_10empty_typeEbEEZZNS1_14partition_implILS5_5ELb0ES3_mPiPS6_N6thrust23THRUST_200600_302600_NS18transform_iteratorINSC_6detail9not_fun_tIN6dUtils8isNotOneIiEEEES9_NSC_11use_defaultESK_EENS0_5tupleIJS9_S6_EEENSM_IJSA_SA_EEES6_PlJS6_EEE10hipError_tPvRmT3_T4_T5_T6_T7_T9_mT8_P12ihipStream_tbDpT10_ENKUlT_T0_E_clISt17integral_constantIbLb0EES19_EEDaS14_S15_EUlS14_E_NS1_11comp_targetILNS1_3genE0ELNS1_11target_archE4294967295ELNS1_3gpuE0ELNS1_3repE0EEENS1_30default_config_static_selectorELNS0_4arch9wavefront6targetE1EEEvT1_, .Lfunc_end104-_ZN7rocprim17ROCPRIM_400000_NS6detail17trampoline_kernelINS0_14default_configENS1_25partition_config_selectorILNS1_17partition_subalgoE5EiNS0_10empty_typeEbEEZZNS1_14partition_implILS5_5ELb0ES3_mPiPS6_N6thrust23THRUST_200600_302600_NS18transform_iteratorINSC_6detail9not_fun_tIN6dUtils8isNotOneIiEEEES9_NSC_11use_defaultESK_EENS0_5tupleIJS9_S6_EEENSM_IJSA_SA_EEES6_PlJS6_EEE10hipError_tPvRmT3_T4_T5_T6_T7_T9_mT8_P12ihipStream_tbDpT10_ENKUlT_T0_E_clISt17integral_constantIbLb0EES19_EEDaS14_S15_EUlS14_E_NS1_11comp_targetILNS1_3genE0ELNS1_11target_archE4294967295ELNS1_3gpuE0ELNS1_3repE0EEENS1_30default_config_static_selectorELNS0_4arch9wavefront6targetE1EEEvT1_
                                        ; -- End function
	.section	.AMDGPU.csdata,"",@progbits
; Kernel info:
; codeLenInByte = 0
; NumSgprs: 4
; NumVgprs: 0
; NumAgprs: 0
; TotalNumVgprs: 0
; ScratchSize: 0
; MemoryBound: 0
; FloatMode: 240
; IeeeMode: 1
; LDSByteSize: 0 bytes/workgroup (compile time only)
; SGPRBlocks: 0
; VGPRBlocks: 0
; NumSGPRsForWavesPerEU: 4
; NumVGPRsForWavesPerEU: 1
; AccumOffset: 4
; Occupancy: 8
; WaveLimiterHint : 0
; COMPUTE_PGM_RSRC2:SCRATCH_EN: 0
; COMPUTE_PGM_RSRC2:USER_SGPR: 6
; COMPUTE_PGM_RSRC2:TRAP_HANDLER: 0
; COMPUTE_PGM_RSRC2:TGID_X_EN: 1
; COMPUTE_PGM_RSRC2:TGID_Y_EN: 0
; COMPUTE_PGM_RSRC2:TGID_Z_EN: 0
; COMPUTE_PGM_RSRC2:TIDIG_COMP_CNT: 0
; COMPUTE_PGM_RSRC3_GFX90A:ACCUM_OFFSET: 0
; COMPUTE_PGM_RSRC3_GFX90A:TG_SPLIT: 0
	.section	.text._ZN7rocprim17ROCPRIM_400000_NS6detail17trampoline_kernelINS0_14default_configENS1_25partition_config_selectorILNS1_17partition_subalgoE5EiNS0_10empty_typeEbEEZZNS1_14partition_implILS5_5ELb0ES3_mPiPS6_N6thrust23THRUST_200600_302600_NS18transform_iteratorINSC_6detail9not_fun_tIN6dUtils8isNotOneIiEEEES9_NSC_11use_defaultESK_EENS0_5tupleIJS9_S6_EEENSM_IJSA_SA_EEES6_PlJS6_EEE10hipError_tPvRmT3_T4_T5_T6_T7_T9_mT8_P12ihipStream_tbDpT10_ENKUlT_T0_E_clISt17integral_constantIbLb0EES19_EEDaS14_S15_EUlS14_E_NS1_11comp_targetILNS1_3genE5ELNS1_11target_archE942ELNS1_3gpuE9ELNS1_3repE0EEENS1_30default_config_static_selectorELNS0_4arch9wavefront6targetE1EEEvT1_,"axG",@progbits,_ZN7rocprim17ROCPRIM_400000_NS6detail17trampoline_kernelINS0_14default_configENS1_25partition_config_selectorILNS1_17partition_subalgoE5EiNS0_10empty_typeEbEEZZNS1_14partition_implILS5_5ELb0ES3_mPiPS6_N6thrust23THRUST_200600_302600_NS18transform_iteratorINSC_6detail9not_fun_tIN6dUtils8isNotOneIiEEEES9_NSC_11use_defaultESK_EENS0_5tupleIJS9_S6_EEENSM_IJSA_SA_EEES6_PlJS6_EEE10hipError_tPvRmT3_T4_T5_T6_T7_T9_mT8_P12ihipStream_tbDpT10_ENKUlT_T0_E_clISt17integral_constantIbLb0EES19_EEDaS14_S15_EUlS14_E_NS1_11comp_targetILNS1_3genE5ELNS1_11target_archE942ELNS1_3gpuE9ELNS1_3repE0EEENS1_30default_config_static_selectorELNS0_4arch9wavefront6targetE1EEEvT1_,comdat
	.protected	_ZN7rocprim17ROCPRIM_400000_NS6detail17trampoline_kernelINS0_14default_configENS1_25partition_config_selectorILNS1_17partition_subalgoE5EiNS0_10empty_typeEbEEZZNS1_14partition_implILS5_5ELb0ES3_mPiPS6_N6thrust23THRUST_200600_302600_NS18transform_iteratorINSC_6detail9not_fun_tIN6dUtils8isNotOneIiEEEES9_NSC_11use_defaultESK_EENS0_5tupleIJS9_S6_EEENSM_IJSA_SA_EEES6_PlJS6_EEE10hipError_tPvRmT3_T4_T5_T6_T7_T9_mT8_P12ihipStream_tbDpT10_ENKUlT_T0_E_clISt17integral_constantIbLb0EES19_EEDaS14_S15_EUlS14_E_NS1_11comp_targetILNS1_3genE5ELNS1_11target_archE942ELNS1_3gpuE9ELNS1_3repE0EEENS1_30default_config_static_selectorELNS0_4arch9wavefront6targetE1EEEvT1_ ; -- Begin function _ZN7rocprim17ROCPRIM_400000_NS6detail17trampoline_kernelINS0_14default_configENS1_25partition_config_selectorILNS1_17partition_subalgoE5EiNS0_10empty_typeEbEEZZNS1_14partition_implILS5_5ELb0ES3_mPiPS6_N6thrust23THRUST_200600_302600_NS18transform_iteratorINSC_6detail9not_fun_tIN6dUtils8isNotOneIiEEEES9_NSC_11use_defaultESK_EENS0_5tupleIJS9_S6_EEENSM_IJSA_SA_EEES6_PlJS6_EEE10hipError_tPvRmT3_T4_T5_T6_T7_T9_mT8_P12ihipStream_tbDpT10_ENKUlT_T0_E_clISt17integral_constantIbLb0EES19_EEDaS14_S15_EUlS14_E_NS1_11comp_targetILNS1_3genE5ELNS1_11target_archE942ELNS1_3gpuE9ELNS1_3repE0EEENS1_30default_config_static_selectorELNS0_4arch9wavefront6targetE1EEEvT1_
	.globl	_ZN7rocprim17ROCPRIM_400000_NS6detail17trampoline_kernelINS0_14default_configENS1_25partition_config_selectorILNS1_17partition_subalgoE5EiNS0_10empty_typeEbEEZZNS1_14partition_implILS5_5ELb0ES3_mPiPS6_N6thrust23THRUST_200600_302600_NS18transform_iteratorINSC_6detail9not_fun_tIN6dUtils8isNotOneIiEEEES9_NSC_11use_defaultESK_EENS0_5tupleIJS9_S6_EEENSM_IJSA_SA_EEES6_PlJS6_EEE10hipError_tPvRmT3_T4_T5_T6_T7_T9_mT8_P12ihipStream_tbDpT10_ENKUlT_T0_E_clISt17integral_constantIbLb0EES19_EEDaS14_S15_EUlS14_E_NS1_11comp_targetILNS1_3genE5ELNS1_11target_archE942ELNS1_3gpuE9ELNS1_3repE0EEENS1_30default_config_static_selectorELNS0_4arch9wavefront6targetE1EEEvT1_
	.p2align	8
	.type	_ZN7rocprim17ROCPRIM_400000_NS6detail17trampoline_kernelINS0_14default_configENS1_25partition_config_selectorILNS1_17partition_subalgoE5EiNS0_10empty_typeEbEEZZNS1_14partition_implILS5_5ELb0ES3_mPiPS6_N6thrust23THRUST_200600_302600_NS18transform_iteratorINSC_6detail9not_fun_tIN6dUtils8isNotOneIiEEEES9_NSC_11use_defaultESK_EENS0_5tupleIJS9_S6_EEENSM_IJSA_SA_EEES6_PlJS6_EEE10hipError_tPvRmT3_T4_T5_T6_T7_T9_mT8_P12ihipStream_tbDpT10_ENKUlT_T0_E_clISt17integral_constantIbLb0EES19_EEDaS14_S15_EUlS14_E_NS1_11comp_targetILNS1_3genE5ELNS1_11target_archE942ELNS1_3gpuE9ELNS1_3repE0EEENS1_30default_config_static_selectorELNS0_4arch9wavefront6targetE1EEEvT1_,@function
_ZN7rocprim17ROCPRIM_400000_NS6detail17trampoline_kernelINS0_14default_configENS1_25partition_config_selectorILNS1_17partition_subalgoE5EiNS0_10empty_typeEbEEZZNS1_14partition_implILS5_5ELb0ES3_mPiPS6_N6thrust23THRUST_200600_302600_NS18transform_iteratorINSC_6detail9not_fun_tIN6dUtils8isNotOneIiEEEES9_NSC_11use_defaultESK_EENS0_5tupleIJS9_S6_EEENSM_IJSA_SA_EEES6_PlJS6_EEE10hipError_tPvRmT3_T4_T5_T6_T7_T9_mT8_P12ihipStream_tbDpT10_ENKUlT_T0_E_clISt17integral_constantIbLb0EES19_EEDaS14_S15_EUlS14_E_NS1_11comp_targetILNS1_3genE5ELNS1_11target_archE942ELNS1_3gpuE9ELNS1_3repE0EEENS1_30default_config_static_selectorELNS0_4arch9wavefront6targetE1EEEvT1_: ; @_ZN7rocprim17ROCPRIM_400000_NS6detail17trampoline_kernelINS0_14default_configENS1_25partition_config_selectorILNS1_17partition_subalgoE5EiNS0_10empty_typeEbEEZZNS1_14partition_implILS5_5ELb0ES3_mPiPS6_N6thrust23THRUST_200600_302600_NS18transform_iteratorINSC_6detail9not_fun_tIN6dUtils8isNotOneIiEEEES9_NSC_11use_defaultESK_EENS0_5tupleIJS9_S6_EEENSM_IJSA_SA_EEES6_PlJS6_EEE10hipError_tPvRmT3_T4_T5_T6_T7_T9_mT8_P12ihipStream_tbDpT10_ENKUlT_T0_E_clISt17integral_constantIbLb0EES19_EEDaS14_S15_EUlS14_E_NS1_11comp_targetILNS1_3genE5ELNS1_11target_archE942ELNS1_3gpuE9ELNS1_3repE0EEENS1_30default_config_static_selectorELNS0_4arch9wavefront6targetE1EEEvT1_
; %bb.0:
	.section	.rodata,"a",@progbits
	.p2align	6, 0x0
	.amdhsa_kernel _ZN7rocprim17ROCPRIM_400000_NS6detail17trampoline_kernelINS0_14default_configENS1_25partition_config_selectorILNS1_17partition_subalgoE5EiNS0_10empty_typeEbEEZZNS1_14partition_implILS5_5ELb0ES3_mPiPS6_N6thrust23THRUST_200600_302600_NS18transform_iteratorINSC_6detail9not_fun_tIN6dUtils8isNotOneIiEEEES9_NSC_11use_defaultESK_EENS0_5tupleIJS9_S6_EEENSM_IJSA_SA_EEES6_PlJS6_EEE10hipError_tPvRmT3_T4_T5_T6_T7_T9_mT8_P12ihipStream_tbDpT10_ENKUlT_T0_E_clISt17integral_constantIbLb0EES19_EEDaS14_S15_EUlS14_E_NS1_11comp_targetILNS1_3genE5ELNS1_11target_archE942ELNS1_3gpuE9ELNS1_3repE0EEENS1_30default_config_static_selectorELNS0_4arch9wavefront6targetE1EEEvT1_
		.amdhsa_group_segment_fixed_size 0
		.amdhsa_private_segment_fixed_size 0
		.amdhsa_kernarg_size 120
		.amdhsa_user_sgpr_count 6
		.amdhsa_user_sgpr_private_segment_buffer 1
		.amdhsa_user_sgpr_dispatch_ptr 0
		.amdhsa_user_sgpr_queue_ptr 0
		.amdhsa_user_sgpr_kernarg_segment_ptr 1
		.amdhsa_user_sgpr_dispatch_id 0
		.amdhsa_user_sgpr_flat_scratch_init 0
		.amdhsa_user_sgpr_kernarg_preload_length 0
		.amdhsa_user_sgpr_kernarg_preload_offset 0
		.amdhsa_user_sgpr_private_segment_size 0
		.amdhsa_uses_dynamic_stack 0
		.amdhsa_system_sgpr_private_segment_wavefront_offset 0
		.amdhsa_system_sgpr_workgroup_id_x 1
		.amdhsa_system_sgpr_workgroup_id_y 0
		.amdhsa_system_sgpr_workgroup_id_z 0
		.amdhsa_system_sgpr_workgroup_info 0
		.amdhsa_system_vgpr_workitem_id 0
		.amdhsa_next_free_vgpr 1
		.amdhsa_next_free_sgpr 0
		.amdhsa_accum_offset 4
		.amdhsa_reserve_vcc 0
		.amdhsa_reserve_flat_scratch 0
		.amdhsa_float_round_mode_32 0
		.amdhsa_float_round_mode_16_64 0
		.amdhsa_float_denorm_mode_32 3
		.amdhsa_float_denorm_mode_16_64 3
		.amdhsa_dx10_clamp 1
		.amdhsa_ieee_mode 1
		.amdhsa_fp16_overflow 0
		.amdhsa_tg_split 0
		.amdhsa_exception_fp_ieee_invalid_op 0
		.amdhsa_exception_fp_denorm_src 0
		.amdhsa_exception_fp_ieee_div_zero 0
		.amdhsa_exception_fp_ieee_overflow 0
		.amdhsa_exception_fp_ieee_underflow 0
		.amdhsa_exception_fp_ieee_inexact 0
		.amdhsa_exception_int_div_zero 0
	.end_amdhsa_kernel
	.section	.text._ZN7rocprim17ROCPRIM_400000_NS6detail17trampoline_kernelINS0_14default_configENS1_25partition_config_selectorILNS1_17partition_subalgoE5EiNS0_10empty_typeEbEEZZNS1_14partition_implILS5_5ELb0ES3_mPiPS6_N6thrust23THRUST_200600_302600_NS18transform_iteratorINSC_6detail9not_fun_tIN6dUtils8isNotOneIiEEEES9_NSC_11use_defaultESK_EENS0_5tupleIJS9_S6_EEENSM_IJSA_SA_EEES6_PlJS6_EEE10hipError_tPvRmT3_T4_T5_T6_T7_T9_mT8_P12ihipStream_tbDpT10_ENKUlT_T0_E_clISt17integral_constantIbLb0EES19_EEDaS14_S15_EUlS14_E_NS1_11comp_targetILNS1_3genE5ELNS1_11target_archE942ELNS1_3gpuE9ELNS1_3repE0EEENS1_30default_config_static_selectorELNS0_4arch9wavefront6targetE1EEEvT1_,"axG",@progbits,_ZN7rocprim17ROCPRIM_400000_NS6detail17trampoline_kernelINS0_14default_configENS1_25partition_config_selectorILNS1_17partition_subalgoE5EiNS0_10empty_typeEbEEZZNS1_14partition_implILS5_5ELb0ES3_mPiPS6_N6thrust23THRUST_200600_302600_NS18transform_iteratorINSC_6detail9not_fun_tIN6dUtils8isNotOneIiEEEES9_NSC_11use_defaultESK_EENS0_5tupleIJS9_S6_EEENSM_IJSA_SA_EEES6_PlJS6_EEE10hipError_tPvRmT3_T4_T5_T6_T7_T9_mT8_P12ihipStream_tbDpT10_ENKUlT_T0_E_clISt17integral_constantIbLb0EES19_EEDaS14_S15_EUlS14_E_NS1_11comp_targetILNS1_3genE5ELNS1_11target_archE942ELNS1_3gpuE9ELNS1_3repE0EEENS1_30default_config_static_selectorELNS0_4arch9wavefront6targetE1EEEvT1_,comdat
.Lfunc_end105:
	.size	_ZN7rocprim17ROCPRIM_400000_NS6detail17trampoline_kernelINS0_14default_configENS1_25partition_config_selectorILNS1_17partition_subalgoE5EiNS0_10empty_typeEbEEZZNS1_14partition_implILS5_5ELb0ES3_mPiPS6_N6thrust23THRUST_200600_302600_NS18transform_iteratorINSC_6detail9not_fun_tIN6dUtils8isNotOneIiEEEES9_NSC_11use_defaultESK_EENS0_5tupleIJS9_S6_EEENSM_IJSA_SA_EEES6_PlJS6_EEE10hipError_tPvRmT3_T4_T5_T6_T7_T9_mT8_P12ihipStream_tbDpT10_ENKUlT_T0_E_clISt17integral_constantIbLb0EES19_EEDaS14_S15_EUlS14_E_NS1_11comp_targetILNS1_3genE5ELNS1_11target_archE942ELNS1_3gpuE9ELNS1_3repE0EEENS1_30default_config_static_selectorELNS0_4arch9wavefront6targetE1EEEvT1_, .Lfunc_end105-_ZN7rocprim17ROCPRIM_400000_NS6detail17trampoline_kernelINS0_14default_configENS1_25partition_config_selectorILNS1_17partition_subalgoE5EiNS0_10empty_typeEbEEZZNS1_14partition_implILS5_5ELb0ES3_mPiPS6_N6thrust23THRUST_200600_302600_NS18transform_iteratorINSC_6detail9not_fun_tIN6dUtils8isNotOneIiEEEES9_NSC_11use_defaultESK_EENS0_5tupleIJS9_S6_EEENSM_IJSA_SA_EEES6_PlJS6_EEE10hipError_tPvRmT3_T4_T5_T6_T7_T9_mT8_P12ihipStream_tbDpT10_ENKUlT_T0_E_clISt17integral_constantIbLb0EES19_EEDaS14_S15_EUlS14_E_NS1_11comp_targetILNS1_3genE5ELNS1_11target_archE942ELNS1_3gpuE9ELNS1_3repE0EEENS1_30default_config_static_selectorELNS0_4arch9wavefront6targetE1EEEvT1_
                                        ; -- End function
	.section	.AMDGPU.csdata,"",@progbits
; Kernel info:
; codeLenInByte = 0
; NumSgprs: 4
; NumVgprs: 0
; NumAgprs: 0
; TotalNumVgprs: 0
; ScratchSize: 0
; MemoryBound: 0
; FloatMode: 240
; IeeeMode: 1
; LDSByteSize: 0 bytes/workgroup (compile time only)
; SGPRBlocks: 0
; VGPRBlocks: 0
; NumSGPRsForWavesPerEU: 4
; NumVGPRsForWavesPerEU: 1
; AccumOffset: 4
; Occupancy: 8
; WaveLimiterHint : 0
; COMPUTE_PGM_RSRC2:SCRATCH_EN: 0
; COMPUTE_PGM_RSRC2:USER_SGPR: 6
; COMPUTE_PGM_RSRC2:TRAP_HANDLER: 0
; COMPUTE_PGM_RSRC2:TGID_X_EN: 1
; COMPUTE_PGM_RSRC2:TGID_Y_EN: 0
; COMPUTE_PGM_RSRC2:TGID_Z_EN: 0
; COMPUTE_PGM_RSRC2:TIDIG_COMP_CNT: 0
; COMPUTE_PGM_RSRC3_GFX90A:ACCUM_OFFSET: 0
; COMPUTE_PGM_RSRC3_GFX90A:TG_SPLIT: 0
	.section	.text._ZN7rocprim17ROCPRIM_400000_NS6detail17trampoline_kernelINS0_14default_configENS1_25partition_config_selectorILNS1_17partition_subalgoE5EiNS0_10empty_typeEbEEZZNS1_14partition_implILS5_5ELb0ES3_mPiPS6_N6thrust23THRUST_200600_302600_NS18transform_iteratorINSC_6detail9not_fun_tIN6dUtils8isNotOneIiEEEES9_NSC_11use_defaultESK_EENS0_5tupleIJS9_S6_EEENSM_IJSA_SA_EEES6_PlJS6_EEE10hipError_tPvRmT3_T4_T5_T6_T7_T9_mT8_P12ihipStream_tbDpT10_ENKUlT_T0_E_clISt17integral_constantIbLb0EES19_EEDaS14_S15_EUlS14_E_NS1_11comp_targetILNS1_3genE4ELNS1_11target_archE910ELNS1_3gpuE8ELNS1_3repE0EEENS1_30default_config_static_selectorELNS0_4arch9wavefront6targetE1EEEvT1_,"axG",@progbits,_ZN7rocprim17ROCPRIM_400000_NS6detail17trampoline_kernelINS0_14default_configENS1_25partition_config_selectorILNS1_17partition_subalgoE5EiNS0_10empty_typeEbEEZZNS1_14partition_implILS5_5ELb0ES3_mPiPS6_N6thrust23THRUST_200600_302600_NS18transform_iteratorINSC_6detail9not_fun_tIN6dUtils8isNotOneIiEEEES9_NSC_11use_defaultESK_EENS0_5tupleIJS9_S6_EEENSM_IJSA_SA_EEES6_PlJS6_EEE10hipError_tPvRmT3_T4_T5_T6_T7_T9_mT8_P12ihipStream_tbDpT10_ENKUlT_T0_E_clISt17integral_constantIbLb0EES19_EEDaS14_S15_EUlS14_E_NS1_11comp_targetILNS1_3genE4ELNS1_11target_archE910ELNS1_3gpuE8ELNS1_3repE0EEENS1_30default_config_static_selectorELNS0_4arch9wavefront6targetE1EEEvT1_,comdat
	.protected	_ZN7rocprim17ROCPRIM_400000_NS6detail17trampoline_kernelINS0_14default_configENS1_25partition_config_selectorILNS1_17partition_subalgoE5EiNS0_10empty_typeEbEEZZNS1_14partition_implILS5_5ELb0ES3_mPiPS6_N6thrust23THRUST_200600_302600_NS18transform_iteratorINSC_6detail9not_fun_tIN6dUtils8isNotOneIiEEEES9_NSC_11use_defaultESK_EENS0_5tupleIJS9_S6_EEENSM_IJSA_SA_EEES6_PlJS6_EEE10hipError_tPvRmT3_T4_T5_T6_T7_T9_mT8_P12ihipStream_tbDpT10_ENKUlT_T0_E_clISt17integral_constantIbLb0EES19_EEDaS14_S15_EUlS14_E_NS1_11comp_targetILNS1_3genE4ELNS1_11target_archE910ELNS1_3gpuE8ELNS1_3repE0EEENS1_30default_config_static_selectorELNS0_4arch9wavefront6targetE1EEEvT1_ ; -- Begin function _ZN7rocprim17ROCPRIM_400000_NS6detail17trampoline_kernelINS0_14default_configENS1_25partition_config_selectorILNS1_17partition_subalgoE5EiNS0_10empty_typeEbEEZZNS1_14partition_implILS5_5ELb0ES3_mPiPS6_N6thrust23THRUST_200600_302600_NS18transform_iteratorINSC_6detail9not_fun_tIN6dUtils8isNotOneIiEEEES9_NSC_11use_defaultESK_EENS0_5tupleIJS9_S6_EEENSM_IJSA_SA_EEES6_PlJS6_EEE10hipError_tPvRmT3_T4_T5_T6_T7_T9_mT8_P12ihipStream_tbDpT10_ENKUlT_T0_E_clISt17integral_constantIbLb0EES19_EEDaS14_S15_EUlS14_E_NS1_11comp_targetILNS1_3genE4ELNS1_11target_archE910ELNS1_3gpuE8ELNS1_3repE0EEENS1_30default_config_static_selectorELNS0_4arch9wavefront6targetE1EEEvT1_
	.globl	_ZN7rocprim17ROCPRIM_400000_NS6detail17trampoline_kernelINS0_14default_configENS1_25partition_config_selectorILNS1_17partition_subalgoE5EiNS0_10empty_typeEbEEZZNS1_14partition_implILS5_5ELb0ES3_mPiPS6_N6thrust23THRUST_200600_302600_NS18transform_iteratorINSC_6detail9not_fun_tIN6dUtils8isNotOneIiEEEES9_NSC_11use_defaultESK_EENS0_5tupleIJS9_S6_EEENSM_IJSA_SA_EEES6_PlJS6_EEE10hipError_tPvRmT3_T4_T5_T6_T7_T9_mT8_P12ihipStream_tbDpT10_ENKUlT_T0_E_clISt17integral_constantIbLb0EES19_EEDaS14_S15_EUlS14_E_NS1_11comp_targetILNS1_3genE4ELNS1_11target_archE910ELNS1_3gpuE8ELNS1_3repE0EEENS1_30default_config_static_selectorELNS0_4arch9wavefront6targetE1EEEvT1_
	.p2align	8
	.type	_ZN7rocprim17ROCPRIM_400000_NS6detail17trampoline_kernelINS0_14default_configENS1_25partition_config_selectorILNS1_17partition_subalgoE5EiNS0_10empty_typeEbEEZZNS1_14partition_implILS5_5ELb0ES3_mPiPS6_N6thrust23THRUST_200600_302600_NS18transform_iteratorINSC_6detail9not_fun_tIN6dUtils8isNotOneIiEEEES9_NSC_11use_defaultESK_EENS0_5tupleIJS9_S6_EEENSM_IJSA_SA_EEES6_PlJS6_EEE10hipError_tPvRmT3_T4_T5_T6_T7_T9_mT8_P12ihipStream_tbDpT10_ENKUlT_T0_E_clISt17integral_constantIbLb0EES19_EEDaS14_S15_EUlS14_E_NS1_11comp_targetILNS1_3genE4ELNS1_11target_archE910ELNS1_3gpuE8ELNS1_3repE0EEENS1_30default_config_static_selectorELNS0_4arch9wavefront6targetE1EEEvT1_,@function
_ZN7rocprim17ROCPRIM_400000_NS6detail17trampoline_kernelINS0_14default_configENS1_25partition_config_selectorILNS1_17partition_subalgoE5EiNS0_10empty_typeEbEEZZNS1_14partition_implILS5_5ELb0ES3_mPiPS6_N6thrust23THRUST_200600_302600_NS18transform_iteratorINSC_6detail9not_fun_tIN6dUtils8isNotOneIiEEEES9_NSC_11use_defaultESK_EENS0_5tupleIJS9_S6_EEENSM_IJSA_SA_EEES6_PlJS6_EEE10hipError_tPvRmT3_T4_T5_T6_T7_T9_mT8_P12ihipStream_tbDpT10_ENKUlT_T0_E_clISt17integral_constantIbLb0EES19_EEDaS14_S15_EUlS14_E_NS1_11comp_targetILNS1_3genE4ELNS1_11target_archE910ELNS1_3gpuE8ELNS1_3repE0EEENS1_30default_config_static_selectorELNS0_4arch9wavefront6targetE1EEEvT1_: ; @_ZN7rocprim17ROCPRIM_400000_NS6detail17trampoline_kernelINS0_14default_configENS1_25partition_config_selectorILNS1_17partition_subalgoE5EiNS0_10empty_typeEbEEZZNS1_14partition_implILS5_5ELb0ES3_mPiPS6_N6thrust23THRUST_200600_302600_NS18transform_iteratorINSC_6detail9not_fun_tIN6dUtils8isNotOneIiEEEES9_NSC_11use_defaultESK_EENS0_5tupleIJS9_S6_EEENSM_IJSA_SA_EEES6_PlJS6_EEE10hipError_tPvRmT3_T4_T5_T6_T7_T9_mT8_P12ihipStream_tbDpT10_ENKUlT_T0_E_clISt17integral_constantIbLb0EES19_EEDaS14_S15_EUlS14_E_NS1_11comp_targetILNS1_3genE4ELNS1_11target_archE910ELNS1_3gpuE8ELNS1_3repE0EEENS1_30default_config_static_selectorELNS0_4arch9wavefront6targetE1EEEvT1_
; %bb.0:
	s_load_dwordx2 s[0:1], s[4:5], 0x58
	s_load_dwordx4 s[12:15], s[4:5], 0x8
	s_load_dwordx2 s[2:3], s[4:5], 0x20
	s_load_dwordx4 s[16:19], s[4:5], 0x48
	s_mul_i32 s10, s6, 0x700
	s_waitcnt lgkmcnt(0)
	v_mov_b32_e32 v3, s1
	s_load_dword s1, s[4:5], 0x70
	s_lshl_b64 s[8:9], s[14:15], 2
	s_add_u32 s24, s12, s8
	s_addc_u32 s25, s13, s9
	v_mov_b32_e32 v2, s0
	s_waitcnt lgkmcnt(0)
	s_add_i32 s12, s1, -1
	s_mulk_i32 s1, 0x700
	s_add_i32 s7, s1, s14
	s_sub_i32 s7, s0, s7
	s_addk_i32 s7, 0x700
	s_add_u32 s0, s14, s1
	s_addc_u32 s1, s15, 0
	s_cmp_eq_u32 s6, s12
	s_load_dwordx2 s[18:19], s[18:19], 0x0
	v_cmp_ge_u64_e32 vcc, s[0:1], v[2:3]
	s_cselect_b64 s[20:21], -1, 0
	s_mov_b32 s11, 0
	s_and_b64 s[12:13], s[20:21], vcc
	s_xor_b64 s[22:23], s[12:13], -1
	s_lshl_b64 s[10:11], s[10:11], 2
	s_add_u32 s12, s24, s10
	s_mov_b64 s[0:1], -1
	s_addc_u32 s13, s25, s11
	s_and_b64 vcc, exec, s[22:23]
	v_lshlrev_b32_e32 v1, 2, v0
	s_cbranch_vccz .LBB106_2
; %bb.1:
	v_mov_b32_e32 v2, s13
	v_add_co_u32_e32 v3, vcc, s12, v1
	v_addc_co_u32_e32 v4, vcc, 0, v2, vcc
	v_add_co_u32_e32 v2, vcc, 0x1000, v3
	v_addc_co_u32_e32 v3, vcc, 0, v4, vcc
	global_load_dword v5, v1, s[12:13]
	global_load_dword v6, v1, s[12:13] offset:1024
	global_load_dword v7, v1, s[12:13] offset:2048
	;; [unrolled: 1-line block ×3, first 2 shown]
	global_load_dword v4, v[2:3], off
	global_load_dword v9, v[2:3], off offset:1024
	global_load_dword v10, v[2:3], off offset:2048
	s_mov_b64 s[0:1], 0
	s_waitcnt vmcnt(5)
	ds_write2st64_b32 v1, v5, v6 offset1:4
	s_waitcnt vmcnt(3)
	ds_write2st64_b32 v1, v7, v8 offset0:8 offset1:12
	s_waitcnt vmcnt(1)
	ds_write2st64_b32 v1, v4, v9 offset0:16 offset1:20
	s_waitcnt vmcnt(0)
	ds_write_b32 v1, v10 offset:6144
	s_waitcnt lgkmcnt(0)
	s_barrier
.LBB106_2:
	s_andn2_b64 vcc, exec, s[0:1]
	v_cmp_gt_u32_e64 s[0:1], s7, v0
	s_cbranch_vccnz .LBB106_18
; %bb.3:
                                        ; implicit-def: $vgpr2_vgpr3_vgpr4_vgpr5_vgpr6_vgpr7_vgpr8
	s_and_saveexec_b64 s[14:15], s[0:1]
	s_cbranch_execz .LBB106_5
; %bb.4:
	global_load_dword v2, v1, s[12:13]
.LBB106_5:
	s_or_b64 exec, exec, s[14:15]
	v_or_b32_e32 v9, 0x100, v0
	v_cmp_gt_u32_e32 vcc, s7, v9
	s_and_saveexec_b64 s[0:1], vcc
	s_cbranch_execz .LBB106_7
; %bb.6:
	global_load_dword v3, v1, s[12:13] offset:1024
.LBB106_7:
	s_or_b64 exec, exec, s[0:1]
	v_or_b32_e32 v9, 0x200, v0
	v_cmp_gt_u32_e32 vcc, s7, v9
	s_and_saveexec_b64 s[0:1], vcc
	s_cbranch_execz .LBB106_9
; %bb.8:
	global_load_dword v4, v1, s[12:13] offset:2048
.LBB106_9:
	;; [unrolled: 8-line block ×3, first 2 shown]
	s_or_b64 exec, exec, s[0:1]
	v_or_b32_e32 v9, 0x400, v0
	v_cmp_gt_u32_e32 vcc, s7, v9
	s_and_saveexec_b64 s[0:1], vcc
	s_cbranch_execz .LBB106_13
; %bb.12:
	v_lshlrev_b32_e32 v6, 2, v9
	global_load_dword v6, v6, s[12:13]
.LBB106_13:
	s_or_b64 exec, exec, s[0:1]
	v_or_b32_e32 v9, 0x500, v0
	v_cmp_gt_u32_e32 vcc, s7, v9
	s_and_saveexec_b64 s[0:1], vcc
	s_cbranch_execz .LBB106_15
; %bb.14:
	v_lshlrev_b32_e32 v7, 2, v9
	global_load_dword v7, v7, s[12:13]
.LBB106_15:
	;; [unrolled: 9-line block ×3, first 2 shown]
	s_or_b64 exec, exec, s[0:1]
	s_waitcnt vmcnt(0)
	ds_write2st64_b32 v1, v2, v3 offset1:4
	ds_write2st64_b32 v1, v4, v5 offset0:8 offset1:12
	ds_write2st64_b32 v1, v6, v7 offset0:16 offset1:20
	ds_write_b32 v1, v8 offset:6144
	s_waitcnt lgkmcnt(0)
	s_barrier
.LBB106_18:
	v_mul_u32_u24_e32 v2, 7, v0
	v_lshlrev_b32_e32 v2, 2, v2
	s_waitcnt lgkmcnt(0)
	ds_read2_b32 v[14:15], v2 offset1:1
	ds_read2_b32 v[12:13], v2 offset0:2 offset1:3
	ds_read2_b32 v[10:11], v2 offset0:4 offset1:5
	ds_read_b32 v17, v2 offset:24
	s_add_u32 s0, s2, s8
	s_addc_u32 s1, s3, s9
	s_add_u32 s0, s0, s10
	s_addc_u32 s1, s1, s11
	s_mov_b64 s[2:3], -1
	s_and_b64 vcc, exec, s[22:23]
	s_waitcnt lgkmcnt(0)
	s_barrier
	s_cbranch_vccz .LBB106_20
; %bb.19:
	global_load_dword v6, v1, s[0:1]
	global_load_dword v7, v1, s[0:1] offset:1024
	v_mov_b32_e32 v3, s1
	v_add_co_u32_e32 v4, vcc, s0, v1
	v_addc_co_u32_e32 v3, vcc, 0, v3, vcc
	global_load_dword v8, v1, s[0:1] offset:2048
	global_load_dword v9, v1, s[0:1] offset:3072
	s_movk_i32 s2, 0x1000
	v_add_co_u32_e32 v4, vcc, s2, v4
	v_addc_co_u32_e32 v5, vcc, 0, v3, vcc
	global_load_dword v3, v[4:5], off
	global_load_dword v16, v[4:5], off offset:1024
	global_load_dword v18, v[4:5], off offset:2048
	s_mov_b64 s[2:3], 0
	s_waitcnt vmcnt(6)
	v_cmp_eq_u32_e32 vcc, 1, v6
	v_cndmask_b32_e64 v4, 0, 1, vcc
	s_waitcnt vmcnt(5)
	v_cmp_eq_u32_e32 vcc, 1, v7
	v_cndmask_b32_e64 v5, 0, 1, vcc
	;; [unrolled: 3-line block ×4, first 2 shown]
	ds_write_b8 v0, v4
	ds_write_b8 v0, v5 offset:256
	ds_write_b8 v0, v6 offset:512
	;; [unrolled: 1-line block ×3, first 2 shown]
	s_waitcnt vmcnt(2)
	v_cmp_eq_u32_e32 vcc, 1, v3
	v_cndmask_b32_e64 v3, 0, 1, vcc
	s_waitcnt vmcnt(1)
	v_cmp_eq_u32_e32 vcc, 1, v16
	v_cndmask_b32_e64 v4, 0, 1, vcc
	;; [unrolled: 3-line block ×3, first 2 shown]
	ds_write_b8 v0, v3 offset:1024
	ds_write_b8 v0, v4 offset:1280
	;; [unrolled: 1-line block ×3, first 2 shown]
	s_waitcnt lgkmcnt(0)
	s_barrier
.LBB106_20:
	s_load_dwordx2 s[24:25], s[4:5], 0x68
	s_andn2_b64 vcc, exec, s[2:3]
	s_cbranch_vccnz .LBB106_36
; %bb.21:
	v_cmp_gt_u32_e32 vcc, s7, v0
	v_mov_b32_e32 v3, 0
	v_mov_b32_e32 v4, 0
	s_and_saveexec_b64 s[2:3], vcc
	s_cbranch_execz .LBB106_23
; %bb.22:
	global_load_dword v4, v1, s[0:1]
	s_waitcnt vmcnt(0)
	v_cmp_eq_u32_e32 vcc, 1, v4
	v_cndmask_b32_e64 v4, 0, 1, vcc
.LBB106_23:
	s_or_b64 exec, exec, s[2:3]
	v_or_b32_e32 v5, 0x100, v0
	v_cmp_gt_u32_e32 vcc, s7, v5
	s_and_saveexec_b64 s[2:3], vcc
	s_cbranch_execz .LBB106_25
; %bb.24:
	global_load_dword v3, v1, s[0:1] offset:1024
	s_waitcnt vmcnt(0)
	v_cmp_eq_u32_e32 vcc, 1, v3
	v_cndmask_b32_e64 v3, 0, 1, vcc
.LBB106_25:
	s_or_b64 exec, exec, s[2:3]
	v_or_b32_e32 v5, 0x200, v0
	v_cmp_gt_u32_e32 vcc, s7, v5
	v_mov_b32_e32 v5, 0
	v_mov_b32_e32 v6, 0
	s_and_saveexec_b64 s[2:3], vcc
	s_cbranch_execz .LBB106_27
; %bb.26:
	global_load_dword v6, v1, s[0:1] offset:2048
	s_waitcnt vmcnt(0)
	v_cmp_eq_u32_e32 vcc, 1, v6
	v_cndmask_b32_e64 v6, 0, 1, vcc
.LBB106_27:
	s_or_b64 exec, exec, s[2:3]
	v_or_b32_e32 v7, 0x300, v0
	v_cmp_gt_u32_e32 vcc, s7, v7
	s_and_saveexec_b64 s[2:3], vcc
	s_cbranch_execz .LBB106_29
; %bb.28:
	global_load_dword v1, v1, s[0:1] offset:3072
	s_waitcnt vmcnt(0)
	v_cmp_eq_u32_e32 vcc, 1, v1
	v_cndmask_b32_e64 v5, 0, 1, vcc
.LBB106_29:
	s_or_b64 exec, exec, s[2:3]
	v_or_b32_e32 v8, 0x400, v0
	v_cmp_gt_u32_e32 vcc, s7, v8
	v_mov_b32_e32 v1, 0
	v_mov_b32_e32 v7, 0
	s_and_saveexec_b64 s[2:3], vcc
	s_cbranch_execz .LBB106_31
; %bb.30:
	v_lshlrev_b32_e32 v7, 2, v8
	global_load_dword v7, v7, s[0:1]
	s_waitcnt vmcnt(0)
	v_cmp_eq_u32_e32 vcc, 1, v7
	v_cndmask_b32_e64 v7, 0, 1, vcc
.LBB106_31:
	s_or_b64 exec, exec, s[2:3]
	v_or_b32_e32 v8, 0x500, v0
	v_cmp_gt_u32_e32 vcc, s7, v8
	s_and_saveexec_b64 s[2:3], vcc
	s_cbranch_execz .LBB106_33
; %bb.32:
	v_lshlrev_b32_e32 v1, 2, v8
	global_load_dword v1, v1, s[0:1]
	s_waitcnt vmcnt(0)
	v_cmp_eq_u32_e32 vcc, 1, v1
	v_cndmask_b32_e64 v1, 0, 1, vcc
.LBB106_33:
	s_or_b64 exec, exec, s[2:3]
	v_or_b32_e32 v9, 0x600, v0
	v_cmp_gt_u32_e32 vcc, s7, v9
	v_mov_b32_e32 v8, 0
	s_and_saveexec_b64 s[2:3], vcc
	s_cbranch_execz .LBB106_35
; %bb.34:
	v_lshlrev_b32_e32 v8, 2, v9
	global_load_dword v8, v8, s[0:1]
	s_waitcnt vmcnt(0)
	v_cmp_eq_u32_e32 vcc, 1, v8
	v_cndmask_b32_e64 v8, 0, 1, vcc
.LBB106_35:
	s_or_b64 exec, exec, s[2:3]
	ds_write_b8 v0, v4
	ds_write_b8 v0, v3 offset:256
	ds_write_b8 v0, v6 offset:512
	;; [unrolled: 1-line block ×6, first 2 shown]
	s_waitcnt lgkmcnt(0)
	s_barrier
.LBB106_36:
	s_movk_i32 s0, 0xffeb
	v_mad_i32_i24 v23, v0, s0, v2
	s_waitcnt lgkmcnt(0)
	ds_read_u8 v1, v23
	ds_read_u8 v2, v23 offset:1
	ds_read_u8 v3, v23 offset:2
	;; [unrolled: 1-line block ×6, first 2 shown]
	s_waitcnt lgkmcnt(6)
	v_and_b32_e32 v26, 1, v1
	s_waitcnt lgkmcnt(5)
	v_and_b32_e32 v24, 1, v2
	;; [unrolled: 2-line block ×3, first 2 shown]
	v_add_co_u32_e32 v2, vcc, v24, v26
	v_addc_co_u32_e64 v3, s[0:1], 0, 0, vcc
	v_add_co_u32_e32 v2, vcc, v2, v22
	s_waitcnt lgkmcnt(3)
	v_and_b32_e32 v20, 1, v4
	v_addc_co_u32_e32 v3, vcc, 0, v3, vcc
	v_add_co_u32_e32 v2, vcc, v2, v20
	s_waitcnt lgkmcnt(2)
	v_and_b32_e32 v18, 1, v5
	v_addc_co_u32_e32 v3, vcc, 0, v3, vcc
	;; [unrolled: 4-line block ×4, first 2 shown]
	v_add_co_u32_e32 v28, vcc, v2, v19
	v_mbcnt_lo_u32_b32 v2, -1, 0
	v_mbcnt_hi_u32_b32 v21, -1, v2
	v_addc_co_u32_e32 v29, vcc, 0, v3, vcc
	v_and_b32_e32 v27, 15, v21
	s_cmp_lg_u32 s6, 0
	v_mov_b32_e32 v1, 0
	v_cmp_eq_u32_e64 s[2:3], 0, v27
	v_cmp_lt_u32_e64 s[0:1], 1, v27
	v_cmp_lt_u32_e64 s[10:11], 3, v27
	;; [unrolled: 1-line block ×3, first 2 shown]
	v_and_b32_e32 v25, 16, v21
	v_cmp_eq_u32_e64 s[12:13], 0, v21
	v_cmp_ne_u32_e32 vcc, 0, v21
	s_barrier
	s_cbranch_scc0 .LBB106_65
; %bb.37:
	v_mov_b32_dpp v2, v28 row_shr:1 row_mask:0xf bank_mask:0xf
	v_add_co_u32_e64 v2, s[14:15], v28, v2
	v_addc_co_u32_e64 v3, s[14:15], 0, v29, s[14:15]
	v_mov_b32_dpp v1, v1 row_shr:1 row_mask:0xf bank_mask:0xf
	v_add_co_u32_e64 v4, s[14:15], 0, v2
	v_addc_co_u32_e64 v1, s[14:15], v1, v3, s[14:15]
	v_cndmask_b32_e64 v2, v2, v28, s[2:3]
	v_cndmask_b32_e64 v3, v1, 0, s[2:3]
	v_cndmask_b32_e64 v4, v4, v28, s[2:3]
	v_mov_b32_dpp v5, v2 row_shr:2 row_mask:0xf bank_mask:0xf
	v_cndmask_b32_e64 v1, v1, v29, s[2:3]
	v_mov_b32_dpp v6, v3 row_shr:2 row_mask:0xf bank_mask:0xf
	v_add_co_u32_e64 v5, s[14:15], v5, v4
	v_addc_co_u32_e64 v6, s[14:15], v6, v1, s[14:15]
	v_cndmask_b32_e64 v2, v2, v5, s[0:1]
	v_cndmask_b32_e64 v3, v3, v6, s[0:1]
	v_cndmask_b32_e64 v4, v4, v5, s[0:1]
	v_mov_b32_dpp v5, v2 row_shr:4 row_mask:0xf bank_mask:0xf
	v_cndmask_b32_e64 v1, v1, v6, s[0:1]
	;; [unrolled: 8-line block ×3, first 2 shown]
	v_mov_b32_dpp v6, v3 row_shr:8 row_mask:0xf bank_mask:0xf
	v_add_co_u32_e64 v5, s[10:11], v5, v4
	v_addc_co_u32_e64 v6, s[10:11], v6, v1, s[10:11]
	v_cndmask_b32_e64 v2, v2, v5, s[8:9]
	v_cndmask_b32_e64 v3, v3, v6, s[8:9]
	;; [unrolled: 1-line block ×3, first 2 shown]
	v_mov_b32_dpp v5, v2 row_bcast:15 row_mask:0xf bank_mask:0xf
	v_cndmask_b32_e64 v1, v1, v6, s[8:9]
	v_mov_b32_dpp v6, v3 row_bcast:15 row_mask:0xf bank_mask:0xf
	v_add_co_u32_e64 v5, s[8:9], v5, v4
	v_addc_co_u32_e64 v7, s[8:9], v6, v1, s[8:9]
	v_cmp_eq_u32_e64 s[8:9], 0, v25
	v_cndmask_b32_e64 v3, v7, v3, s[8:9]
	v_cndmask_b32_e64 v2, v5, v2, s[8:9]
	s_nop 0
	v_mov_b32_dpp v8, v3 row_bcast:31 row_mask:0xf bank_mask:0xf
	v_mov_b32_dpp v6, v2 row_bcast:31 row_mask:0xf bank_mask:0xf
	v_pk_mov_b32 v[2:3], v[28:29], v[28:29] op_sel:[0,1]
	s_and_saveexec_b64 s[10:11], vcc
; %bb.38:
	v_cmp_lt_u32_e32 vcc, 31, v21
	v_cndmask_b32_e64 v2, v5, v4, s[8:9]
	v_cndmask_b32_e32 v4, 0, v6, vcc
	v_cndmask_b32_e64 v1, v7, v1, s[8:9]
	v_cndmask_b32_e32 v3, 0, v8, vcc
	v_add_co_u32_e32 v2, vcc, v4, v2
	v_addc_co_u32_e32 v3, vcc, v3, v1, vcc
; %bb.39:
	s_or_b64 exec, exec, s[10:11]
	v_or_b32_e32 v4, 63, v0
	v_lshrrev_b32_e32 v1, 6, v0
	v_cmp_eq_u32_e32 vcc, v4, v0
	s_and_saveexec_b64 s[8:9], vcc
	s_cbranch_execz .LBB106_41
; %bb.40:
	v_lshlrev_b32_e32 v4, 3, v1
	ds_write_b64 v4, v[2:3]
.LBB106_41:
	s_or_b64 exec, exec, s[8:9]
	v_cmp_gt_u32_e32 vcc, 4, v0
	s_waitcnt lgkmcnt(0)
	s_barrier
	s_and_saveexec_b64 s[10:11], vcc
	s_cbranch_execz .LBB106_43
; %bb.42:
	v_lshlrev_b32_e32 v6, 3, v0
	ds_read_b64 v[4:5], v6
	v_and_b32_e32 v7, 3, v21
	v_cmp_ne_u32_e64 s[8:9], 1, v7
	s_waitcnt lgkmcnt(0)
	v_mov_b32_dpp v8, v4 row_shr:1 row_mask:0xf bank_mask:0xf
	v_add_co_u32_e32 v8, vcc, v4, v8
	v_addc_co_u32_e32 v30, vcc, 0, v5, vcc
	v_mov_b32_dpp v9, v5 row_shr:1 row_mask:0xf bank_mask:0xf
	v_add_co_u32_e32 v31, vcc, 0, v8
	v_addc_co_u32_e32 v9, vcc, v9, v30, vcc
	v_cmp_eq_u32_e32 vcc, 0, v7
	v_cndmask_b32_e32 v8, v8, v4, vcc
	v_cndmask_b32_e32 v30, v9, v5, vcc
	s_nop 0
	v_mov_b32_dpp v8, v8 row_shr:2 row_mask:0xf bank_mask:0xf
	v_mov_b32_dpp v30, v30 row_shr:2 row_mask:0xf bank_mask:0xf
	v_cndmask_b32_e64 v7, 0, v8, s[8:9]
	v_cndmask_b32_e64 v8, 0, v30, s[8:9]
	v_add_co_u32_e64 v7, s[8:9], v7, v31
	v_addc_co_u32_e64 v8, s[8:9], v8, v9, s[8:9]
	v_cndmask_b32_e32 v5, v8, v5, vcc
	v_cndmask_b32_e32 v4, v7, v4, vcc
	ds_write_b64 v6, v[4:5]
.LBB106_43:
	s_or_b64 exec, exec, s[10:11]
	v_cmp_gt_u32_e32 vcc, 64, v0
	v_cmp_lt_u32_e64 s[8:9], 63, v0
	s_waitcnt lgkmcnt(0)
	s_barrier
	s_waitcnt lgkmcnt(0)
                                        ; implicit-def: $vgpr30_vgpr31
	s_and_saveexec_b64 s[10:11], s[8:9]
	s_cbranch_execz .LBB106_45
; %bb.44:
	v_lshl_add_u32 v1, v1, 3, -8
	ds_read_b64 v[30:31], v1
	s_waitcnt lgkmcnt(0)
	v_add_co_u32_e64 v2, s[8:9], v30, v2
	v_addc_co_u32_e64 v3, s[8:9], v31, v3, s[8:9]
.LBB106_45:
	s_or_b64 exec, exec, s[10:11]
	v_add_u32_e32 v1, -1, v21
	v_and_b32_e32 v4, 64, v21
	v_cmp_lt_i32_e64 s[8:9], v1, v4
	v_cndmask_b32_e64 v1, v1, v21, s[8:9]
	v_lshlrev_b32_e32 v4, 2, v1
	ds_bpermute_b32 v1, v4, v2
	ds_bpermute_b32 v38, v4, v3
	s_and_saveexec_b64 s[14:15], vcc
	s_cbranch_execz .LBB106_64
; %bb.46:
	v_mov_b32_e32 v5, 0
	ds_read_b64 v[2:3], v5 offset:24
	s_and_saveexec_b64 s[8:9], s[12:13]
	s_cbranch_execz .LBB106_48
; %bb.47:
	s_add_i32 s10, s6, 64
	s_mov_b32 s11, 0
	s_lshl_b64 s[10:11], s[10:11], 4
	s_add_u32 s10, s24, s10
	s_addc_u32 s11, s25, s11
	v_mov_b32_e32 v4, 1
	v_pk_mov_b32 v[6:7], s[10:11], s[10:11] op_sel:[0,1]
	s_waitcnt lgkmcnt(0)
	;;#ASMSTART
	global_store_dwordx4 v[6:7], v[2:5] off	
s_waitcnt vmcnt(0)
	;;#ASMEND
.LBB106_48:
	s_or_b64 exec, exec, s[8:9]
	v_xad_u32 v32, v21, -1, s6
	v_add_u32_e32 v4, 64, v32
	v_lshlrev_b64 v[6:7], 4, v[4:5]
	v_mov_b32_e32 v4, s25
	v_add_co_u32_e32 v34, vcc, s24, v6
	v_addc_co_u32_e32 v35, vcc, v4, v7, vcc
	;;#ASMSTART
	global_load_dwordx4 v[6:9], v[34:35] off glc	
s_waitcnt vmcnt(0)
	;;#ASMEND
	v_and_b32_e32 v4, 0xff, v7
	v_and_b32_e32 v9, 0xff00, v7
	v_or3_b32 v4, 0, v4, v9
	v_or3_b32 v6, v6, 0, 0
	v_and_b32_e32 v9, 0xff000000, v7
	v_and_b32_e32 v7, 0xff0000, v7
	v_or3_b32 v7, v4, v7, v9
	v_or3_b32 v6, v6, 0, 0
	v_cmp_eq_u16_sdwa s[10:11], v8, v5 src0_sel:BYTE_0 src1_sel:DWORD
	s_and_saveexec_b64 s[8:9], s[10:11]
	s_cbranch_execz .LBB106_52
; %bb.49:
	s_mov_b64 s[10:11], 0
	v_mov_b32_e32 v4, 0
.LBB106_50:                             ; =>This Inner Loop Header: Depth=1
	;;#ASMSTART
	global_load_dwordx4 v[6:9], v[34:35] off glc	
s_waitcnt vmcnt(0)
	;;#ASMEND
	v_cmp_ne_u16_sdwa s[26:27], v8, v4 src0_sel:BYTE_0 src1_sel:DWORD
	s_or_b64 s[10:11], s[26:27], s[10:11]
	s_andn2_b64 exec, exec, s[10:11]
	s_cbranch_execnz .LBB106_50
; %bb.51:
	s_or_b64 exec, exec, s[10:11]
.LBB106_52:
	s_or_b64 exec, exec, s[8:9]
	v_and_b32_e32 v40, 63, v21
	v_mov_b32_e32 v39, 2
	v_cmp_ne_u32_e32 vcc, 63, v40
	v_cmp_eq_u16_sdwa s[8:9], v8, v39 src0_sel:BYTE_0 src1_sel:DWORD
	v_lshlrev_b64 v[34:35], v21, -1
	v_addc_co_u32_e32 v9, vcc, 0, v21, vcc
	v_and_b32_e32 v4, s9, v35
	v_lshlrev_b32_e32 v41, 2, v9
	v_or_b32_e32 v4, 0x80000000, v4
	ds_bpermute_b32 v9, v41, v6
	v_and_b32_e32 v5, s8, v34
	v_ffbl_b32_e32 v4, v4
	v_add_u32_e32 v4, 32, v4
	v_ffbl_b32_e32 v5, v5
	v_min_u32_e32 v4, v5, v4
	ds_bpermute_b32 v5, v41, v7
	s_waitcnt lgkmcnt(1)
	v_add_co_u32_e32 v9, vcc, v6, v9
	v_addc_co_u32_e32 v36, vcc, 0, v7, vcc
	v_add_co_u32_e32 v37, vcc, 0, v9
	v_cmp_gt_u32_e64 s[8:9], 62, v40
	s_waitcnt lgkmcnt(0)
	v_addc_co_u32_e32 v5, vcc, v5, v36, vcc
	v_cndmask_b32_e64 v36, 0, 1, s[8:9]
	v_cmp_lt_u32_e32 vcc, v40, v4
	v_lshlrev_b32_e32 v36, 1, v36
	v_cndmask_b32_e32 v9, v6, v9, vcc
	v_add_lshl_u32 v42, v36, v21, 2
	v_cndmask_b32_e32 v5, v7, v5, vcc
	ds_bpermute_b32 v36, v42, v9
	ds_bpermute_b32 v44, v42, v5
	v_cndmask_b32_e32 v37, v6, v37, vcc
	v_add_u32_e32 v43, 2, v40
	v_cmp_gt_u32_e64 s[10:11], 60, v40
	s_waitcnt lgkmcnt(1)
	v_add_co_u32_e64 v36, s[8:9], v36, v37
	s_waitcnt lgkmcnt(0)
	v_addc_co_u32_e64 v44, s[8:9], v44, v5, s[8:9]
	v_cmp_gt_u32_e64 s[8:9], v43, v4
	v_cndmask_b32_e64 v5, v44, v5, s[8:9]
	v_cndmask_b32_e64 v44, 0, 1, s[10:11]
	v_lshlrev_b32_e32 v44, 2, v44
	v_cndmask_b32_e64 v9, v36, v9, s[8:9]
	v_add_lshl_u32 v44, v44, v21, 2
	ds_bpermute_b32 v46, v44, v9
	v_cndmask_b32_e64 v36, v36, v37, s[8:9]
	ds_bpermute_b32 v37, v44, v5
	v_add_u32_e32 v45, 4, v40
	v_cmp_gt_u32_e64 s[10:11], 56, v40
	s_waitcnt lgkmcnt(1)
	v_add_co_u32_e64 v47, s[8:9], v46, v36
	s_waitcnt lgkmcnt(0)
	v_addc_co_u32_e64 v37, s[8:9], v37, v5, s[8:9]
	v_cmp_gt_u32_e64 s[8:9], v45, v4
	v_cndmask_b32_e64 v5, v37, v5, s[8:9]
	v_cndmask_b32_e64 v37, 0, 1, s[10:11]
	v_lshlrev_b32_e32 v37, 3, v37
	v_cndmask_b32_e64 v9, v47, v9, s[8:9]
	v_add_lshl_u32 v46, v37, v21, 2
	ds_bpermute_b32 v37, v46, v9
	ds_bpermute_b32 v48, v46, v5
	v_cndmask_b32_e64 v36, v47, v36, s[8:9]
	v_add_u32_e32 v47, 8, v40
	v_cmp_gt_u32_e64 s[10:11], 48, v40
	s_waitcnt lgkmcnt(1)
	v_add_co_u32_e64 v37, s[8:9], v37, v36
	s_waitcnt lgkmcnt(0)
	v_addc_co_u32_e64 v48, s[8:9], v48, v5, s[8:9]
	v_cmp_gt_u32_e64 s[8:9], v47, v4
	v_cndmask_b32_e64 v5, v48, v5, s[8:9]
	v_cndmask_b32_e64 v48, 0, 1, s[10:11]
	v_lshlrev_b32_e32 v48, 4, v48
	v_cndmask_b32_e64 v9, v37, v9, s[8:9]
	v_add_lshl_u32 v48, v48, v21, 2
	ds_bpermute_b32 v50, v48, v9
	v_cndmask_b32_e64 v36, v37, v36, s[8:9]
	ds_bpermute_b32 v37, v48, v5
	v_cmp_gt_u32_e64 s[10:11], 32, v40
	v_add_u32_e32 v49, 16, v40
	s_waitcnt lgkmcnt(1)
	v_add_co_u32_e64 v52, s[8:9], v50, v36
	s_waitcnt lgkmcnt(0)
	v_addc_co_u32_e64 v37, s[8:9], v37, v5, s[8:9]
	v_cndmask_b32_e64 v50, 0, 1, s[10:11]
	v_cmp_gt_u32_e64 s[8:9], v49, v4
	v_lshlrev_b32_e32 v50, 5, v50
	v_cndmask_b32_e64 v9, v52, v9, s[8:9]
	v_add_lshl_u32 v50, v50, v21, 2
	v_cndmask_b32_e64 v5, v37, v5, s[8:9]
	ds_bpermute_b32 v9, v50, v9
	ds_bpermute_b32 v37, v50, v5
	v_add_u32_e32 v51, 32, v40
	v_cndmask_b32_e64 v36, v52, v36, s[8:9]
	v_cmp_le_u32_e64 s[8:9], v51, v4
	s_waitcnt lgkmcnt(1)
	v_cndmask_b32_e64 v9, 0, v9, s[8:9]
	s_waitcnt lgkmcnt(0)
	v_cndmask_b32_e64 v4, 0, v37, s[8:9]
	v_add_co_u32_e64 v9, s[8:9], v9, v36
	v_addc_co_u32_e64 v4, s[8:9], v4, v5, s[8:9]
	v_mov_b32_e32 v33, 0
	v_cndmask_b32_e32 v7, v7, v4, vcc
	v_cndmask_b32_e32 v6, v6, v9, vcc
	s_branch .LBB106_54
.LBB106_53:                             ;   in Loop: Header=BB106_54 Depth=1
	s_or_b64 exec, exec, s[8:9]
	v_cmp_eq_u16_sdwa s[8:9], v8, v39 src0_sel:BYTE_0 src1_sel:DWORD
	v_and_b32_e32 v9, s9, v35
	v_or_b32_e32 v9, 0x80000000, v9
	ds_bpermute_b32 v37, v41, v6
	v_and_b32_e32 v36, s8, v34
	v_ffbl_b32_e32 v9, v9
	v_add_u32_e32 v9, 32, v9
	v_ffbl_b32_e32 v36, v36
	v_min_u32_e32 v9, v36, v9
	ds_bpermute_b32 v36, v41, v7
	s_waitcnt lgkmcnt(1)
	v_add_co_u32_e32 v37, vcc, v6, v37
	v_addc_co_u32_e32 v52, vcc, 0, v7, vcc
	v_add_co_u32_e32 v53, vcc, 0, v37
	s_waitcnt lgkmcnt(0)
	v_addc_co_u32_e32 v36, vcc, v36, v52, vcc
	v_cmp_lt_u32_e32 vcc, v40, v9
	v_cndmask_b32_e32 v37, v6, v37, vcc
	ds_bpermute_b32 v52, v42, v37
	v_cndmask_b32_e32 v36, v7, v36, vcc
	ds_bpermute_b32 v54, v42, v36
	v_cndmask_b32_e32 v53, v6, v53, vcc
	v_subrev_u32_e32 v32, 64, v32
	s_waitcnt lgkmcnt(1)
	v_add_co_u32_e64 v52, s[8:9], v52, v53
	s_waitcnt lgkmcnt(0)
	v_addc_co_u32_e64 v54, s[8:9], v54, v36, s[8:9]
	v_cmp_gt_u32_e64 s[8:9], v43, v9
	v_cndmask_b32_e64 v37, v52, v37, s[8:9]
	ds_bpermute_b32 v55, v44, v37
	v_cndmask_b32_e64 v36, v54, v36, s[8:9]
	ds_bpermute_b32 v54, v44, v36
	v_cndmask_b32_e64 v52, v52, v53, s[8:9]
	s_waitcnt lgkmcnt(1)
	v_add_co_u32_e64 v53, s[8:9], v55, v52
	s_waitcnt lgkmcnt(0)
	v_addc_co_u32_e64 v54, s[8:9], v54, v36, s[8:9]
	v_cmp_gt_u32_e64 s[8:9], v45, v9
	v_cndmask_b32_e64 v37, v53, v37, s[8:9]
	ds_bpermute_b32 v55, v46, v37
	v_cndmask_b32_e64 v36, v54, v36, s[8:9]
	ds_bpermute_b32 v54, v46, v36
	v_cndmask_b32_e64 v52, v53, v52, s[8:9]
	;; [unrolled: 10-line block ×3, first 2 shown]
	s_waitcnt lgkmcnt(1)
	v_add_co_u32_e64 v53, s[8:9], v55, v52
	s_waitcnt lgkmcnt(0)
	v_addc_co_u32_e64 v54, s[8:9], v54, v36, s[8:9]
	v_cmp_gt_u32_e64 s[8:9], v49, v9
	v_cndmask_b32_e64 v37, v53, v37, s[8:9]
	v_cndmask_b32_e64 v36, v54, v36, s[8:9]
	ds_bpermute_b32 v37, v50, v37
	ds_bpermute_b32 v54, v50, v36
	v_cndmask_b32_e64 v52, v53, v52, s[8:9]
	v_cmp_le_u32_e64 s[8:9], v51, v9
	s_waitcnt lgkmcnt(1)
	v_cndmask_b32_e64 v37, 0, v37, s[8:9]
	s_waitcnt lgkmcnt(0)
	v_cndmask_b32_e64 v9, 0, v54, s[8:9]
	v_add_co_u32_e64 v37, s[8:9], v37, v52
	v_addc_co_u32_e64 v9, s[8:9], v9, v36, s[8:9]
	v_cndmask_b32_e32 v6, v6, v37, vcc
	v_cndmask_b32_e32 v7, v7, v9, vcc
	v_add_co_u32_e32 v6, vcc, v6, v4
	v_addc_co_u32_e32 v7, vcc, v7, v5, vcc
.LBB106_54:                             ; =>This Loop Header: Depth=1
                                        ;     Child Loop BB106_57 Depth 2
	v_cmp_ne_u16_sdwa s[8:9], v8, v39 src0_sel:BYTE_0 src1_sel:DWORD
	v_cndmask_b32_e64 v4, 0, 1, s[8:9]
	;;#ASMSTART
	;;#ASMEND
	v_cmp_ne_u32_e32 vcc, 0, v4
	s_cmp_lg_u64 vcc, exec
	v_pk_mov_b32 v[4:5], v[6:7], v[6:7] op_sel:[0,1]
	s_cbranch_scc1 .LBB106_59
; %bb.55:                               ;   in Loop: Header=BB106_54 Depth=1
	v_lshlrev_b64 v[6:7], 4, v[32:33]
	v_mov_b32_e32 v8, s25
	v_add_co_u32_e32 v36, vcc, s24, v6
	v_addc_co_u32_e32 v37, vcc, v8, v7, vcc
	;;#ASMSTART
	global_load_dwordx4 v[6:9], v[36:37] off glc	
s_waitcnt vmcnt(0)
	;;#ASMEND
	v_and_b32_e32 v9, 0xff, v7
	v_and_b32_e32 v52, 0xff00, v7
	v_or3_b32 v9, 0, v9, v52
	v_or3_b32 v6, v6, 0, 0
	v_and_b32_e32 v52, 0xff000000, v7
	v_and_b32_e32 v7, 0xff0000, v7
	v_or3_b32 v7, v9, v7, v52
	v_or3_b32 v6, v6, 0, 0
	v_cmp_eq_u16_sdwa s[10:11], v8, v33 src0_sel:BYTE_0 src1_sel:DWORD
	s_and_saveexec_b64 s[8:9], s[10:11]
	s_cbranch_execz .LBB106_53
; %bb.56:                               ;   in Loop: Header=BB106_54 Depth=1
	s_mov_b64 s[10:11], 0
.LBB106_57:                             ;   Parent Loop BB106_54 Depth=1
                                        ; =>  This Inner Loop Header: Depth=2
	;;#ASMSTART
	global_load_dwordx4 v[6:9], v[36:37] off glc	
s_waitcnt vmcnt(0)
	;;#ASMEND
	v_cmp_ne_u16_sdwa s[26:27], v8, v33 src0_sel:BYTE_0 src1_sel:DWORD
	s_or_b64 s[10:11], s[26:27], s[10:11]
	s_andn2_b64 exec, exec, s[10:11]
	s_cbranch_execnz .LBB106_57
; %bb.58:                               ;   in Loop: Header=BB106_54 Depth=1
	s_or_b64 exec, exec, s[10:11]
	s_branch .LBB106_53
.LBB106_59:                             ;   in Loop: Header=BB106_54 Depth=1
                                        ; implicit-def: $vgpr6_vgpr7
                                        ; implicit-def: $vgpr8
	s_cbranch_execz .LBB106_54
; %bb.60:
	s_and_saveexec_b64 s[8:9], s[12:13]
	s_cbranch_execz .LBB106_62
; %bb.61:
	s_add_i32 s6, s6, 64
	s_mov_b32 s7, 0
	s_lshl_b64 s[6:7], s[6:7], 4
	s_add_u32 s6, s24, s6
	v_add_co_u32_e32 v6, vcc, v4, v2
	s_addc_u32 s7, s25, s7
	v_addc_co_u32_e32 v7, vcc, v5, v3, vcc
	v_mov_b32_e32 v8, 2
	v_mov_b32_e32 v9, 0
	v_pk_mov_b32 v[32:33], s[6:7], s[6:7] op_sel:[0,1]
	;;#ASMSTART
	global_store_dwordx4 v[32:33], v[6:9] off	
s_waitcnt vmcnt(0)
	;;#ASMEND
	ds_write_b128 v9, v[2:5] offset:7168
.LBB106_62:
	s_or_b64 exec, exec, s[8:9]
	v_cmp_eq_u32_e32 vcc, 0, v0
	s_and_b64 exec, exec, vcc
	s_cbranch_execz .LBB106_64
; %bb.63:
	v_mov_b32_e32 v2, 0
	ds_write_b64 v2, v[4:5] offset:24
.LBB106_64:
	s_or_b64 exec, exec, s[14:15]
	v_mov_b32_e32 v5, 0
	s_waitcnt lgkmcnt(0)
	s_barrier
	ds_read_b64 v[2:3], v5 offset:24
	v_cndmask_b32_e64 v1, v1, v30, s[12:13]
	v_cmp_ne_u32_e32 vcc, 0, v0
	v_cndmask_b32_e64 v4, v38, v31, s[12:13]
	v_cndmask_b32_e32 v1, 0, v1, vcc
	v_cndmask_b32_e32 v4, 0, v4, vcc
	s_waitcnt lgkmcnt(0)
	v_add_co_u32_e32 v38, vcc, v2, v1
	v_addc_co_u32_e32 v39, vcc, v3, v4, vcc
	v_add_co_u32_e32 v36, vcc, v38, v26
	v_addc_co_u32_e32 v37, vcc, 0, v39, vcc
	;; [unrolled: 2-line block ×4, first 2 shown]
	v_add_co_u32_e32 v30, vcc, v32, v20
	s_barrier
	ds_read_b128 v[4:7], v5 offset:7168
	v_addc_co_u32_e32 v31, vcc, 0, v33, vcc
	v_add_co_u32_e32 v2, vcc, v30, v18
	v_addc_co_u32_e32 v3, vcc, 0, v31, vcc
	v_add_co_u32_e32 v8, vcc, v2, v16
	v_addc_co_u32_e32 v9, vcc, 0, v3, vcc
	s_waitcnt lgkmcnt(0)
	v_readfirstlane_b32 s9, v7
	v_readfirstlane_b32 s8, v6
	s_load_dwordx2 s[6:7], s[4:5], 0x30
	s_branch .LBB106_77
.LBB106_65:
                                        ; implicit-def: $sgpr8_sgpr9
                                        ; implicit-def: $vgpr4_vgpr5
                                        ; implicit-def: $vgpr8_vgpr9
                                        ; implicit-def: $vgpr2_vgpr3
                                        ; implicit-def: $vgpr30_vgpr31
                                        ; implicit-def: $vgpr32_vgpr33
                                        ; implicit-def: $vgpr34_vgpr35
                                        ; implicit-def: $vgpr36_vgpr37
                                        ; implicit-def: $vgpr38_vgpr39
	s_load_dwordx2 s[6:7], s[4:5], 0x30
	s_cbranch_execz .LBB106_77
; %bb.66:
	v_mov_b32_dpp v1, v28 row_shr:1 row_mask:0xf bank_mask:0xf
	v_add_co_u32_e32 v1, vcc, v28, v1
	v_mov_b32_e32 v2, 0
	v_addc_co_u32_e32 v3, vcc, 0, v29, vcc
	s_nop 0
	v_mov_b32_dpp v2, v2 row_shr:1 row_mask:0xf bank_mask:0xf
	v_add_co_u32_e32 v4, vcc, 0, v1
	v_addc_co_u32_e32 v2, vcc, v2, v3, vcc
	v_cndmask_b32_e64 v1, v1, v28, s[2:3]
	v_cndmask_b32_e64 v3, v2, 0, s[2:3]
	;; [unrolled: 1-line block ×3, first 2 shown]
	v_mov_b32_dpp v5, v1 row_shr:2 row_mask:0xf bank_mask:0xf
	v_cndmask_b32_e64 v2, v2, v29, s[2:3]
	v_mov_b32_dpp v6, v3 row_shr:2 row_mask:0xf bank_mask:0xf
	v_add_co_u32_e32 v5, vcc, v5, v4
	v_addc_co_u32_e32 v6, vcc, v6, v2, vcc
	v_cndmask_b32_e64 v1, v1, v5, s[0:1]
	v_cndmask_b32_e64 v3, v3, v6, s[0:1]
	;; [unrolled: 1-line block ×3, first 2 shown]
	v_mov_b32_dpp v5, v1 row_shr:4 row_mask:0xf bank_mask:0xf
	v_cndmask_b32_e64 v2, v2, v6, s[0:1]
	v_mov_b32_dpp v6, v3 row_shr:4 row_mask:0xf bank_mask:0xf
	v_add_co_u32_e32 v5, vcc, v5, v4
	v_addc_co_u32_e32 v6, vcc, v6, v2, vcc
	v_cmp_lt_u32_e32 vcc, 3, v27
	v_cndmask_b32_e32 v1, v1, v5, vcc
	v_cndmask_b32_e32 v3, v3, v6, vcc
	;; [unrolled: 1-line block ×3, first 2 shown]
	v_mov_b32_dpp v5, v1 row_shr:8 row_mask:0xf bank_mask:0xf
	v_cndmask_b32_e32 v2, v2, v6, vcc
	v_mov_b32_dpp v6, v3 row_shr:8 row_mask:0xf bank_mask:0xf
	v_add_co_u32_e32 v5, vcc, v5, v4
	v_addc_co_u32_e32 v6, vcc, v6, v2, vcc
	v_cmp_lt_u32_e32 vcc, 7, v27
	v_cndmask_b32_e32 v8, v1, v5, vcc
	v_cndmask_b32_e32 v7, v3, v6, vcc
	;; [unrolled: 1-line block ×4, first 2 shown]
	v_mov_b32_dpp v3, v8 row_bcast:15 row_mask:0xf bank_mask:0xf
	v_mov_b32_dpp v4, v7 row_bcast:15 row_mask:0xf bank_mask:0xf
	v_add_co_u32_e32 v3, vcc, v3, v2
	v_addc_co_u32_e32 v5, vcc, v4, v1, vcc
	v_cmp_eq_u32_e64 s[0:1], 0, v25
	v_cndmask_b32_e64 v6, v5, v7, s[0:1]
	v_cndmask_b32_e64 v4, v3, v8, s[0:1]
	v_cmp_eq_u32_e32 vcc, 0, v21
	v_mov_b32_dpp v6, v6 row_bcast:31 row_mask:0xf bank_mask:0xf
	v_mov_b32_dpp v4, v4 row_bcast:31 row_mask:0xf bank_mask:0xf
	v_cmp_ne_u32_e64 s[2:3], 0, v21
	s_and_saveexec_b64 s[4:5], s[2:3]
; %bb.67:
	v_cndmask_b32_e64 v1, v5, v1, s[0:1]
	v_cndmask_b32_e64 v2, v3, v2, s[0:1]
	v_cmp_lt_u32_e64 s[0:1], 31, v21
	v_cndmask_b32_e64 v4, 0, v4, s[0:1]
	v_cndmask_b32_e64 v3, 0, v6, s[0:1]
	v_add_co_u32_e64 v28, s[0:1], v4, v2
	v_addc_co_u32_e64 v29, s[0:1], v3, v1, s[0:1]
; %bb.68:
	s_or_b64 exec, exec, s[4:5]
	v_or_b32_e32 v2, 63, v0
	v_lshrrev_b32_e32 v1, 6, v0
	v_cmp_eq_u32_e64 s[0:1], v2, v0
	s_and_saveexec_b64 s[2:3], s[0:1]
	s_cbranch_execz .LBB106_70
; %bb.69:
	v_lshlrev_b32_e32 v2, 3, v1
	ds_write_b64 v2, v[28:29]
.LBB106_70:
	s_or_b64 exec, exec, s[2:3]
	v_cmp_gt_u32_e64 s[0:1], 4, v0
	s_waitcnt lgkmcnt(0)
	s_barrier
	s_and_saveexec_b64 s[4:5], s[0:1]
	s_cbranch_execz .LBB106_72
; %bb.71:
	v_add_u32_e32 v4, v23, v0
	ds_read_b64 v[2:3], v4
	v_and_b32_e32 v5, 3, v21
	v_cmp_ne_u32_e64 s[2:3], 1, v5
	s_waitcnt lgkmcnt(0)
	v_mov_b32_dpp v6, v2 row_shr:1 row_mask:0xf bank_mask:0xf
	v_add_co_u32_e64 v6, s[0:1], v2, v6
	v_addc_co_u32_e64 v8, s[0:1], 0, v3, s[0:1]
	v_mov_b32_dpp v7, v3 row_shr:1 row_mask:0xf bank_mask:0xf
	v_add_co_u32_e64 v9, s[0:1], 0, v6
	v_addc_co_u32_e64 v7, s[0:1], v7, v8, s[0:1]
	v_cmp_eq_u32_e64 s[0:1], 0, v5
	v_cndmask_b32_e64 v6, v6, v2, s[0:1]
	v_cndmask_b32_e64 v8, v7, v3, s[0:1]
	s_nop 0
	v_mov_b32_dpp v6, v6 row_shr:2 row_mask:0xf bank_mask:0xf
	v_mov_b32_dpp v8, v8 row_shr:2 row_mask:0xf bank_mask:0xf
	v_cndmask_b32_e64 v5, 0, v6, s[2:3]
	v_cndmask_b32_e64 v6, 0, v8, s[2:3]
	v_add_co_u32_e64 v5, s[2:3], v5, v9
	v_addc_co_u32_e64 v6, s[2:3], v6, v7, s[2:3]
	v_cndmask_b32_e64 v3, v6, v3, s[0:1]
	v_cndmask_b32_e64 v2, v5, v2, s[0:1]
	ds_write_b64 v4, v[2:3]
.LBB106_72:
	s_or_b64 exec, exec, s[4:5]
	v_cmp_lt_u32_e64 s[0:1], 63, v0
	v_pk_mov_b32 v[2:3], 0, 0
	s_waitcnt lgkmcnt(0)
	s_barrier
	s_and_saveexec_b64 s[2:3], s[0:1]
	s_cbranch_execz .LBB106_74
; %bb.73:
	v_lshl_add_u32 v1, v1, 3, -8
	ds_read_b64 v[2:3], v1
.LBB106_74:
	s_or_b64 exec, exec, s[2:3]
	s_waitcnt lgkmcnt(0)
	v_add_co_u32_e64 v1, s[0:1], v2, v28
	v_addc_co_u32_e64 v4, s[0:1], v3, v29, s[0:1]
	v_add_u32_e32 v5, -1, v21
	v_and_b32_e32 v6, 64, v21
	v_cmp_lt_i32_e64 s[0:1], v5, v6
	v_cndmask_b32_e64 v5, v5, v21, s[0:1]
	v_lshlrev_b32_e32 v5, 2, v5
	v_mov_b32_e32 v7, 0
	ds_bpermute_b32 v1, v5, v1
	ds_bpermute_b32 v8, v5, v4
	ds_read_b64 v[4:5], v7 offset:24
	v_cmp_eq_u32_e64 s[0:1], 0, v0
	s_and_saveexec_b64 s[2:3], s[0:1]
	s_cbranch_execz .LBB106_76
; %bb.75:
	s_add_u32 s4, s24, 0x400
	s_addc_u32 s5, s25, 0
	v_mov_b32_e32 v6, 2
	v_pk_mov_b32 v[28:29], s[4:5], s[4:5] op_sel:[0,1]
	s_waitcnt lgkmcnt(0)
	;;#ASMSTART
	global_store_dwordx4 v[28:29], v[4:7] off	
s_waitcnt vmcnt(0)
	;;#ASMEND
.LBB106_76:
	s_or_b64 exec, exec, s[2:3]
	s_waitcnt lgkmcnt(2)
	v_cndmask_b32_e32 v1, v1, v2, vcc
	s_waitcnt lgkmcnt(1)
	v_cndmask_b32_e32 v2, v8, v3, vcc
	v_cndmask_b32_e64 v38, v1, 0, s[0:1]
	v_cndmask_b32_e64 v39, v2, 0, s[0:1]
	v_add_co_u32_e32 v36, vcc, v38, v26
	v_addc_co_u32_e32 v37, vcc, 0, v39, vcc
	v_add_co_u32_e32 v34, vcc, v36, v24
	v_addc_co_u32_e32 v35, vcc, 0, v37, vcc
	;; [unrolled: 2-line block ×6, first 2 shown]
	s_waitcnt lgkmcnt(0)
	s_barrier
	s_mov_b64 s[8:9], 0
.LBB106_77:
	s_mov_b64 s[0:1], 0x101
	v_cmp_gt_u64_e32 vcc, s[0:1], v[4:5]
	s_mov_b64 s[0:1], -1
	s_cbranch_vccnz .LBB106_81
; %bb.78:
	s_and_b64 vcc, exec, s[0:1]
	s_cbranch_vccnz .LBB106_103
.LBB106_79:
	v_cmp_eq_u32_e32 vcc, 0, v0
	s_and_b64 s[0:1], vcc, s[20:21]
	s_and_saveexec_b64 s[2:3], s[0:1]
	s_cbranch_execnz .LBB106_122
.LBB106_80:
	s_endpgm
.LBB106_81:
	v_mov_b32_e32 v1, s9
	v_add_co_u32_e32 v6, vcc, s8, v4
	v_addc_co_u32_e32 v7, vcc, v1, v5, vcc
	s_lshl_b64 s[0:1], s[18:19], 2
	s_waitcnt lgkmcnt(0)
	s_add_u32 s2, s6, s0
	v_cmp_lt_u64_e32 vcc, v[38:39], v[6:7]
	s_addc_u32 s3, s7, s1
	s_or_b64 s[4:5], s[22:23], vcc
	s_and_saveexec_b64 s[0:1], s[4:5]
	s_cbranch_execz .LBB106_84
; %bb.82:
	v_cmp_eq_u32_e32 vcc, 1, v26
	s_and_b64 exec, exec, vcc
	s_cbranch_execz .LBB106_84
; %bb.83:
	v_lshlrev_b64 v[28:29], 2, v[38:39]
	v_mov_b32_e32 v1, s3
	v_add_co_u32_e32 v28, vcc, s2, v28
	v_addc_co_u32_e32 v29, vcc, v1, v29, vcc
	global_store_dword v[28:29], v14, off
.LBB106_84:
	s_or_b64 exec, exec, s[0:1]
	v_cmp_lt_u64_e32 vcc, v[36:37], v[6:7]
	s_or_b64 s[4:5], s[22:23], vcc
	s_and_saveexec_b64 s[0:1], s[4:5]
	s_cbranch_execz .LBB106_87
; %bb.85:
	v_cmp_eq_u32_e32 vcc, 1, v24
	s_and_b64 exec, exec, vcc
	s_cbranch_execz .LBB106_87
; %bb.86:
	v_lshlrev_b64 v[28:29], 2, v[36:37]
	v_mov_b32_e32 v1, s3
	v_add_co_u32_e32 v28, vcc, s2, v28
	v_addc_co_u32_e32 v29, vcc, v1, v29, vcc
	global_store_dword v[28:29], v15, off
.LBB106_87:
	s_or_b64 exec, exec, s[0:1]
	v_cmp_lt_u64_e32 vcc, v[34:35], v[6:7]
	;; [unrolled: 16-line block ×6, first 2 shown]
	s_or_b64 s[4:5], s[22:23], vcc
	s_and_saveexec_b64 s[0:1], s[4:5]
	s_cbranch_execz .LBB106_102
; %bb.100:
	v_cmp_eq_u32_e32 vcc, 1, v19
	s_and_b64 exec, exec, vcc
	s_cbranch_execz .LBB106_102
; %bb.101:
	v_lshlrev_b64 v[6:7], 2, v[8:9]
	v_mov_b32_e32 v1, s3
	v_add_co_u32_e32 v6, vcc, s2, v6
	v_addc_co_u32_e32 v7, vcc, v1, v7, vcc
	global_store_dword v[6:7], v17, off
.LBB106_102:
	s_or_b64 exec, exec, s[0:1]
	s_branch .LBB106_79
.LBB106_103:
	v_cmp_eq_u32_e32 vcc, 1, v26
	s_and_saveexec_b64 s[0:1], vcc
	s_cbranch_execnz .LBB106_123
; %bb.104:
	s_or_b64 exec, exec, s[0:1]
	v_cmp_eq_u32_e32 vcc, 1, v24
	s_and_saveexec_b64 s[0:1], vcc
	s_cbranch_execnz .LBB106_124
.LBB106_105:
	s_or_b64 exec, exec, s[0:1]
	v_cmp_eq_u32_e32 vcc, 1, v22
	s_and_saveexec_b64 s[0:1], vcc
	s_cbranch_execnz .LBB106_125
.LBB106_106:
	s_or_b64 exec, exec, s[0:1]
	v_cmp_eq_u32_e32 vcc, 1, v20
	s_and_saveexec_b64 s[0:1], vcc
	s_cbranch_execnz .LBB106_126
.LBB106_107:
	s_or_b64 exec, exec, s[0:1]
	v_cmp_eq_u32_e32 vcc, 1, v18
	s_and_saveexec_b64 s[0:1], vcc
	s_cbranch_execnz .LBB106_127
.LBB106_108:
	s_or_b64 exec, exec, s[0:1]
	v_cmp_eq_u32_e32 vcc, 1, v16
	s_and_saveexec_b64 s[0:1], vcc
	s_cbranch_execnz .LBB106_128
.LBB106_109:
	s_or_b64 exec, exec, s[0:1]
	v_cmp_eq_u32_e32 vcc, 1, v19
	s_and_saveexec_b64 s[0:1], vcc
	s_cbranch_execz .LBB106_111
.LBB106_110:
	v_subrev_u32_e32 v1, s8, v8
	v_lshlrev_b32_e32 v1, 2, v1
	ds_write_b32 v1, v17
.LBB106_111:
	s_or_b64 exec, exec, s[0:1]
	v_mov_b32_e32 v1, 0
	v_cmp_gt_u64_e32 vcc, v[4:5], v[0:1]
	s_waitcnt lgkmcnt(0)
	s_barrier
	s_and_saveexec_b64 s[10:11], vcc
	s_cbranch_execz .LBB106_121
; %bb.112:
	v_not_b32_e32 v3, v0
	v_not_b32_e32 v2, 0
	v_add_co_u32_e32 v6, vcc, v4, v3
	v_addc_co_u32_e32 v7, vcc, v5, v2, vcc
	s_mov_b64 s[0:1], 0x2f00
	s_mov_b64 s[2:3], 0x2eff
	v_cmp_gt_u64_e64 s[0:1], s[0:1], v[6:7]
	v_cmp_lt_u64_e32 vcc, s[2:3], v[6:7]
	v_mov_b32_e32 v8, v0
	v_pk_mov_b32 v[2:3], v[0:1], v[0:1] op_sel:[0,1]
	s_and_saveexec_b64 s[12:13], vcc
	s_cbranch_execz .LBB106_118
; %bb.113:
	v_alignbit_b32 v2, v7, v6, 8
	s_mov_b32 s2, 0xffffff
	s_mov_b32 s4, -1
	v_lshlrev_b32_e32 v3, 8, v2
	v_cmp_lt_u32_e32 vcc, s2, v2
	v_not_b32_e32 v2, v0
	s_movk_i32 s5, 0xff
	v_cmp_gt_u32_e64 s[2:3], v3, v2
	v_xor_b32_e32 v2, 0xfffffeff, v0
	v_cmp_lt_u64_e64 s[4:5], s[4:5], v[6:7]
	s_or_b64 s[14:15], s[2:3], vcc
	v_cmp_lt_u32_e64 s[2:3], v2, v3
	s_or_b64 s[4:5], vcc, s[4:5]
	s_or_b64 s[2:3], s[4:5], s[2:3]
	s_or_b64 s[4:5], s[14:15], s[2:3]
	s_mov_b64 s[2:3], -1
	s_xor_b64 s[14:15], s[4:5], -1
	v_mov_b32_e32 v8, v0
	v_pk_mov_b32 v[2:3], v[0:1], v[0:1] op_sel:[0,1]
	s_and_saveexec_b64 s[4:5], s[14:15]
	s_cbranch_execz .LBB106_117
; %bb.114:
	s_lshl_b64 s[2:3], s[8:9], 2
	s_lshl_b64 s[14:15], s[18:19], 2
	s_add_u32 s2, s2, s14
	v_lshrrev_b64 v[2:3], 8, v[6:7]
	s_addc_u32 s3, s3, s15
	v_add_co_u32_e32 v10, vcc, 1, v2
	s_add_u32 s2, s6, s2
	v_addc_co_u32_e32 v11, vcc, 0, v3, vcc
	v_lshlrev_b32_e32 v6, 2, v0
	s_addc_u32 s3, s7, s3
	v_mov_b32_e32 v7, s3
	v_add_co_u32_e32 v6, vcc, s2, v6
	v_addc_co_u32_e32 v7, vcc, 0, v7, vcc
	s_movk_i32 s2, 0x400
	v_or_b32_e32 v2, 0x100, v0
	v_mov_b32_e32 v3, v1
	v_add_co_u32_e32 v14, vcc, s2, v6
	v_and_b32_e32 v12, -2, v10
	v_mov_b32_e32 v13, v11
	v_addc_co_u32_e32 v15, vcc, 0, v7, vcc
	v_pk_mov_b32 v[8:9], v[2:3], v[2:3] op_sel:[0,1]
	s_mov_b64 s[14:15], 0
	v_pk_mov_b32 v[16:17], v[12:13], v[12:13] op_sel:[0,1]
	v_pk_mov_b32 v[6:7], v[0:1], v[0:1] op_sel:[0,1]
.LBB106_115:                            ; =>This Inner Loop Header: Depth=1
	v_lshlrev_b32_e32 v1, 2, v6
	v_lshlrev_b32_e32 v2, 2, v8
	ds_read_b32 v1, v1
	ds_read_b32 v2, v2
	v_add_co_u32_e32 v8, vcc, 0x200, v8
	v_addc_co_u32_e32 v9, vcc, 0, v9, vcc
	v_add_co_u32_e64 v16, s[2:3], -2, v16
	v_add_co_u32_e32 v6, vcc, 0x200, v6
	v_addc_co_u32_e64 v17, s[2:3], -1, v17, s[2:3]
	v_addc_co_u32_e32 v7, vcc, 0, v7, vcc
	v_cmp_eq_u64_e64 s[2:3], 0, v[16:17]
	s_waitcnt lgkmcnt(1)
	global_store_dword v[14:15], v1, off offset:-1024
	s_waitcnt lgkmcnt(0)
	global_store_dword v[14:15], v2, off
	v_add_co_u32_e32 v14, vcc, 0x800, v14
	s_or_b64 s[14:15], s[2:3], s[14:15]
	v_addc_co_u32_e32 v15, vcc, 0, v15, vcc
	s_andn2_b64 exec, exec, s[14:15]
	s_cbranch_execnz .LBB106_115
; %bb.116:
	s_or_b64 exec, exec, s[14:15]
	v_lshlrev_b64 v[2:3], 8, v[12:13]
	v_cmp_ne_u64_e32 vcc, v[10:11], v[12:13]
	v_or_b32_e32 v3, 0, v3
	v_or_b32_e32 v2, v2, v0
	v_lshl_or_b32 v8, v12, 8, v0
	s_orn2_b64 s[2:3], vcc, exec
.LBB106_117:
	s_or_b64 exec, exec, s[4:5]
	s_andn2_b64 s[0:1], s[0:1], exec
	s_and_b64 s[2:3], s[2:3], exec
	s_or_b64 s[0:1], s[0:1], s[2:3]
.LBB106_118:
	s_or_b64 exec, exec, s[12:13]
	s_and_b64 exec, exec, s[0:1]
	s_cbranch_execz .LBB106_121
; %bb.119:
	s_lshl_b64 s[0:1], s[8:9], 2
	s_add_u32 s2, s6, s0
	s_addc_u32 s3, s7, s1
	s_lshl_b64 s[0:1], s[18:19], 2
	s_add_u32 s4, s2, s0
	s_addc_u32 s0, s3, s1
	v_add_u32_e32 v6, 0x100, v8
	s_mov_b64 s[2:3], 0
	v_mov_b32_e32 v1, s0
	v_mov_b32_e32 v7, 0
.LBB106_120:                            ; =>This Inner Loop Header: Depth=1
	v_lshlrev_b32_e32 v10, 2, v2
	ds_read_b32 v10, v10
	v_lshlrev_b64 v[8:9], 2, v[2:3]
	v_cmp_le_u64_e32 vcc, v[4:5], v[6:7]
	v_add_co_u32_e64 v8, s[0:1], s4, v8
	v_pk_mov_b32 v[2:3], v[6:7], v[6:7] op_sel:[0,1]
	v_add_u32_e32 v6, 0x100, v6
	v_addc_co_u32_e64 v9, s[0:1], v1, v9, s[0:1]
	s_or_b64 s[2:3], vcc, s[2:3]
	s_waitcnt lgkmcnt(0)
	global_store_dword v[8:9], v10, off
	s_andn2_b64 exec, exec, s[2:3]
	s_cbranch_execnz .LBB106_120
.LBB106_121:
	s_or_b64 exec, exec, s[10:11]
	v_cmp_eq_u32_e32 vcc, 0, v0
	s_and_b64 s[0:1], vcc, s[20:21]
	s_and_saveexec_b64 s[2:3], s[0:1]
	s_cbranch_execz .LBB106_80
.LBB106_122:
	v_mov_b32_e32 v0, s9
	v_add_co_u32_e32 v1, vcc, s8, v4
	v_addc_co_u32_e32 v3, vcc, v0, v5, vcc
	v_mov_b32_e32 v4, s19
	v_add_co_u32_e32 v0, vcc, s18, v1
	v_mov_b32_e32 v2, 0
	v_addc_co_u32_e32 v1, vcc, v3, v4, vcc
	global_store_dwordx2 v2, v[0:1], s[16:17]
	s_endpgm
.LBB106_123:
	v_subrev_u32_e32 v1, s8, v38
	v_lshlrev_b32_e32 v1, 2, v1
	ds_write_b32 v1, v14
	s_or_b64 exec, exec, s[0:1]
	v_cmp_eq_u32_e32 vcc, 1, v24
	s_and_saveexec_b64 s[0:1], vcc
	s_cbranch_execz .LBB106_105
.LBB106_124:
	v_subrev_u32_e32 v1, s8, v36
	v_lshlrev_b32_e32 v1, 2, v1
	ds_write_b32 v1, v15
	s_or_b64 exec, exec, s[0:1]
	v_cmp_eq_u32_e32 vcc, 1, v22
	s_and_saveexec_b64 s[0:1], vcc
	s_cbranch_execz .LBB106_106
.LBB106_125:
	v_subrev_u32_e32 v1, s8, v34
	v_lshlrev_b32_e32 v1, 2, v1
	ds_write_b32 v1, v12
	s_or_b64 exec, exec, s[0:1]
	v_cmp_eq_u32_e32 vcc, 1, v20
	s_and_saveexec_b64 s[0:1], vcc
	s_cbranch_execz .LBB106_107
.LBB106_126:
	v_subrev_u32_e32 v1, s8, v32
	v_lshlrev_b32_e32 v1, 2, v1
	ds_write_b32 v1, v13
	s_or_b64 exec, exec, s[0:1]
	v_cmp_eq_u32_e32 vcc, 1, v18
	s_and_saveexec_b64 s[0:1], vcc
	s_cbranch_execz .LBB106_108
.LBB106_127:
	v_subrev_u32_e32 v1, s8, v30
	v_lshlrev_b32_e32 v1, 2, v1
	ds_write_b32 v1, v10
	s_or_b64 exec, exec, s[0:1]
	v_cmp_eq_u32_e32 vcc, 1, v16
	s_and_saveexec_b64 s[0:1], vcc
	s_cbranch_execz .LBB106_109
.LBB106_128:
	v_subrev_u32_e32 v1, s8, v2
	v_lshlrev_b32_e32 v1, 2, v1
	ds_write_b32 v1, v11
	s_or_b64 exec, exec, s[0:1]
	v_cmp_eq_u32_e32 vcc, 1, v19
	s_and_saveexec_b64 s[0:1], vcc
	s_cbranch_execnz .LBB106_110
	s_branch .LBB106_111
	.section	.rodata,"a",@progbits
	.p2align	6, 0x0
	.amdhsa_kernel _ZN7rocprim17ROCPRIM_400000_NS6detail17trampoline_kernelINS0_14default_configENS1_25partition_config_selectorILNS1_17partition_subalgoE5EiNS0_10empty_typeEbEEZZNS1_14partition_implILS5_5ELb0ES3_mPiPS6_N6thrust23THRUST_200600_302600_NS18transform_iteratorINSC_6detail9not_fun_tIN6dUtils8isNotOneIiEEEES9_NSC_11use_defaultESK_EENS0_5tupleIJS9_S6_EEENSM_IJSA_SA_EEES6_PlJS6_EEE10hipError_tPvRmT3_T4_T5_T6_T7_T9_mT8_P12ihipStream_tbDpT10_ENKUlT_T0_E_clISt17integral_constantIbLb0EES19_EEDaS14_S15_EUlS14_E_NS1_11comp_targetILNS1_3genE4ELNS1_11target_archE910ELNS1_3gpuE8ELNS1_3repE0EEENS1_30default_config_static_selectorELNS0_4arch9wavefront6targetE1EEEvT1_
		.amdhsa_group_segment_fixed_size 7184
		.amdhsa_private_segment_fixed_size 0
		.amdhsa_kernarg_size 120
		.amdhsa_user_sgpr_count 6
		.amdhsa_user_sgpr_private_segment_buffer 1
		.amdhsa_user_sgpr_dispatch_ptr 0
		.amdhsa_user_sgpr_queue_ptr 0
		.amdhsa_user_sgpr_kernarg_segment_ptr 1
		.amdhsa_user_sgpr_dispatch_id 0
		.amdhsa_user_sgpr_flat_scratch_init 0
		.amdhsa_user_sgpr_kernarg_preload_length 0
		.amdhsa_user_sgpr_kernarg_preload_offset 0
		.amdhsa_user_sgpr_private_segment_size 0
		.amdhsa_uses_dynamic_stack 0
		.amdhsa_system_sgpr_private_segment_wavefront_offset 0
		.amdhsa_system_sgpr_workgroup_id_x 1
		.amdhsa_system_sgpr_workgroup_id_y 0
		.amdhsa_system_sgpr_workgroup_id_z 0
		.amdhsa_system_sgpr_workgroup_info 0
		.amdhsa_system_vgpr_workitem_id 0
		.amdhsa_next_free_vgpr 56
		.amdhsa_next_free_sgpr 28
		.amdhsa_accum_offset 56
		.amdhsa_reserve_vcc 1
		.amdhsa_reserve_flat_scratch 0
		.amdhsa_float_round_mode_32 0
		.amdhsa_float_round_mode_16_64 0
		.amdhsa_float_denorm_mode_32 3
		.amdhsa_float_denorm_mode_16_64 3
		.amdhsa_dx10_clamp 1
		.amdhsa_ieee_mode 1
		.amdhsa_fp16_overflow 0
		.amdhsa_tg_split 0
		.amdhsa_exception_fp_ieee_invalid_op 0
		.amdhsa_exception_fp_denorm_src 0
		.amdhsa_exception_fp_ieee_div_zero 0
		.amdhsa_exception_fp_ieee_overflow 0
		.amdhsa_exception_fp_ieee_underflow 0
		.amdhsa_exception_fp_ieee_inexact 0
		.amdhsa_exception_int_div_zero 0
	.end_amdhsa_kernel
	.section	.text._ZN7rocprim17ROCPRIM_400000_NS6detail17trampoline_kernelINS0_14default_configENS1_25partition_config_selectorILNS1_17partition_subalgoE5EiNS0_10empty_typeEbEEZZNS1_14partition_implILS5_5ELb0ES3_mPiPS6_N6thrust23THRUST_200600_302600_NS18transform_iteratorINSC_6detail9not_fun_tIN6dUtils8isNotOneIiEEEES9_NSC_11use_defaultESK_EENS0_5tupleIJS9_S6_EEENSM_IJSA_SA_EEES6_PlJS6_EEE10hipError_tPvRmT3_T4_T5_T6_T7_T9_mT8_P12ihipStream_tbDpT10_ENKUlT_T0_E_clISt17integral_constantIbLb0EES19_EEDaS14_S15_EUlS14_E_NS1_11comp_targetILNS1_3genE4ELNS1_11target_archE910ELNS1_3gpuE8ELNS1_3repE0EEENS1_30default_config_static_selectorELNS0_4arch9wavefront6targetE1EEEvT1_,"axG",@progbits,_ZN7rocprim17ROCPRIM_400000_NS6detail17trampoline_kernelINS0_14default_configENS1_25partition_config_selectorILNS1_17partition_subalgoE5EiNS0_10empty_typeEbEEZZNS1_14partition_implILS5_5ELb0ES3_mPiPS6_N6thrust23THRUST_200600_302600_NS18transform_iteratorINSC_6detail9not_fun_tIN6dUtils8isNotOneIiEEEES9_NSC_11use_defaultESK_EENS0_5tupleIJS9_S6_EEENSM_IJSA_SA_EEES6_PlJS6_EEE10hipError_tPvRmT3_T4_T5_T6_T7_T9_mT8_P12ihipStream_tbDpT10_ENKUlT_T0_E_clISt17integral_constantIbLb0EES19_EEDaS14_S15_EUlS14_E_NS1_11comp_targetILNS1_3genE4ELNS1_11target_archE910ELNS1_3gpuE8ELNS1_3repE0EEENS1_30default_config_static_selectorELNS0_4arch9wavefront6targetE1EEEvT1_,comdat
.Lfunc_end106:
	.size	_ZN7rocprim17ROCPRIM_400000_NS6detail17trampoline_kernelINS0_14default_configENS1_25partition_config_selectorILNS1_17partition_subalgoE5EiNS0_10empty_typeEbEEZZNS1_14partition_implILS5_5ELb0ES3_mPiPS6_N6thrust23THRUST_200600_302600_NS18transform_iteratorINSC_6detail9not_fun_tIN6dUtils8isNotOneIiEEEES9_NSC_11use_defaultESK_EENS0_5tupleIJS9_S6_EEENSM_IJSA_SA_EEES6_PlJS6_EEE10hipError_tPvRmT3_T4_T5_T6_T7_T9_mT8_P12ihipStream_tbDpT10_ENKUlT_T0_E_clISt17integral_constantIbLb0EES19_EEDaS14_S15_EUlS14_E_NS1_11comp_targetILNS1_3genE4ELNS1_11target_archE910ELNS1_3gpuE8ELNS1_3repE0EEENS1_30default_config_static_selectorELNS0_4arch9wavefront6targetE1EEEvT1_, .Lfunc_end106-_ZN7rocprim17ROCPRIM_400000_NS6detail17trampoline_kernelINS0_14default_configENS1_25partition_config_selectorILNS1_17partition_subalgoE5EiNS0_10empty_typeEbEEZZNS1_14partition_implILS5_5ELb0ES3_mPiPS6_N6thrust23THRUST_200600_302600_NS18transform_iteratorINSC_6detail9not_fun_tIN6dUtils8isNotOneIiEEEES9_NSC_11use_defaultESK_EENS0_5tupleIJS9_S6_EEENSM_IJSA_SA_EEES6_PlJS6_EEE10hipError_tPvRmT3_T4_T5_T6_T7_T9_mT8_P12ihipStream_tbDpT10_ENKUlT_T0_E_clISt17integral_constantIbLb0EES19_EEDaS14_S15_EUlS14_E_NS1_11comp_targetILNS1_3genE4ELNS1_11target_archE910ELNS1_3gpuE8ELNS1_3repE0EEENS1_30default_config_static_selectorELNS0_4arch9wavefront6targetE1EEEvT1_
                                        ; -- End function
	.section	.AMDGPU.csdata,"",@progbits
; Kernel info:
; codeLenInByte = 6604
; NumSgprs: 32
; NumVgprs: 56
; NumAgprs: 0
; TotalNumVgprs: 56
; ScratchSize: 0
; MemoryBound: 0
; FloatMode: 240
; IeeeMode: 1
; LDSByteSize: 7184 bytes/workgroup (compile time only)
; SGPRBlocks: 3
; VGPRBlocks: 6
; NumSGPRsForWavesPerEU: 32
; NumVGPRsForWavesPerEU: 56
; AccumOffset: 56
; Occupancy: 8
; WaveLimiterHint : 1
; COMPUTE_PGM_RSRC2:SCRATCH_EN: 0
; COMPUTE_PGM_RSRC2:USER_SGPR: 6
; COMPUTE_PGM_RSRC2:TRAP_HANDLER: 0
; COMPUTE_PGM_RSRC2:TGID_X_EN: 1
; COMPUTE_PGM_RSRC2:TGID_Y_EN: 0
; COMPUTE_PGM_RSRC2:TGID_Z_EN: 0
; COMPUTE_PGM_RSRC2:TIDIG_COMP_CNT: 0
; COMPUTE_PGM_RSRC3_GFX90A:ACCUM_OFFSET: 13
; COMPUTE_PGM_RSRC3_GFX90A:TG_SPLIT: 0
	.section	.text._ZN7rocprim17ROCPRIM_400000_NS6detail17trampoline_kernelINS0_14default_configENS1_25partition_config_selectorILNS1_17partition_subalgoE5EiNS0_10empty_typeEbEEZZNS1_14partition_implILS5_5ELb0ES3_mPiPS6_N6thrust23THRUST_200600_302600_NS18transform_iteratorINSC_6detail9not_fun_tIN6dUtils8isNotOneIiEEEES9_NSC_11use_defaultESK_EENS0_5tupleIJS9_S6_EEENSM_IJSA_SA_EEES6_PlJS6_EEE10hipError_tPvRmT3_T4_T5_T6_T7_T9_mT8_P12ihipStream_tbDpT10_ENKUlT_T0_E_clISt17integral_constantIbLb0EES19_EEDaS14_S15_EUlS14_E_NS1_11comp_targetILNS1_3genE3ELNS1_11target_archE908ELNS1_3gpuE7ELNS1_3repE0EEENS1_30default_config_static_selectorELNS0_4arch9wavefront6targetE1EEEvT1_,"axG",@progbits,_ZN7rocprim17ROCPRIM_400000_NS6detail17trampoline_kernelINS0_14default_configENS1_25partition_config_selectorILNS1_17partition_subalgoE5EiNS0_10empty_typeEbEEZZNS1_14partition_implILS5_5ELb0ES3_mPiPS6_N6thrust23THRUST_200600_302600_NS18transform_iteratorINSC_6detail9not_fun_tIN6dUtils8isNotOneIiEEEES9_NSC_11use_defaultESK_EENS0_5tupleIJS9_S6_EEENSM_IJSA_SA_EEES6_PlJS6_EEE10hipError_tPvRmT3_T4_T5_T6_T7_T9_mT8_P12ihipStream_tbDpT10_ENKUlT_T0_E_clISt17integral_constantIbLb0EES19_EEDaS14_S15_EUlS14_E_NS1_11comp_targetILNS1_3genE3ELNS1_11target_archE908ELNS1_3gpuE7ELNS1_3repE0EEENS1_30default_config_static_selectorELNS0_4arch9wavefront6targetE1EEEvT1_,comdat
	.protected	_ZN7rocprim17ROCPRIM_400000_NS6detail17trampoline_kernelINS0_14default_configENS1_25partition_config_selectorILNS1_17partition_subalgoE5EiNS0_10empty_typeEbEEZZNS1_14partition_implILS5_5ELb0ES3_mPiPS6_N6thrust23THRUST_200600_302600_NS18transform_iteratorINSC_6detail9not_fun_tIN6dUtils8isNotOneIiEEEES9_NSC_11use_defaultESK_EENS0_5tupleIJS9_S6_EEENSM_IJSA_SA_EEES6_PlJS6_EEE10hipError_tPvRmT3_T4_T5_T6_T7_T9_mT8_P12ihipStream_tbDpT10_ENKUlT_T0_E_clISt17integral_constantIbLb0EES19_EEDaS14_S15_EUlS14_E_NS1_11comp_targetILNS1_3genE3ELNS1_11target_archE908ELNS1_3gpuE7ELNS1_3repE0EEENS1_30default_config_static_selectorELNS0_4arch9wavefront6targetE1EEEvT1_ ; -- Begin function _ZN7rocprim17ROCPRIM_400000_NS6detail17trampoline_kernelINS0_14default_configENS1_25partition_config_selectorILNS1_17partition_subalgoE5EiNS0_10empty_typeEbEEZZNS1_14partition_implILS5_5ELb0ES3_mPiPS6_N6thrust23THRUST_200600_302600_NS18transform_iteratorINSC_6detail9not_fun_tIN6dUtils8isNotOneIiEEEES9_NSC_11use_defaultESK_EENS0_5tupleIJS9_S6_EEENSM_IJSA_SA_EEES6_PlJS6_EEE10hipError_tPvRmT3_T4_T5_T6_T7_T9_mT8_P12ihipStream_tbDpT10_ENKUlT_T0_E_clISt17integral_constantIbLb0EES19_EEDaS14_S15_EUlS14_E_NS1_11comp_targetILNS1_3genE3ELNS1_11target_archE908ELNS1_3gpuE7ELNS1_3repE0EEENS1_30default_config_static_selectorELNS0_4arch9wavefront6targetE1EEEvT1_
	.globl	_ZN7rocprim17ROCPRIM_400000_NS6detail17trampoline_kernelINS0_14default_configENS1_25partition_config_selectorILNS1_17partition_subalgoE5EiNS0_10empty_typeEbEEZZNS1_14partition_implILS5_5ELb0ES3_mPiPS6_N6thrust23THRUST_200600_302600_NS18transform_iteratorINSC_6detail9not_fun_tIN6dUtils8isNotOneIiEEEES9_NSC_11use_defaultESK_EENS0_5tupleIJS9_S6_EEENSM_IJSA_SA_EEES6_PlJS6_EEE10hipError_tPvRmT3_T4_T5_T6_T7_T9_mT8_P12ihipStream_tbDpT10_ENKUlT_T0_E_clISt17integral_constantIbLb0EES19_EEDaS14_S15_EUlS14_E_NS1_11comp_targetILNS1_3genE3ELNS1_11target_archE908ELNS1_3gpuE7ELNS1_3repE0EEENS1_30default_config_static_selectorELNS0_4arch9wavefront6targetE1EEEvT1_
	.p2align	8
	.type	_ZN7rocprim17ROCPRIM_400000_NS6detail17trampoline_kernelINS0_14default_configENS1_25partition_config_selectorILNS1_17partition_subalgoE5EiNS0_10empty_typeEbEEZZNS1_14partition_implILS5_5ELb0ES3_mPiPS6_N6thrust23THRUST_200600_302600_NS18transform_iteratorINSC_6detail9not_fun_tIN6dUtils8isNotOneIiEEEES9_NSC_11use_defaultESK_EENS0_5tupleIJS9_S6_EEENSM_IJSA_SA_EEES6_PlJS6_EEE10hipError_tPvRmT3_T4_T5_T6_T7_T9_mT8_P12ihipStream_tbDpT10_ENKUlT_T0_E_clISt17integral_constantIbLb0EES19_EEDaS14_S15_EUlS14_E_NS1_11comp_targetILNS1_3genE3ELNS1_11target_archE908ELNS1_3gpuE7ELNS1_3repE0EEENS1_30default_config_static_selectorELNS0_4arch9wavefront6targetE1EEEvT1_,@function
_ZN7rocprim17ROCPRIM_400000_NS6detail17trampoline_kernelINS0_14default_configENS1_25partition_config_selectorILNS1_17partition_subalgoE5EiNS0_10empty_typeEbEEZZNS1_14partition_implILS5_5ELb0ES3_mPiPS6_N6thrust23THRUST_200600_302600_NS18transform_iteratorINSC_6detail9not_fun_tIN6dUtils8isNotOneIiEEEES9_NSC_11use_defaultESK_EENS0_5tupleIJS9_S6_EEENSM_IJSA_SA_EEES6_PlJS6_EEE10hipError_tPvRmT3_T4_T5_T6_T7_T9_mT8_P12ihipStream_tbDpT10_ENKUlT_T0_E_clISt17integral_constantIbLb0EES19_EEDaS14_S15_EUlS14_E_NS1_11comp_targetILNS1_3genE3ELNS1_11target_archE908ELNS1_3gpuE7ELNS1_3repE0EEENS1_30default_config_static_selectorELNS0_4arch9wavefront6targetE1EEEvT1_: ; @_ZN7rocprim17ROCPRIM_400000_NS6detail17trampoline_kernelINS0_14default_configENS1_25partition_config_selectorILNS1_17partition_subalgoE5EiNS0_10empty_typeEbEEZZNS1_14partition_implILS5_5ELb0ES3_mPiPS6_N6thrust23THRUST_200600_302600_NS18transform_iteratorINSC_6detail9not_fun_tIN6dUtils8isNotOneIiEEEES9_NSC_11use_defaultESK_EENS0_5tupleIJS9_S6_EEENSM_IJSA_SA_EEES6_PlJS6_EEE10hipError_tPvRmT3_T4_T5_T6_T7_T9_mT8_P12ihipStream_tbDpT10_ENKUlT_T0_E_clISt17integral_constantIbLb0EES19_EEDaS14_S15_EUlS14_E_NS1_11comp_targetILNS1_3genE3ELNS1_11target_archE908ELNS1_3gpuE7ELNS1_3repE0EEENS1_30default_config_static_selectorELNS0_4arch9wavefront6targetE1EEEvT1_
; %bb.0:
	.section	.rodata,"a",@progbits
	.p2align	6, 0x0
	.amdhsa_kernel _ZN7rocprim17ROCPRIM_400000_NS6detail17trampoline_kernelINS0_14default_configENS1_25partition_config_selectorILNS1_17partition_subalgoE5EiNS0_10empty_typeEbEEZZNS1_14partition_implILS5_5ELb0ES3_mPiPS6_N6thrust23THRUST_200600_302600_NS18transform_iteratorINSC_6detail9not_fun_tIN6dUtils8isNotOneIiEEEES9_NSC_11use_defaultESK_EENS0_5tupleIJS9_S6_EEENSM_IJSA_SA_EEES6_PlJS6_EEE10hipError_tPvRmT3_T4_T5_T6_T7_T9_mT8_P12ihipStream_tbDpT10_ENKUlT_T0_E_clISt17integral_constantIbLb0EES19_EEDaS14_S15_EUlS14_E_NS1_11comp_targetILNS1_3genE3ELNS1_11target_archE908ELNS1_3gpuE7ELNS1_3repE0EEENS1_30default_config_static_selectorELNS0_4arch9wavefront6targetE1EEEvT1_
		.amdhsa_group_segment_fixed_size 0
		.amdhsa_private_segment_fixed_size 0
		.amdhsa_kernarg_size 120
		.amdhsa_user_sgpr_count 6
		.amdhsa_user_sgpr_private_segment_buffer 1
		.amdhsa_user_sgpr_dispatch_ptr 0
		.amdhsa_user_sgpr_queue_ptr 0
		.amdhsa_user_sgpr_kernarg_segment_ptr 1
		.amdhsa_user_sgpr_dispatch_id 0
		.amdhsa_user_sgpr_flat_scratch_init 0
		.amdhsa_user_sgpr_kernarg_preload_length 0
		.amdhsa_user_sgpr_kernarg_preload_offset 0
		.amdhsa_user_sgpr_private_segment_size 0
		.amdhsa_uses_dynamic_stack 0
		.amdhsa_system_sgpr_private_segment_wavefront_offset 0
		.amdhsa_system_sgpr_workgroup_id_x 1
		.amdhsa_system_sgpr_workgroup_id_y 0
		.amdhsa_system_sgpr_workgroup_id_z 0
		.amdhsa_system_sgpr_workgroup_info 0
		.amdhsa_system_vgpr_workitem_id 0
		.amdhsa_next_free_vgpr 1
		.amdhsa_next_free_sgpr 0
		.amdhsa_accum_offset 4
		.amdhsa_reserve_vcc 0
		.amdhsa_reserve_flat_scratch 0
		.amdhsa_float_round_mode_32 0
		.amdhsa_float_round_mode_16_64 0
		.amdhsa_float_denorm_mode_32 3
		.amdhsa_float_denorm_mode_16_64 3
		.amdhsa_dx10_clamp 1
		.amdhsa_ieee_mode 1
		.amdhsa_fp16_overflow 0
		.amdhsa_tg_split 0
		.amdhsa_exception_fp_ieee_invalid_op 0
		.amdhsa_exception_fp_denorm_src 0
		.amdhsa_exception_fp_ieee_div_zero 0
		.amdhsa_exception_fp_ieee_overflow 0
		.amdhsa_exception_fp_ieee_underflow 0
		.amdhsa_exception_fp_ieee_inexact 0
		.amdhsa_exception_int_div_zero 0
	.end_amdhsa_kernel
	.section	.text._ZN7rocprim17ROCPRIM_400000_NS6detail17trampoline_kernelINS0_14default_configENS1_25partition_config_selectorILNS1_17partition_subalgoE5EiNS0_10empty_typeEbEEZZNS1_14partition_implILS5_5ELb0ES3_mPiPS6_N6thrust23THRUST_200600_302600_NS18transform_iteratorINSC_6detail9not_fun_tIN6dUtils8isNotOneIiEEEES9_NSC_11use_defaultESK_EENS0_5tupleIJS9_S6_EEENSM_IJSA_SA_EEES6_PlJS6_EEE10hipError_tPvRmT3_T4_T5_T6_T7_T9_mT8_P12ihipStream_tbDpT10_ENKUlT_T0_E_clISt17integral_constantIbLb0EES19_EEDaS14_S15_EUlS14_E_NS1_11comp_targetILNS1_3genE3ELNS1_11target_archE908ELNS1_3gpuE7ELNS1_3repE0EEENS1_30default_config_static_selectorELNS0_4arch9wavefront6targetE1EEEvT1_,"axG",@progbits,_ZN7rocprim17ROCPRIM_400000_NS6detail17trampoline_kernelINS0_14default_configENS1_25partition_config_selectorILNS1_17partition_subalgoE5EiNS0_10empty_typeEbEEZZNS1_14partition_implILS5_5ELb0ES3_mPiPS6_N6thrust23THRUST_200600_302600_NS18transform_iteratorINSC_6detail9not_fun_tIN6dUtils8isNotOneIiEEEES9_NSC_11use_defaultESK_EENS0_5tupleIJS9_S6_EEENSM_IJSA_SA_EEES6_PlJS6_EEE10hipError_tPvRmT3_T4_T5_T6_T7_T9_mT8_P12ihipStream_tbDpT10_ENKUlT_T0_E_clISt17integral_constantIbLb0EES19_EEDaS14_S15_EUlS14_E_NS1_11comp_targetILNS1_3genE3ELNS1_11target_archE908ELNS1_3gpuE7ELNS1_3repE0EEENS1_30default_config_static_selectorELNS0_4arch9wavefront6targetE1EEEvT1_,comdat
.Lfunc_end107:
	.size	_ZN7rocprim17ROCPRIM_400000_NS6detail17trampoline_kernelINS0_14default_configENS1_25partition_config_selectorILNS1_17partition_subalgoE5EiNS0_10empty_typeEbEEZZNS1_14partition_implILS5_5ELb0ES3_mPiPS6_N6thrust23THRUST_200600_302600_NS18transform_iteratorINSC_6detail9not_fun_tIN6dUtils8isNotOneIiEEEES9_NSC_11use_defaultESK_EENS0_5tupleIJS9_S6_EEENSM_IJSA_SA_EEES6_PlJS6_EEE10hipError_tPvRmT3_T4_T5_T6_T7_T9_mT8_P12ihipStream_tbDpT10_ENKUlT_T0_E_clISt17integral_constantIbLb0EES19_EEDaS14_S15_EUlS14_E_NS1_11comp_targetILNS1_3genE3ELNS1_11target_archE908ELNS1_3gpuE7ELNS1_3repE0EEENS1_30default_config_static_selectorELNS0_4arch9wavefront6targetE1EEEvT1_, .Lfunc_end107-_ZN7rocprim17ROCPRIM_400000_NS6detail17trampoline_kernelINS0_14default_configENS1_25partition_config_selectorILNS1_17partition_subalgoE5EiNS0_10empty_typeEbEEZZNS1_14partition_implILS5_5ELb0ES3_mPiPS6_N6thrust23THRUST_200600_302600_NS18transform_iteratorINSC_6detail9not_fun_tIN6dUtils8isNotOneIiEEEES9_NSC_11use_defaultESK_EENS0_5tupleIJS9_S6_EEENSM_IJSA_SA_EEES6_PlJS6_EEE10hipError_tPvRmT3_T4_T5_T6_T7_T9_mT8_P12ihipStream_tbDpT10_ENKUlT_T0_E_clISt17integral_constantIbLb0EES19_EEDaS14_S15_EUlS14_E_NS1_11comp_targetILNS1_3genE3ELNS1_11target_archE908ELNS1_3gpuE7ELNS1_3repE0EEENS1_30default_config_static_selectorELNS0_4arch9wavefront6targetE1EEEvT1_
                                        ; -- End function
	.section	.AMDGPU.csdata,"",@progbits
; Kernel info:
; codeLenInByte = 0
; NumSgprs: 4
; NumVgprs: 0
; NumAgprs: 0
; TotalNumVgprs: 0
; ScratchSize: 0
; MemoryBound: 0
; FloatMode: 240
; IeeeMode: 1
; LDSByteSize: 0 bytes/workgroup (compile time only)
; SGPRBlocks: 0
; VGPRBlocks: 0
; NumSGPRsForWavesPerEU: 4
; NumVGPRsForWavesPerEU: 1
; AccumOffset: 4
; Occupancy: 8
; WaveLimiterHint : 0
; COMPUTE_PGM_RSRC2:SCRATCH_EN: 0
; COMPUTE_PGM_RSRC2:USER_SGPR: 6
; COMPUTE_PGM_RSRC2:TRAP_HANDLER: 0
; COMPUTE_PGM_RSRC2:TGID_X_EN: 1
; COMPUTE_PGM_RSRC2:TGID_Y_EN: 0
; COMPUTE_PGM_RSRC2:TGID_Z_EN: 0
; COMPUTE_PGM_RSRC2:TIDIG_COMP_CNT: 0
; COMPUTE_PGM_RSRC3_GFX90A:ACCUM_OFFSET: 0
; COMPUTE_PGM_RSRC3_GFX90A:TG_SPLIT: 0
	.section	.text._ZN7rocprim17ROCPRIM_400000_NS6detail17trampoline_kernelINS0_14default_configENS1_25partition_config_selectorILNS1_17partition_subalgoE5EiNS0_10empty_typeEbEEZZNS1_14partition_implILS5_5ELb0ES3_mPiPS6_N6thrust23THRUST_200600_302600_NS18transform_iteratorINSC_6detail9not_fun_tIN6dUtils8isNotOneIiEEEES9_NSC_11use_defaultESK_EENS0_5tupleIJS9_S6_EEENSM_IJSA_SA_EEES6_PlJS6_EEE10hipError_tPvRmT3_T4_T5_T6_T7_T9_mT8_P12ihipStream_tbDpT10_ENKUlT_T0_E_clISt17integral_constantIbLb0EES19_EEDaS14_S15_EUlS14_E_NS1_11comp_targetILNS1_3genE2ELNS1_11target_archE906ELNS1_3gpuE6ELNS1_3repE0EEENS1_30default_config_static_selectorELNS0_4arch9wavefront6targetE1EEEvT1_,"axG",@progbits,_ZN7rocprim17ROCPRIM_400000_NS6detail17trampoline_kernelINS0_14default_configENS1_25partition_config_selectorILNS1_17partition_subalgoE5EiNS0_10empty_typeEbEEZZNS1_14partition_implILS5_5ELb0ES3_mPiPS6_N6thrust23THRUST_200600_302600_NS18transform_iteratorINSC_6detail9not_fun_tIN6dUtils8isNotOneIiEEEES9_NSC_11use_defaultESK_EENS0_5tupleIJS9_S6_EEENSM_IJSA_SA_EEES6_PlJS6_EEE10hipError_tPvRmT3_T4_T5_T6_T7_T9_mT8_P12ihipStream_tbDpT10_ENKUlT_T0_E_clISt17integral_constantIbLb0EES19_EEDaS14_S15_EUlS14_E_NS1_11comp_targetILNS1_3genE2ELNS1_11target_archE906ELNS1_3gpuE6ELNS1_3repE0EEENS1_30default_config_static_selectorELNS0_4arch9wavefront6targetE1EEEvT1_,comdat
	.protected	_ZN7rocprim17ROCPRIM_400000_NS6detail17trampoline_kernelINS0_14default_configENS1_25partition_config_selectorILNS1_17partition_subalgoE5EiNS0_10empty_typeEbEEZZNS1_14partition_implILS5_5ELb0ES3_mPiPS6_N6thrust23THRUST_200600_302600_NS18transform_iteratorINSC_6detail9not_fun_tIN6dUtils8isNotOneIiEEEES9_NSC_11use_defaultESK_EENS0_5tupleIJS9_S6_EEENSM_IJSA_SA_EEES6_PlJS6_EEE10hipError_tPvRmT3_T4_T5_T6_T7_T9_mT8_P12ihipStream_tbDpT10_ENKUlT_T0_E_clISt17integral_constantIbLb0EES19_EEDaS14_S15_EUlS14_E_NS1_11comp_targetILNS1_3genE2ELNS1_11target_archE906ELNS1_3gpuE6ELNS1_3repE0EEENS1_30default_config_static_selectorELNS0_4arch9wavefront6targetE1EEEvT1_ ; -- Begin function _ZN7rocprim17ROCPRIM_400000_NS6detail17trampoline_kernelINS0_14default_configENS1_25partition_config_selectorILNS1_17partition_subalgoE5EiNS0_10empty_typeEbEEZZNS1_14partition_implILS5_5ELb0ES3_mPiPS6_N6thrust23THRUST_200600_302600_NS18transform_iteratorINSC_6detail9not_fun_tIN6dUtils8isNotOneIiEEEES9_NSC_11use_defaultESK_EENS0_5tupleIJS9_S6_EEENSM_IJSA_SA_EEES6_PlJS6_EEE10hipError_tPvRmT3_T4_T5_T6_T7_T9_mT8_P12ihipStream_tbDpT10_ENKUlT_T0_E_clISt17integral_constantIbLb0EES19_EEDaS14_S15_EUlS14_E_NS1_11comp_targetILNS1_3genE2ELNS1_11target_archE906ELNS1_3gpuE6ELNS1_3repE0EEENS1_30default_config_static_selectorELNS0_4arch9wavefront6targetE1EEEvT1_
	.globl	_ZN7rocprim17ROCPRIM_400000_NS6detail17trampoline_kernelINS0_14default_configENS1_25partition_config_selectorILNS1_17partition_subalgoE5EiNS0_10empty_typeEbEEZZNS1_14partition_implILS5_5ELb0ES3_mPiPS6_N6thrust23THRUST_200600_302600_NS18transform_iteratorINSC_6detail9not_fun_tIN6dUtils8isNotOneIiEEEES9_NSC_11use_defaultESK_EENS0_5tupleIJS9_S6_EEENSM_IJSA_SA_EEES6_PlJS6_EEE10hipError_tPvRmT3_T4_T5_T6_T7_T9_mT8_P12ihipStream_tbDpT10_ENKUlT_T0_E_clISt17integral_constantIbLb0EES19_EEDaS14_S15_EUlS14_E_NS1_11comp_targetILNS1_3genE2ELNS1_11target_archE906ELNS1_3gpuE6ELNS1_3repE0EEENS1_30default_config_static_selectorELNS0_4arch9wavefront6targetE1EEEvT1_
	.p2align	8
	.type	_ZN7rocprim17ROCPRIM_400000_NS6detail17trampoline_kernelINS0_14default_configENS1_25partition_config_selectorILNS1_17partition_subalgoE5EiNS0_10empty_typeEbEEZZNS1_14partition_implILS5_5ELb0ES3_mPiPS6_N6thrust23THRUST_200600_302600_NS18transform_iteratorINSC_6detail9not_fun_tIN6dUtils8isNotOneIiEEEES9_NSC_11use_defaultESK_EENS0_5tupleIJS9_S6_EEENSM_IJSA_SA_EEES6_PlJS6_EEE10hipError_tPvRmT3_T4_T5_T6_T7_T9_mT8_P12ihipStream_tbDpT10_ENKUlT_T0_E_clISt17integral_constantIbLb0EES19_EEDaS14_S15_EUlS14_E_NS1_11comp_targetILNS1_3genE2ELNS1_11target_archE906ELNS1_3gpuE6ELNS1_3repE0EEENS1_30default_config_static_selectorELNS0_4arch9wavefront6targetE1EEEvT1_,@function
_ZN7rocprim17ROCPRIM_400000_NS6detail17trampoline_kernelINS0_14default_configENS1_25partition_config_selectorILNS1_17partition_subalgoE5EiNS0_10empty_typeEbEEZZNS1_14partition_implILS5_5ELb0ES3_mPiPS6_N6thrust23THRUST_200600_302600_NS18transform_iteratorINSC_6detail9not_fun_tIN6dUtils8isNotOneIiEEEES9_NSC_11use_defaultESK_EENS0_5tupleIJS9_S6_EEENSM_IJSA_SA_EEES6_PlJS6_EEE10hipError_tPvRmT3_T4_T5_T6_T7_T9_mT8_P12ihipStream_tbDpT10_ENKUlT_T0_E_clISt17integral_constantIbLb0EES19_EEDaS14_S15_EUlS14_E_NS1_11comp_targetILNS1_3genE2ELNS1_11target_archE906ELNS1_3gpuE6ELNS1_3repE0EEENS1_30default_config_static_selectorELNS0_4arch9wavefront6targetE1EEEvT1_: ; @_ZN7rocprim17ROCPRIM_400000_NS6detail17trampoline_kernelINS0_14default_configENS1_25partition_config_selectorILNS1_17partition_subalgoE5EiNS0_10empty_typeEbEEZZNS1_14partition_implILS5_5ELb0ES3_mPiPS6_N6thrust23THRUST_200600_302600_NS18transform_iteratorINSC_6detail9not_fun_tIN6dUtils8isNotOneIiEEEES9_NSC_11use_defaultESK_EENS0_5tupleIJS9_S6_EEENSM_IJSA_SA_EEES6_PlJS6_EEE10hipError_tPvRmT3_T4_T5_T6_T7_T9_mT8_P12ihipStream_tbDpT10_ENKUlT_T0_E_clISt17integral_constantIbLb0EES19_EEDaS14_S15_EUlS14_E_NS1_11comp_targetILNS1_3genE2ELNS1_11target_archE906ELNS1_3gpuE6ELNS1_3repE0EEENS1_30default_config_static_selectorELNS0_4arch9wavefront6targetE1EEEvT1_
; %bb.0:
	.section	.rodata,"a",@progbits
	.p2align	6, 0x0
	.amdhsa_kernel _ZN7rocprim17ROCPRIM_400000_NS6detail17trampoline_kernelINS0_14default_configENS1_25partition_config_selectorILNS1_17partition_subalgoE5EiNS0_10empty_typeEbEEZZNS1_14partition_implILS5_5ELb0ES3_mPiPS6_N6thrust23THRUST_200600_302600_NS18transform_iteratorINSC_6detail9not_fun_tIN6dUtils8isNotOneIiEEEES9_NSC_11use_defaultESK_EENS0_5tupleIJS9_S6_EEENSM_IJSA_SA_EEES6_PlJS6_EEE10hipError_tPvRmT3_T4_T5_T6_T7_T9_mT8_P12ihipStream_tbDpT10_ENKUlT_T0_E_clISt17integral_constantIbLb0EES19_EEDaS14_S15_EUlS14_E_NS1_11comp_targetILNS1_3genE2ELNS1_11target_archE906ELNS1_3gpuE6ELNS1_3repE0EEENS1_30default_config_static_selectorELNS0_4arch9wavefront6targetE1EEEvT1_
		.amdhsa_group_segment_fixed_size 0
		.amdhsa_private_segment_fixed_size 0
		.amdhsa_kernarg_size 120
		.amdhsa_user_sgpr_count 6
		.amdhsa_user_sgpr_private_segment_buffer 1
		.amdhsa_user_sgpr_dispatch_ptr 0
		.amdhsa_user_sgpr_queue_ptr 0
		.amdhsa_user_sgpr_kernarg_segment_ptr 1
		.amdhsa_user_sgpr_dispatch_id 0
		.amdhsa_user_sgpr_flat_scratch_init 0
		.amdhsa_user_sgpr_kernarg_preload_length 0
		.amdhsa_user_sgpr_kernarg_preload_offset 0
		.amdhsa_user_sgpr_private_segment_size 0
		.amdhsa_uses_dynamic_stack 0
		.amdhsa_system_sgpr_private_segment_wavefront_offset 0
		.amdhsa_system_sgpr_workgroup_id_x 1
		.amdhsa_system_sgpr_workgroup_id_y 0
		.amdhsa_system_sgpr_workgroup_id_z 0
		.amdhsa_system_sgpr_workgroup_info 0
		.amdhsa_system_vgpr_workitem_id 0
		.amdhsa_next_free_vgpr 1
		.amdhsa_next_free_sgpr 0
		.amdhsa_accum_offset 4
		.amdhsa_reserve_vcc 0
		.amdhsa_reserve_flat_scratch 0
		.amdhsa_float_round_mode_32 0
		.amdhsa_float_round_mode_16_64 0
		.amdhsa_float_denorm_mode_32 3
		.amdhsa_float_denorm_mode_16_64 3
		.amdhsa_dx10_clamp 1
		.amdhsa_ieee_mode 1
		.amdhsa_fp16_overflow 0
		.amdhsa_tg_split 0
		.amdhsa_exception_fp_ieee_invalid_op 0
		.amdhsa_exception_fp_denorm_src 0
		.amdhsa_exception_fp_ieee_div_zero 0
		.amdhsa_exception_fp_ieee_overflow 0
		.amdhsa_exception_fp_ieee_underflow 0
		.amdhsa_exception_fp_ieee_inexact 0
		.amdhsa_exception_int_div_zero 0
	.end_amdhsa_kernel
	.section	.text._ZN7rocprim17ROCPRIM_400000_NS6detail17trampoline_kernelINS0_14default_configENS1_25partition_config_selectorILNS1_17partition_subalgoE5EiNS0_10empty_typeEbEEZZNS1_14partition_implILS5_5ELb0ES3_mPiPS6_N6thrust23THRUST_200600_302600_NS18transform_iteratorINSC_6detail9not_fun_tIN6dUtils8isNotOneIiEEEES9_NSC_11use_defaultESK_EENS0_5tupleIJS9_S6_EEENSM_IJSA_SA_EEES6_PlJS6_EEE10hipError_tPvRmT3_T4_T5_T6_T7_T9_mT8_P12ihipStream_tbDpT10_ENKUlT_T0_E_clISt17integral_constantIbLb0EES19_EEDaS14_S15_EUlS14_E_NS1_11comp_targetILNS1_3genE2ELNS1_11target_archE906ELNS1_3gpuE6ELNS1_3repE0EEENS1_30default_config_static_selectorELNS0_4arch9wavefront6targetE1EEEvT1_,"axG",@progbits,_ZN7rocprim17ROCPRIM_400000_NS6detail17trampoline_kernelINS0_14default_configENS1_25partition_config_selectorILNS1_17partition_subalgoE5EiNS0_10empty_typeEbEEZZNS1_14partition_implILS5_5ELb0ES3_mPiPS6_N6thrust23THRUST_200600_302600_NS18transform_iteratorINSC_6detail9not_fun_tIN6dUtils8isNotOneIiEEEES9_NSC_11use_defaultESK_EENS0_5tupleIJS9_S6_EEENSM_IJSA_SA_EEES6_PlJS6_EEE10hipError_tPvRmT3_T4_T5_T6_T7_T9_mT8_P12ihipStream_tbDpT10_ENKUlT_T0_E_clISt17integral_constantIbLb0EES19_EEDaS14_S15_EUlS14_E_NS1_11comp_targetILNS1_3genE2ELNS1_11target_archE906ELNS1_3gpuE6ELNS1_3repE0EEENS1_30default_config_static_selectorELNS0_4arch9wavefront6targetE1EEEvT1_,comdat
.Lfunc_end108:
	.size	_ZN7rocprim17ROCPRIM_400000_NS6detail17trampoline_kernelINS0_14default_configENS1_25partition_config_selectorILNS1_17partition_subalgoE5EiNS0_10empty_typeEbEEZZNS1_14partition_implILS5_5ELb0ES3_mPiPS6_N6thrust23THRUST_200600_302600_NS18transform_iteratorINSC_6detail9not_fun_tIN6dUtils8isNotOneIiEEEES9_NSC_11use_defaultESK_EENS0_5tupleIJS9_S6_EEENSM_IJSA_SA_EEES6_PlJS6_EEE10hipError_tPvRmT3_T4_T5_T6_T7_T9_mT8_P12ihipStream_tbDpT10_ENKUlT_T0_E_clISt17integral_constantIbLb0EES19_EEDaS14_S15_EUlS14_E_NS1_11comp_targetILNS1_3genE2ELNS1_11target_archE906ELNS1_3gpuE6ELNS1_3repE0EEENS1_30default_config_static_selectorELNS0_4arch9wavefront6targetE1EEEvT1_, .Lfunc_end108-_ZN7rocprim17ROCPRIM_400000_NS6detail17trampoline_kernelINS0_14default_configENS1_25partition_config_selectorILNS1_17partition_subalgoE5EiNS0_10empty_typeEbEEZZNS1_14partition_implILS5_5ELb0ES3_mPiPS6_N6thrust23THRUST_200600_302600_NS18transform_iteratorINSC_6detail9not_fun_tIN6dUtils8isNotOneIiEEEES9_NSC_11use_defaultESK_EENS0_5tupleIJS9_S6_EEENSM_IJSA_SA_EEES6_PlJS6_EEE10hipError_tPvRmT3_T4_T5_T6_T7_T9_mT8_P12ihipStream_tbDpT10_ENKUlT_T0_E_clISt17integral_constantIbLb0EES19_EEDaS14_S15_EUlS14_E_NS1_11comp_targetILNS1_3genE2ELNS1_11target_archE906ELNS1_3gpuE6ELNS1_3repE0EEENS1_30default_config_static_selectorELNS0_4arch9wavefront6targetE1EEEvT1_
                                        ; -- End function
	.section	.AMDGPU.csdata,"",@progbits
; Kernel info:
; codeLenInByte = 0
; NumSgprs: 4
; NumVgprs: 0
; NumAgprs: 0
; TotalNumVgprs: 0
; ScratchSize: 0
; MemoryBound: 0
; FloatMode: 240
; IeeeMode: 1
; LDSByteSize: 0 bytes/workgroup (compile time only)
; SGPRBlocks: 0
; VGPRBlocks: 0
; NumSGPRsForWavesPerEU: 4
; NumVGPRsForWavesPerEU: 1
; AccumOffset: 4
; Occupancy: 8
; WaveLimiterHint : 0
; COMPUTE_PGM_RSRC2:SCRATCH_EN: 0
; COMPUTE_PGM_RSRC2:USER_SGPR: 6
; COMPUTE_PGM_RSRC2:TRAP_HANDLER: 0
; COMPUTE_PGM_RSRC2:TGID_X_EN: 1
; COMPUTE_PGM_RSRC2:TGID_Y_EN: 0
; COMPUTE_PGM_RSRC2:TGID_Z_EN: 0
; COMPUTE_PGM_RSRC2:TIDIG_COMP_CNT: 0
; COMPUTE_PGM_RSRC3_GFX90A:ACCUM_OFFSET: 0
; COMPUTE_PGM_RSRC3_GFX90A:TG_SPLIT: 0
	.section	.text._ZN7rocprim17ROCPRIM_400000_NS6detail17trampoline_kernelINS0_14default_configENS1_25partition_config_selectorILNS1_17partition_subalgoE5EiNS0_10empty_typeEbEEZZNS1_14partition_implILS5_5ELb0ES3_mPiPS6_N6thrust23THRUST_200600_302600_NS18transform_iteratorINSC_6detail9not_fun_tIN6dUtils8isNotOneIiEEEES9_NSC_11use_defaultESK_EENS0_5tupleIJS9_S6_EEENSM_IJSA_SA_EEES6_PlJS6_EEE10hipError_tPvRmT3_T4_T5_T6_T7_T9_mT8_P12ihipStream_tbDpT10_ENKUlT_T0_E_clISt17integral_constantIbLb0EES19_EEDaS14_S15_EUlS14_E_NS1_11comp_targetILNS1_3genE10ELNS1_11target_archE1200ELNS1_3gpuE4ELNS1_3repE0EEENS1_30default_config_static_selectorELNS0_4arch9wavefront6targetE1EEEvT1_,"axG",@progbits,_ZN7rocprim17ROCPRIM_400000_NS6detail17trampoline_kernelINS0_14default_configENS1_25partition_config_selectorILNS1_17partition_subalgoE5EiNS0_10empty_typeEbEEZZNS1_14partition_implILS5_5ELb0ES3_mPiPS6_N6thrust23THRUST_200600_302600_NS18transform_iteratorINSC_6detail9not_fun_tIN6dUtils8isNotOneIiEEEES9_NSC_11use_defaultESK_EENS0_5tupleIJS9_S6_EEENSM_IJSA_SA_EEES6_PlJS6_EEE10hipError_tPvRmT3_T4_T5_T6_T7_T9_mT8_P12ihipStream_tbDpT10_ENKUlT_T0_E_clISt17integral_constantIbLb0EES19_EEDaS14_S15_EUlS14_E_NS1_11comp_targetILNS1_3genE10ELNS1_11target_archE1200ELNS1_3gpuE4ELNS1_3repE0EEENS1_30default_config_static_selectorELNS0_4arch9wavefront6targetE1EEEvT1_,comdat
	.protected	_ZN7rocprim17ROCPRIM_400000_NS6detail17trampoline_kernelINS0_14default_configENS1_25partition_config_selectorILNS1_17partition_subalgoE5EiNS0_10empty_typeEbEEZZNS1_14partition_implILS5_5ELb0ES3_mPiPS6_N6thrust23THRUST_200600_302600_NS18transform_iteratorINSC_6detail9not_fun_tIN6dUtils8isNotOneIiEEEES9_NSC_11use_defaultESK_EENS0_5tupleIJS9_S6_EEENSM_IJSA_SA_EEES6_PlJS6_EEE10hipError_tPvRmT3_T4_T5_T6_T7_T9_mT8_P12ihipStream_tbDpT10_ENKUlT_T0_E_clISt17integral_constantIbLb0EES19_EEDaS14_S15_EUlS14_E_NS1_11comp_targetILNS1_3genE10ELNS1_11target_archE1200ELNS1_3gpuE4ELNS1_3repE0EEENS1_30default_config_static_selectorELNS0_4arch9wavefront6targetE1EEEvT1_ ; -- Begin function _ZN7rocprim17ROCPRIM_400000_NS6detail17trampoline_kernelINS0_14default_configENS1_25partition_config_selectorILNS1_17partition_subalgoE5EiNS0_10empty_typeEbEEZZNS1_14partition_implILS5_5ELb0ES3_mPiPS6_N6thrust23THRUST_200600_302600_NS18transform_iteratorINSC_6detail9not_fun_tIN6dUtils8isNotOneIiEEEES9_NSC_11use_defaultESK_EENS0_5tupleIJS9_S6_EEENSM_IJSA_SA_EEES6_PlJS6_EEE10hipError_tPvRmT3_T4_T5_T6_T7_T9_mT8_P12ihipStream_tbDpT10_ENKUlT_T0_E_clISt17integral_constantIbLb0EES19_EEDaS14_S15_EUlS14_E_NS1_11comp_targetILNS1_3genE10ELNS1_11target_archE1200ELNS1_3gpuE4ELNS1_3repE0EEENS1_30default_config_static_selectorELNS0_4arch9wavefront6targetE1EEEvT1_
	.globl	_ZN7rocprim17ROCPRIM_400000_NS6detail17trampoline_kernelINS0_14default_configENS1_25partition_config_selectorILNS1_17partition_subalgoE5EiNS0_10empty_typeEbEEZZNS1_14partition_implILS5_5ELb0ES3_mPiPS6_N6thrust23THRUST_200600_302600_NS18transform_iteratorINSC_6detail9not_fun_tIN6dUtils8isNotOneIiEEEES9_NSC_11use_defaultESK_EENS0_5tupleIJS9_S6_EEENSM_IJSA_SA_EEES6_PlJS6_EEE10hipError_tPvRmT3_T4_T5_T6_T7_T9_mT8_P12ihipStream_tbDpT10_ENKUlT_T0_E_clISt17integral_constantIbLb0EES19_EEDaS14_S15_EUlS14_E_NS1_11comp_targetILNS1_3genE10ELNS1_11target_archE1200ELNS1_3gpuE4ELNS1_3repE0EEENS1_30default_config_static_selectorELNS0_4arch9wavefront6targetE1EEEvT1_
	.p2align	8
	.type	_ZN7rocprim17ROCPRIM_400000_NS6detail17trampoline_kernelINS0_14default_configENS1_25partition_config_selectorILNS1_17partition_subalgoE5EiNS0_10empty_typeEbEEZZNS1_14partition_implILS5_5ELb0ES3_mPiPS6_N6thrust23THRUST_200600_302600_NS18transform_iteratorINSC_6detail9not_fun_tIN6dUtils8isNotOneIiEEEES9_NSC_11use_defaultESK_EENS0_5tupleIJS9_S6_EEENSM_IJSA_SA_EEES6_PlJS6_EEE10hipError_tPvRmT3_T4_T5_T6_T7_T9_mT8_P12ihipStream_tbDpT10_ENKUlT_T0_E_clISt17integral_constantIbLb0EES19_EEDaS14_S15_EUlS14_E_NS1_11comp_targetILNS1_3genE10ELNS1_11target_archE1200ELNS1_3gpuE4ELNS1_3repE0EEENS1_30default_config_static_selectorELNS0_4arch9wavefront6targetE1EEEvT1_,@function
_ZN7rocprim17ROCPRIM_400000_NS6detail17trampoline_kernelINS0_14default_configENS1_25partition_config_selectorILNS1_17partition_subalgoE5EiNS0_10empty_typeEbEEZZNS1_14partition_implILS5_5ELb0ES3_mPiPS6_N6thrust23THRUST_200600_302600_NS18transform_iteratorINSC_6detail9not_fun_tIN6dUtils8isNotOneIiEEEES9_NSC_11use_defaultESK_EENS0_5tupleIJS9_S6_EEENSM_IJSA_SA_EEES6_PlJS6_EEE10hipError_tPvRmT3_T4_T5_T6_T7_T9_mT8_P12ihipStream_tbDpT10_ENKUlT_T0_E_clISt17integral_constantIbLb0EES19_EEDaS14_S15_EUlS14_E_NS1_11comp_targetILNS1_3genE10ELNS1_11target_archE1200ELNS1_3gpuE4ELNS1_3repE0EEENS1_30default_config_static_selectorELNS0_4arch9wavefront6targetE1EEEvT1_: ; @_ZN7rocprim17ROCPRIM_400000_NS6detail17trampoline_kernelINS0_14default_configENS1_25partition_config_selectorILNS1_17partition_subalgoE5EiNS0_10empty_typeEbEEZZNS1_14partition_implILS5_5ELb0ES3_mPiPS6_N6thrust23THRUST_200600_302600_NS18transform_iteratorINSC_6detail9not_fun_tIN6dUtils8isNotOneIiEEEES9_NSC_11use_defaultESK_EENS0_5tupleIJS9_S6_EEENSM_IJSA_SA_EEES6_PlJS6_EEE10hipError_tPvRmT3_T4_T5_T6_T7_T9_mT8_P12ihipStream_tbDpT10_ENKUlT_T0_E_clISt17integral_constantIbLb0EES19_EEDaS14_S15_EUlS14_E_NS1_11comp_targetILNS1_3genE10ELNS1_11target_archE1200ELNS1_3gpuE4ELNS1_3repE0EEENS1_30default_config_static_selectorELNS0_4arch9wavefront6targetE1EEEvT1_
; %bb.0:
	.section	.rodata,"a",@progbits
	.p2align	6, 0x0
	.amdhsa_kernel _ZN7rocprim17ROCPRIM_400000_NS6detail17trampoline_kernelINS0_14default_configENS1_25partition_config_selectorILNS1_17partition_subalgoE5EiNS0_10empty_typeEbEEZZNS1_14partition_implILS5_5ELb0ES3_mPiPS6_N6thrust23THRUST_200600_302600_NS18transform_iteratorINSC_6detail9not_fun_tIN6dUtils8isNotOneIiEEEES9_NSC_11use_defaultESK_EENS0_5tupleIJS9_S6_EEENSM_IJSA_SA_EEES6_PlJS6_EEE10hipError_tPvRmT3_T4_T5_T6_T7_T9_mT8_P12ihipStream_tbDpT10_ENKUlT_T0_E_clISt17integral_constantIbLb0EES19_EEDaS14_S15_EUlS14_E_NS1_11comp_targetILNS1_3genE10ELNS1_11target_archE1200ELNS1_3gpuE4ELNS1_3repE0EEENS1_30default_config_static_selectorELNS0_4arch9wavefront6targetE1EEEvT1_
		.amdhsa_group_segment_fixed_size 0
		.amdhsa_private_segment_fixed_size 0
		.amdhsa_kernarg_size 120
		.amdhsa_user_sgpr_count 6
		.amdhsa_user_sgpr_private_segment_buffer 1
		.amdhsa_user_sgpr_dispatch_ptr 0
		.amdhsa_user_sgpr_queue_ptr 0
		.amdhsa_user_sgpr_kernarg_segment_ptr 1
		.amdhsa_user_sgpr_dispatch_id 0
		.amdhsa_user_sgpr_flat_scratch_init 0
		.amdhsa_user_sgpr_kernarg_preload_length 0
		.amdhsa_user_sgpr_kernarg_preload_offset 0
		.amdhsa_user_sgpr_private_segment_size 0
		.amdhsa_uses_dynamic_stack 0
		.amdhsa_system_sgpr_private_segment_wavefront_offset 0
		.amdhsa_system_sgpr_workgroup_id_x 1
		.amdhsa_system_sgpr_workgroup_id_y 0
		.amdhsa_system_sgpr_workgroup_id_z 0
		.amdhsa_system_sgpr_workgroup_info 0
		.amdhsa_system_vgpr_workitem_id 0
		.amdhsa_next_free_vgpr 1
		.amdhsa_next_free_sgpr 0
		.amdhsa_accum_offset 4
		.amdhsa_reserve_vcc 0
		.amdhsa_reserve_flat_scratch 0
		.amdhsa_float_round_mode_32 0
		.amdhsa_float_round_mode_16_64 0
		.amdhsa_float_denorm_mode_32 3
		.amdhsa_float_denorm_mode_16_64 3
		.amdhsa_dx10_clamp 1
		.amdhsa_ieee_mode 1
		.amdhsa_fp16_overflow 0
		.amdhsa_tg_split 0
		.amdhsa_exception_fp_ieee_invalid_op 0
		.amdhsa_exception_fp_denorm_src 0
		.amdhsa_exception_fp_ieee_div_zero 0
		.amdhsa_exception_fp_ieee_overflow 0
		.amdhsa_exception_fp_ieee_underflow 0
		.amdhsa_exception_fp_ieee_inexact 0
		.amdhsa_exception_int_div_zero 0
	.end_amdhsa_kernel
	.section	.text._ZN7rocprim17ROCPRIM_400000_NS6detail17trampoline_kernelINS0_14default_configENS1_25partition_config_selectorILNS1_17partition_subalgoE5EiNS0_10empty_typeEbEEZZNS1_14partition_implILS5_5ELb0ES3_mPiPS6_N6thrust23THRUST_200600_302600_NS18transform_iteratorINSC_6detail9not_fun_tIN6dUtils8isNotOneIiEEEES9_NSC_11use_defaultESK_EENS0_5tupleIJS9_S6_EEENSM_IJSA_SA_EEES6_PlJS6_EEE10hipError_tPvRmT3_T4_T5_T6_T7_T9_mT8_P12ihipStream_tbDpT10_ENKUlT_T0_E_clISt17integral_constantIbLb0EES19_EEDaS14_S15_EUlS14_E_NS1_11comp_targetILNS1_3genE10ELNS1_11target_archE1200ELNS1_3gpuE4ELNS1_3repE0EEENS1_30default_config_static_selectorELNS0_4arch9wavefront6targetE1EEEvT1_,"axG",@progbits,_ZN7rocprim17ROCPRIM_400000_NS6detail17trampoline_kernelINS0_14default_configENS1_25partition_config_selectorILNS1_17partition_subalgoE5EiNS0_10empty_typeEbEEZZNS1_14partition_implILS5_5ELb0ES3_mPiPS6_N6thrust23THRUST_200600_302600_NS18transform_iteratorINSC_6detail9not_fun_tIN6dUtils8isNotOneIiEEEES9_NSC_11use_defaultESK_EENS0_5tupleIJS9_S6_EEENSM_IJSA_SA_EEES6_PlJS6_EEE10hipError_tPvRmT3_T4_T5_T6_T7_T9_mT8_P12ihipStream_tbDpT10_ENKUlT_T0_E_clISt17integral_constantIbLb0EES19_EEDaS14_S15_EUlS14_E_NS1_11comp_targetILNS1_3genE10ELNS1_11target_archE1200ELNS1_3gpuE4ELNS1_3repE0EEENS1_30default_config_static_selectorELNS0_4arch9wavefront6targetE1EEEvT1_,comdat
.Lfunc_end109:
	.size	_ZN7rocprim17ROCPRIM_400000_NS6detail17trampoline_kernelINS0_14default_configENS1_25partition_config_selectorILNS1_17partition_subalgoE5EiNS0_10empty_typeEbEEZZNS1_14partition_implILS5_5ELb0ES3_mPiPS6_N6thrust23THRUST_200600_302600_NS18transform_iteratorINSC_6detail9not_fun_tIN6dUtils8isNotOneIiEEEES9_NSC_11use_defaultESK_EENS0_5tupleIJS9_S6_EEENSM_IJSA_SA_EEES6_PlJS6_EEE10hipError_tPvRmT3_T4_T5_T6_T7_T9_mT8_P12ihipStream_tbDpT10_ENKUlT_T0_E_clISt17integral_constantIbLb0EES19_EEDaS14_S15_EUlS14_E_NS1_11comp_targetILNS1_3genE10ELNS1_11target_archE1200ELNS1_3gpuE4ELNS1_3repE0EEENS1_30default_config_static_selectorELNS0_4arch9wavefront6targetE1EEEvT1_, .Lfunc_end109-_ZN7rocprim17ROCPRIM_400000_NS6detail17trampoline_kernelINS0_14default_configENS1_25partition_config_selectorILNS1_17partition_subalgoE5EiNS0_10empty_typeEbEEZZNS1_14partition_implILS5_5ELb0ES3_mPiPS6_N6thrust23THRUST_200600_302600_NS18transform_iteratorINSC_6detail9not_fun_tIN6dUtils8isNotOneIiEEEES9_NSC_11use_defaultESK_EENS0_5tupleIJS9_S6_EEENSM_IJSA_SA_EEES6_PlJS6_EEE10hipError_tPvRmT3_T4_T5_T6_T7_T9_mT8_P12ihipStream_tbDpT10_ENKUlT_T0_E_clISt17integral_constantIbLb0EES19_EEDaS14_S15_EUlS14_E_NS1_11comp_targetILNS1_3genE10ELNS1_11target_archE1200ELNS1_3gpuE4ELNS1_3repE0EEENS1_30default_config_static_selectorELNS0_4arch9wavefront6targetE1EEEvT1_
                                        ; -- End function
	.section	.AMDGPU.csdata,"",@progbits
; Kernel info:
; codeLenInByte = 0
; NumSgprs: 4
; NumVgprs: 0
; NumAgprs: 0
; TotalNumVgprs: 0
; ScratchSize: 0
; MemoryBound: 0
; FloatMode: 240
; IeeeMode: 1
; LDSByteSize: 0 bytes/workgroup (compile time only)
; SGPRBlocks: 0
; VGPRBlocks: 0
; NumSGPRsForWavesPerEU: 4
; NumVGPRsForWavesPerEU: 1
; AccumOffset: 4
; Occupancy: 8
; WaveLimiterHint : 0
; COMPUTE_PGM_RSRC2:SCRATCH_EN: 0
; COMPUTE_PGM_RSRC2:USER_SGPR: 6
; COMPUTE_PGM_RSRC2:TRAP_HANDLER: 0
; COMPUTE_PGM_RSRC2:TGID_X_EN: 1
; COMPUTE_PGM_RSRC2:TGID_Y_EN: 0
; COMPUTE_PGM_RSRC2:TGID_Z_EN: 0
; COMPUTE_PGM_RSRC2:TIDIG_COMP_CNT: 0
; COMPUTE_PGM_RSRC3_GFX90A:ACCUM_OFFSET: 0
; COMPUTE_PGM_RSRC3_GFX90A:TG_SPLIT: 0
	.section	.text._ZN7rocprim17ROCPRIM_400000_NS6detail17trampoline_kernelINS0_14default_configENS1_25partition_config_selectorILNS1_17partition_subalgoE5EiNS0_10empty_typeEbEEZZNS1_14partition_implILS5_5ELb0ES3_mPiPS6_N6thrust23THRUST_200600_302600_NS18transform_iteratorINSC_6detail9not_fun_tIN6dUtils8isNotOneIiEEEES9_NSC_11use_defaultESK_EENS0_5tupleIJS9_S6_EEENSM_IJSA_SA_EEES6_PlJS6_EEE10hipError_tPvRmT3_T4_T5_T6_T7_T9_mT8_P12ihipStream_tbDpT10_ENKUlT_T0_E_clISt17integral_constantIbLb0EES19_EEDaS14_S15_EUlS14_E_NS1_11comp_targetILNS1_3genE9ELNS1_11target_archE1100ELNS1_3gpuE3ELNS1_3repE0EEENS1_30default_config_static_selectorELNS0_4arch9wavefront6targetE1EEEvT1_,"axG",@progbits,_ZN7rocprim17ROCPRIM_400000_NS6detail17trampoline_kernelINS0_14default_configENS1_25partition_config_selectorILNS1_17partition_subalgoE5EiNS0_10empty_typeEbEEZZNS1_14partition_implILS5_5ELb0ES3_mPiPS6_N6thrust23THRUST_200600_302600_NS18transform_iteratorINSC_6detail9not_fun_tIN6dUtils8isNotOneIiEEEES9_NSC_11use_defaultESK_EENS0_5tupleIJS9_S6_EEENSM_IJSA_SA_EEES6_PlJS6_EEE10hipError_tPvRmT3_T4_T5_T6_T7_T9_mT8_P12ihipStream_tbDpT10_ENKUlT_T0_E_clISt17integral_constantIbLb0EES19_EEDaS14_S15_EUlS14_E_NS1_11comp_targetILNS1_3genE9ELNS1_11target_archE1100ELNS1_3gpuE3ELNS1_3repE0EEENS1_30default_config_static_selectorELNS0_4arch9wavefront6targetE1EEEvT1_,comdat
	.protected	_ZN7rocprim17ROCPRIM_400000_NS6detail17trampoline_kernelINS0_14default_configENS1_25partition_config_selectorILNS1_17partition_subalgoE5EiNS0_10empty_typeEbEEZZNS1_14partition_implILS5_5ELb0ES3_mPiPS6_N6thrust23THRUST_200600_302600_NS18transform_iteratorINSC_6detail9not_fun_tIN6dUtils8isNotOneIiEEEES9_NSC_11use_defaultESK_EENS0_5tupleIJS9_S6_EEENSM_IJSA_SA_EEES6_PlJS6_EEE10hipError_tPvRmT3_T4_T5_T6_T7_T9_mT8_P12ihipStream_tbDpT10_ENKUlT_T0_E_clISt17integral_constantIbLb0EES19_EEDaS14_S15_EUlS14_E_NS1_11comp_targetILNS1_3genE9ELNS1_11target_archE1100ELNS1_3gpuE3ELNS1_3repE0EEENS1_30default_config_static_selectorELNS0_4arch9wavefront6targetE1EEEvT1_ ; -- Begin function _ZN7rocprim17ROCPRIM_400000_NS6detail17trampoline_kernelINS0_14default_configENS1_25partition_config_selectorILNS1_17partition_subalgoE5EiNS0_10empty_typeEbEEZZNS1_14partition_implILS5_5ELb0ES3_mPiPS6_N6thrust23THRUST_200600_302600_NS18transform_iteratorINSC_6detail9not_fun_tIN6dUtils8isNotOneIiEEEES9_NSC_11use_defaultESK_EENS0_5tupleIJS9_S6_EEENSM_IJSA_SA_EEES6_PlJS6_EEE10hipError_tPvRmT3_T4_T5_T6_T7_T9_mT8_P12ihipStream_tbDpT10_ENKUlT_T0_E_clISt17integral_constantIbLb0EES19_EEDaS14_S15_EUlS14_E_NS1_11comp_targetILNS1_3genE9ELNS1_11target_archE1100ELNS1_3gpuE3ELNS1_3repE0EEENS1_30default_config_static_selectorELNS0_4arch9wavefront6targetE1EEEvT1_
	.globl	_ZN7rocprim17ROCPRIM_400000_NS6detail17trampoline_kernelINS0_14default_configENS1_25partition_config_selectorILNS1_17partition_subalgoE5EiNS0_10empty_typeEbEEZZNS1_14partition_implILS5_5ELb0ES3_mPiPS6_N6thrust23THRUST_200600_302600_NS18transform_iteratorINSC_6detail9not_fun_tIN6dUtils8isNotOneIiEEEES9_NSC_11use_defaultESK_EENS0_5tupleIJS9_S6_EEENSM_IJSA_SA_EEES6_PlJS6_EEE10hipError_tPvRmT3_T4_T5_T6_T7_T9_mT8_P12ihipStream_tbDpT10_ENKUlT_T0_E_clISt17integral_constantIbLb0EES19_EEDaS14_S15_EUlS14_E_NS1_11comp_targetILNS1_3genE9ELNS1_11target_archE1100ELNS1_3gpuE3ELNS1_3repE0EEENS1_30default_config_static_selectorELNS0_4arch9wavefront6targetE1EEEvT1_
	.p2align	8
	.type	_ZN7rocprim17ROCPRIM_400000_NS6detail17trampoline_kernelINS0_14default_configENS1_25partition_config_selectorILNS1_17partition_subalgoE5EiNS0_10empty_typeEbEEZZNS1_14partition_implILS5_5ELb0ES3_mPiPS6_N6thrust23THRUST_200600_302600_NS18transform_iteratorINSC_6detail9not_fun_tIN6dUtils8isNotOneIiEEEES9_NSC_11use_defaultESK_EENS0_5tupleIJS9_S6_EEENSM_IJSA_SA_EEES6_PlJS6_EEE10hipError_tPvRmT3_T4_T5_T6_T7_T9_mT8_P12ihipStream_tbDpT10_ENKUlT_T0_E_clISt17integral_constantIbLb0EES19_EEDaS14_S15_EUlS14_E_NS1_11comp_targetILNS1_3genE9ELNS1_11target_archE1100ELNS1_3gpuE3ELNS1_3repE0EEENS1_30default_config_static_selectorELNS0_4arch9wavefront6targetE1EEEvT1_,@function
_ZN7rocprim17ROCPRIM_400000_NS6detail17trampoline_kernelINS0_14default_configENS1_25partition_config_selectorILNS1_17partition_subalgoE5EiNS0_10empty_typeEbEEZZNS1_14partition_implILS5_5ELb0ES3_mPiPS6_N6thrust23THRUST_200600_302600_NS18transform_iteratorINSC_6detail9not_fun_tIN6dUtils8isNotOneIiEEEES9_NSC_11use_defaultESK_EENS0_5tupleIJS9_S6_EEENSM_IJSA_SA_EEES6_PlJS6_EEE10hipError_tPvRmT3_T4_T5_T6_T7_T9_mT8_P12ihipStream_tbDpT10_ENKUlT_T0_E_clISt17integral_constantIbLb0EES19_EEDaS14_S15_EUlS14_E_NS1_11comp_targetILNS1_3genE9ELNS1_11target_archE1100ELNS1_3gpuE3ELNS1_3repE0EEENS1_30default_config_static_selectorELNS0_4arch9wavefront6targetE1EEEvT1_: ; @_ZN7rocprim17ROCPRIM_400000_NS6detail17trampoline_kernelINS0_14default_configENS1_25partition_config_selectorILNS1_17partition_subalgoE5EiNS0_10empty_typeEbEEZZNS1_14partition_implILS5_5ELb0ES3_mPiPS6_N6thrust23THRUST_200600_302600_NS18transform_iteratorINSC_6detail9not_fun_tIN6dUtils8isNotOneIiEEEES9_NSC_11use_defaultESK_EENS0_5tupleIJS9_S6_EEENSM_IJSA_SA_EEES6_PlJS6_EEE10hipError_tPvRmT3_T4_T5_T6_T7_T9_mT8_P12ihipStream_tbDpT10_ENKUlT_T0_E_clISt17integral_constantIbLb0EES19_EEDaS14_S15_EUlS14_E_NS1_11comp_targetILNS1_3genE9ELNS1_11target_archE1100ELNS1_3gpuE3ELNS1_3repE0EEENS1_30default_config_static_selectorELNS0_4arch9wavefront6targetE1EEEvT1_
; %bb.0:
	.section	.rodata,"a",@progbits
	.p2align	6, 0x0
	.amdhsa_kernel _ZN7rocprim17ROCPRIM_400000_NS6detail17trampoline_kernelINS0_14default_configENS1_25partition_config_selectorILNS1_17partition_subalgoE5EiNS0_10empty_typeEbEEZZNS1_14partition_implILS5_5ELb0ES3_mPiPS6_N6thrust23THRUST_200600_302600_NS18transform_iteratorINSC_6detail9not_fun_tIN6dUtils8isNotOneIiEEEES9_NSC_11use_defaultESK_EENS0_5tupleIJS9_S6_EEENSM_IJSA_SA_EEES6_PlJS6_EEE10hipError_tPvRmT3_T4_T5_T6_T7_T9_mT8_P12ihipStream_tbDpT10_ENKUlT_T0_E_clISt17integral_constantIbLb0EES19_EEDaS14_S15_EUlS14_E_NS1_11comp_targetILNS1_3genE9ELNS1_11target_archE1100ELNS1_3gpuE3ELNS1_3repE0EEENS1_30default_config_static_selectorELNS0_4arch9wavefront6targetE1EEEvT1_
		.amdhsa_group_segment_fixed_size 0
		.amdhsa_private_segment_fixed_size 0
		.amdhsa_kernarg_size 120
		.amdhsa_user_sgpr_count 6
		.amdhsa_user_sgpr_private_segment_buffer 1
		.amdhsa_user_sgpr_dispatch_ptr 0
		.amdhsa_user_sgpr_queue_ptr 0
		.amdhsa_user_sgpr_kernarg_segment_ptr 1
		.amdhsa_user_sgpr_dispatch_id 0
		.amdhsa_user_sgpr_flat_scratch_init 0
		.amdhsa_user_sgpr_kernarg_preload_length 0
		.amdhsa_user_sgpr_kernarg_preload_offset 0
		.amdhsa_user_sgpr_private_segment_size 0
		.amdhsa_uses_dynamic_stack 0
		.amdhsa_system_sgpr_private_segment_wavefront_offset 0
		.amdhsa_system_sgpr_workgroup_id_x 1
		.amdhsa_system_sgpr_workgroup_id_y 0
		.amdhsa_system_sgpr_workgroup_id_z 0
		.amdhsa_system_sgpr_workgroup_info 0
		.amdhsa_system_vgpr_workitem_id 0
		.amdhsa_next_free_vgpr 1
		.amdhsa_next_free_sgpr 0
		.amdhsa_accum_offset 4
		.amdhsa_reserve_vcc 0
		.amdhsa_reserve_flat_scratch 0
		.amdhsa_float_round_mode_32 0
		.amdhsa_float_round_mode_16_64 0
		.amdhsa_float_denorm_mode_32 3
		.amdhsa_float_denorm_mode_16_64 3
		.amdhsa_dx10_clamp 1
		.amdhsa_ieee_mode 1
		.amdhsa_fp16_overflow 0
		.amdhsa_tg_split 0
		.amdhsa_exception_fp_ieee_invalid_op 0
		.amdhsa_exception_fp_denorm_src 0
		.amdhsa_exception_fp_ieee_div_zero 0
		.amdhsa_exception_fp_ieee_overflow 0
		.amdhsa_exception_fp_ieee_underflow 0
		.amdhsa_exception_fp_ieee_inexact 0
		.amdhsa_exception_int_div_zero 0
	.end_amdhsa_kernel
	.section	.text._ZN7rocprim17ROCPRIM_400000_NS6detail17trampoline_kernelINS0_14default_configENS1_25partition_config_selectorILNS1_17partition_subalgoE5EiNS0_10empty_typeEbEEZZNS1_14partition_implILS5_5ELb0ES3_mPiPS6_N6thrust23THRUST_200600_302600_NS18transform_iteratorINSC_6detail9not_fun_tIN6dUtils8isNotOneIiEEEES9_NSC_11use_defaultESK_EENS0_5tupleIJS9_S6_EEENSM_IJSA_SA_EEES6_PlJS6_EEE10hipError_tPvRmT3_T4_T5_T6_T7_T9_mT8_P12ihipStream_tbDpT10_ENKUlT_T0_E_clISt17integral_constantIbLb0EES19_EEDaS14_S15_EUlS14_E_NS1_11comp_targetILNS1_3genE9ELNS1_11target_archE1100ELNS1_3gpuE3ELNS1_3repE0EEENS1_30default_config_static_selectorELNS0_4arch9wavefront6targetE1EEEvT1_,"axG",@progbits,_ZN7rocprim17ROCPRIM_400000_NS6detail17trampoline_kernelINS0_14default_configENS1_25partition_config_selectorILNS1_17partition_subalgoE5EiNS0_10empty_typeEbEEZZNS1_14partition_implILS5_5ELb0ES3_mPiPS6_N6thrust23THRUST_200600_302600_NS18transform_iteratorINSC_6detail9not_fun_tIN6dUtils8isNotOneIiEEEES9_NSC_11use_defaultESK_EENS0_5tupleIJS9_S6_EEENSM_IJSA_SA_EEES6_PlJS6_EEE10hipError_tPvRmT3_T4_T5_T6_T7_T9_mT8_P12ihipStream_tbDpT10_ENKUlT_T0_E_clISt17integral_constantIbLb0EES19_EEDaS14_S15_EUlS14_E_NS1_11comp_targetILNS1_3genE9ELNS1_11target_archE1100ELNS1_3gpuE3ELNS1_3repE0EEENS1_30default_config_static_selectorELNS0_4arch9wavefront6targetE1EEEvT1_,comdat
.Lfunc_end110:
	.size	_ZN7rocprim17ROCPRIM_400000_NS6detail17trampoline_kernelINS0_14default_configENS1_25partition_config_selectorILNS1_17partition_subalgoE5EiNS0_10empty_typeEbEEZZNS1_14partition_implILS5_5ELb0ES3_mPiPS6_N6thrust23THRUST_200600_302600_NS18transform_iteratorINSC_6detail9not_fun_tIN6dUtils8isNotOneIiEEEES9_NSC_11use_defaultESK_EENS0_5tupleIJS9_S6_EEENSM_IJSA_SA_EEES6_PlJS6_EEE10hipError_tPvRmT3_T4_T5_T6_T7_T9_mT8_P12ihipStream_tbDpT10_ENKUlT_T0_E_clISt17integral_constantIbLb0EES19_EEDaS14_S15_EUlS14_E_NS1_11comp_targetILNS1_3genE9ELNS1_11target_archE1100ELNS1_3gpuE3ELNS1_3repE0EEENS1_30default_config_static_selectorELNS0_4arch9wavefront6targetE1EEEvT1_, .Lfunc_end110-_ZN7rocprim17ROCPRIM_400000_NS6detail17trampoline_kernelINS0_14default_configENS1_25partition_config_selectorILNS1_17partition_subalgoE5EiNS0_10empty_typeEbEEZZNS1_14partition_implILS5_5ELb0ES3_mPiPS6_N6thrust23THRUST_200600_302600_NS18transform_iteratorINSC_6detail9not_fun_tIN6dUtils8isNotOneIiEEEES9_NSC_11use_defaultESK_EENS0_5tupleIJS9_S6_EEENSM_IJSA_SA_EEES6_PlJS6_EEE10hipError_tPvRmT3_T4_T5_T6_T7_T9_mT8_P12ihipStream_tbDpT10_ENKUlT_T0_E_clISt17integral_constantIbLb0EES19_EEDaS14_S15_EUlS14_E_NS1_11comp_targetILNS1_3genE9ELNS1_11target_archE1100ELNS1_3gpuE3ELNS1_3repE0EEENS1_30default_config_static_selectorELNS0_4arch9wavefront6targetE1EEEvT1_
                                        ; -- End function
	.section	.AMDGPU.csdata,"",@progbits
; Kernel info:
; codeLenInByte = 0
; NumSgprs: 4
; NumVgprs: 0
; NumAgprs: 0
; TotalNumVgprs: 0
; ScratchSize: 0
; MemoryBound: 0
; FloatMode: 240
; IeeeMode: 1
; LDSByteSize: 0 bytes/workgroup (compile time only)
; SGPRBlocks: 0
; VGPRBlocks: 0
; NumSGPRsForWavesPerEU: 4
; NumVGPRsForWavesPerEU: 1
; AccumOffset: 4
; Occupancy: 8
; WaveLimiterHint : 0
; COMPUTE_PGM_RSRC2:SCRATCH_EN: 0
; COMPUTE_PGM_RSRC2:USER_SGPR: 6
; COMPUTE_PGM_RSRC2:TRAP_HANDLER: 0
; COMPUTE_PGM_RSRC2:TGID_X_EN: 1
; COMPUTE_PGM_RSRC2:TGID_Y_EN: 0
; COMPUTE_PGM_RSRC2:TGID_Z_EN: 0
; COMPUTE_PGM_RSRC2:TIDIG_COMP_CNT: 0
; COMPUTE_PGM_RSRC3_GFX90A:ACCUM_OFFSET: 0
; COMPUTE_PGM_RSRC3_GFX90A:TG_SPLIT: 0
	.section	.text._ZN7rocprim17ROCPRIM_400000_NS6detail17trampoline_kernelINS0_14default_configENS1_25partition_config_selectorILNS1_17partition_subalgoE5EiNS0_10empty_typeEbEEZZNS1_14partition_implILS5_5ELb0ES3_mPiPS6_N6thrust23THRUST_200600_302600_NS18transform_iteratorINSC_6detail9not_fun_tIN6dUtils8isNotOneIiEEEES9_NSC_11use_defaultESK_EENS0_5tupleIJS9_S6_EEENSM_IJSA_SA_EEES6_PlJS6_EEE10hipError_tPvRmT3_T4_T5_T6_T7_T9_mT8_P12ihipStream_tbDpT10_ENKUlT_T0_E_clISt17integral_constantIbLb0EES19_EEDaS14_S15_EUlS14_E_NS1_11comp_targetILNS1_3genE8ELNS1_11target_archE1030ELNS1_3gpuE2ELNS1_3repE0EEENS1_30default_config_static_selectorELNS0_4arch9wavefront6targetE1EEEvT1_,"axG",@progbits,_ZN7rocprim17ROCPRIM_400000_NS6detail17trampoline_kernelINS0_14default_configENS1_25partition_config_selectorILNS1_17partition_subalgoE5EiNS0_10empty_typeEbEEZZNS1_14partition_implILS5_5ELb0ES3_mPiPS6_N6thrust23THRUST_200600_302600_NS18transform_iteratorINSC_6detail9not_fun_tIN6dUtils8isNotOneIiEEEES9_NSC_11use_defaultESK_EENS0_5tupleIJS9_S6_EEENSM_IJSA_SA_EEES6_PlJS6_EEE10hipError_tPvRmT3_T4_T5_T6_T7_T9_mT8_P12ihipStream_tbDpT10_ENKUlT_T0_E_clISt17integral_constantIbLb0EES19_EEDaS14_S15_EUlS14_E_NS1_11comp_targetILNS1_3genE8ELNS1_11target_archE1030ELNS1_3gpuE2ELNS1_3repE0EEENS1_30default_config_static_selectorELNS0_4arch9wavefront6targetE1EEEvT1_,comdat
	.protected	_ZN7rocprim17ROCPRIM_400000_NS6detail17trampoline_kernelINS0_14default_configENS1_25partition_config_selectorILNS1_17partition_subalgoE5EiNS0_10empty_typeEbEEZZNS1_14partition_implILS5_5ELb0ES3_mPiPS6_N6thrust23THRUST_200600_302600_NS18transform_iteratorINSC_6detail9not_fun_tIN6dUtils8isNotOneIiEEEES9_NSC_11use_defaultESK_EENS0_5tupleIJS9_S6_EEENSM_IJSA_SA_EEES6_PlJS6_EEE10hipError_tPvRmT3_T4_T5_T6_T7_T9_mT8_P12ihipStream_tbDpT10_ENKUlT_T0_E_clISt17integral_constantIbLb0EES19_EEDaS14_S15_EUlS14_E_NS1_11comp_targetILNS1_3genE8ELNS1_11target_archE1030ELNS1_3gpuE2ELNS1_3repE0EEENS1_30default_config_static_selectorELNS0_4arch9wavefront6targetE1EEEvT1_ ; -- Begin function _ZN7rocprim17ROCPRIM_400000_NS6detail17trampoline_kernelINS0_14default_configENS1_25partition_config_selectorILNS1_17partition_subalgoE5EiNS0_10empty_typeEbEEZZNS1_14partition_implILS5_5ELb0ES3_mPiPS6_N6thrust23THRUST_200600_302600_NS18transform_iteratorINSC_6detail9not_fun_tIN6dUtils8isNotOneIiEEEES9_NSC_11use_defaultESK_EENS0_5tupleIJS9_S6_EEENSM_IJSA_SA_EEES6_PlJS6_EEE10hipError_tPvRmT3_T4_T5_T6_T7_T9_mT8_P12ihipStream_tbDpT10_ENKUlT_T0_E_clISt17integral_constantIbLb0EES19_EEDaS14_S15_EUlS14_E_NS1_11comp_targetILNS1_3genE8ELNS1_11target_archE1030ELNS1_3gpuE2ELNS1_3repE0EEENS1_30default_config_static_selectorELNS0_4arch9wavefront6targetE1EEEvT1_
	.globl	_ZN7rocprim17ROCPRIM_400000_NS6detail17trampoline_kernelINS0_14default_configENS1_25partition_config_selectorILNS1_17partition_subalgoE5EiNS0_10empty_typeEbEEZZNS1_14partition_implILS5_5ELb0ES3_mPiPS6_N6thrust23THRUST_200600_302600_NS18transform_iteratorINSC_6detail9not_fun_tIN6dUtils8isNotOneIiEEEES9_NSC_11use_defaultESK_EENS0_5tupleIJS9_S6_EEENSM_IJSA_SA_EEES6_PlJS6_EEE10hipError_tPvRmT3_T4_T5_T6_T7_T9_mT8_P12ihipStream_tbDpT10_ENKUlT_T0_E_clISt17integral_constantIbLb0EES19_EEDaS14_S15_EUlS14_E_NS1_11comp_targetILNS1_3genE8ELNS1_11target_archE1030ELNS1_3gpuE2ELNS1_3repE0EEENS1_30default_config_static_selectorELNS0_4arch9wavefront6targetE1EEEvT1_
	.p2align	8
	.type	_ZN7rocprim17ROCPRIM_400000_NS6detail17trampoline_kernelINS0_14default_configENS1_25partition_config_selectorILNS1_17partition_subalgoE5EiNS0_10empty_typeEbEEZZNS1_14partition_implILS5_5ELb0ES3_mPiPS6_N6thrust23THRUST_200600_302600_NS18transform_iteratorINSC_6detail9not_fun_tIN6dUtils8isNotOneIiEEEES9_NSC_11use_defaultESK_EENS0_5tupleIJS9_S6_EEENSM_IJSA_SA_EEES6_PlJS6_EEE10hipError_tPvRmT3_T4_T5_T6_T7_T9_mT8_P12ihipStream_tbDpT10_ENKUlT_T0_E_clISt17integral_constantIbLb0EES19_EEDaS14_S15_EUlS14_E_NS1_11comp_targetILNS1_3genE8ELNS1_11target_archE1030ELNS1_3gpuE2ELNS1_3repE0EEENS1_30default_config_static_selectorELNS0_4arch9wavefront6targetE1EEEvT1_,@function
_ZN7rocprim17ROCPRIM_400000_NS6detail17trampoline_kernelINS0_14default_configENS1_25partition_config_selectorILNS1_17partition_subalgoE5EiNS0_10empty_typeEbEEZZNS1_14partition_implILS5_5ELb0ES3_mPiPS6_N6thrust23THRUST_200600_302600_NS18transform_iteratorINSC_6detail9not_fun_tIN6dUtils8isNotOneIiEEEES9_NSC_11use_defaultESK_EENS0_5tupleIJS9_S6_EEENSM_IJSA_SA_EEES6_PlJS6_EEE10hipError_tPvRmT3_T4_T5_T6_T7_T9_mT8_P12ihipStream_tbDpT10_ENKUlT_T0_E_clISt17integral_constantIbLb0EES19_EEDaS14_S15_EUlS14_E_NS1_11comp_targetILNS1_3genE8ELNS1_11target_archE1030ELNS1_3gpuE2ELNS1_3repE0EEENS1_30default_config_static_selectorELNS0_4arch9wavefront6targetE1EEEvT1_: ; @_ZN7rocprim17ROCPRIM_400000_NS6detail17trampoline_kernelINS0_14default_configENS1_25partition_config_selectorILNS1_17partition_subalgoE5EiNS0_10empty_typeEbEEZZNS1_14partition_implILS5_5ELb0ES3_mPiPS6_N6thrust23THRUST_200600_302600_NS18transform_iteratorINSC_6detail9not_fun_tIN6dUtils8isNotOneIiEEEES9_NSC_11use_defaultESK_EENS0_5tupleIJS9_S6_EEENSM_IJSA_SA_EEES6_PlJS6_EEE10hipError_tPvRmT3_T4_T5_T6_T7_T9_mT8_P12ihipStream_tbDpT10_ENKUlT_T0_E_clISt17integral_constantIbLb0EES19_EEDaS14_S15_EUlS14_E_NS1_11comp_targetILNS1_3genE8ELNS1_11target_archE1030ELNS1_3gpuE2ELNS1_3repE0EEENS1_30default_config_static_selectorELNS0_4arch9wavefront6targetE1EEEvT1_
; %bb.0:
	.section	.rodata,"a",@progbits
	.p2align	6, 0x0
	.amdhsa_kernel _ZN7rocprim17ROCPRIM_400000_NS6detail17trampoline_kernelINS0_14default_configENS1_25partition_config_selectorILNS1_17partition_subalgoE5EiNS0_10empty_typeEbEEZZNS1_14partition_implILS5_5ELb0ES3_mPiPS6_N6thrust23THRUST_200600_302600_NS18transform_iteratorINSC_6detail9not_fun_tIN6dUtils8isNotOneIiEEEES9_NSC_11use_defaultESK_EENS0_5tupleIJS9_S6_EEENSM_IJSA_SA_EEES6_PlJS6_EEE10hipError_tPvRmT3_T4_T5_T6_T7_T9_mT8_P12ihipStream_tbDpT10_ENKUlT_T0_E_clISt17integral_constantIbLb0EES19_EEDaS14_S15_EUlS14_E_NS1_11comp_targetILNS1_3genE8ELNS1_11target_archE1030ELNS1_3gpuE2ELNS1_3repE0EEENS1_30default_config_static_selectorELNS0_4arch9wavefront6targetE1EEEvT1_
		.amdhsa_group_segment_fixed_size 0
		.amdhsa_private_segment_fixed_size 0
		.amdhsa_kernarg_size 120
		.amdhsa_user_sgpr_count 6
		.amdhsa_user_sgpr_private_segment_buffer 1
		.amdhsa_user_sgpr_dispatch_ptr 0
		.amdhsa_user_sgpr_queue_ptr 0
		.amdhsa_user_sgpr_kernarg_segment_ptr 1
		.amdhsa_user_sgpr_dispatch_id 0
		.amdhsa_user_sgpr_flat_scratch_init 0
		.amdhsa_user_sgpr_kernarg_preload_length 0
		.amdhsa_user_sgpr_kernarg_preload_offset 0
		.amdhsa_user_sgpr_private_segment_size 0
		.amdhsa_uses_dynamic_stack 0
		.amdhsa_system_sgpr_private_segment_wavefront_offset 0
		.amdhsa_system_sgpr_workgroup_id_x 1
		.amdhsa_system_sgpr_workgroup_id_y 0
		.amdhsa_system_sgpr_workgroup_id_z 0
		.amdhsa_system_sgpr_workgroup_info 0
		.amdhsa_system_vgpr_workitem_id 0
		.amdhsa_next_free_vgpr 1
		.amdhsa_next_free_sgpr 0
		.amdhsa_accum_offset 4
		.amdhsa_reserve_vcc 0
		.amdhsa_reserve_flat_scratch 0
		.amdhsa_float_round_mode_32 0
		.amdhsa_float_round_mode_16_64 0
		.amdhsa_float_denorm_mode_32 3
		.amdhsa_float_denorm_mode_16_64 3
		.amdhsa_dx10_clamp 1
		.amdhsa_ieee_mode 1
		.amdhsa_fp16_overflow 0
		.amdhsa_tg_split 0
		.amdhsa_exception_fp_ieee_invalid_op 0
		.amdhsa_exception_fp_denorm_src 0
		.amdhsa_exception_fp_ieee_div_zero 0
		.amdhsa_exception_fp_ieee_overflow 0
		.amdhsa_exception_fp_ieee_underflow 0
		.amdhsa_exception_fp_ieee_inexact 0
		.amdhsa_exception_int_div_zero 0
	.end_amdhsa_kernel
	.section	.text._ZN7rocprim17ROCPRIM_400000_NS6detail17trampoline_kernelINS0_14default_configENS1_25partition_config_selectorILNS1_17partition_subalgoE5EiNS0_10empty_typeEbEEZZNS1_14partition_implILS5_5ELb0ES3_mPiPS6_N6thrust23THRUST_200600_302600_NS18transform_iteratorINSC_6detail9not_fun_tIN6dUtils8isNotOneIiEEEES9_NSC_11use_defaultESK_EENS0_5tupleIJS9_S6_EEENSM_IJSA_SA_EEES6_PlJS6_EEE10hipError_tPvRmT3_T4_T5_T6_T7_T9_mT8_P12ihipStream_tbDpT10_ENKUlT_T0_E_clISt17integral_constantIbLb0EES19_EEDaS14_S15_EUlS14_E_NS1_11comp_targetILNS1_3genE8ELNS1_11target_archE1030ELNS1_3gpuE2ELNS1_3repE0EEENS1_30default_config_static_selectorELNS0_4arch9wavefront6targetE1EEEvT1_,"axG",@progbits,_ZN7rocprim17ROCPRIM_400000_NS6detail17trampoline_kernelINS0_14default_configENS1_25partition_config_selectorILNS1_17partition_subalgoE5EiNS0_10empty_typeEbEEZZNS1_14partition_implILS5_5ELb0ES3_mPiPS6_N6thrust23THRUST_200600_302600_NS18transform_iteratorINSC_6detail9not_fun_tIN6dUtils8isNotOneIiEEEES9_NSC_11use_defaultESK_EENS0_5tupleIJS9_S6_EEENSM_IJSA_SA_EEES6_PlJS6_EEE10hipError_tPvRmT3_T4_T5_T6_T7_T9_mT8_P12ihipStream_tbDpT10_ENKUlT_T0_E_clISt17integral_constantIbLb0EES19_EEDaS14_S15_EUlS14_E_NS1_11comp_targetILNS1_3genE8ELNS1_11target_archE1030ELNS1_3gpuE2ELNS1_3repE0EEENS1_30default_config_static_selectorELNS0_4arch9wavefront6targetE1EEEvT1_,comdat
.Lfunc_end111:
	.size	_ZN7rocprim17ROCPRIM_400000_NS6detail17trampoline_kernelINS0_14default_configENS1_25partition_config_selectorILNS1_17partition_subalgoE5EiNS0_10empty_typeEbEEZZNS1_14partition_implILS5_5ELb0ES3_mPiPS6_N6thrust23THRUST_200600_302600_NS18transform_iteratorINSC_6detail9not_fun_tIN6dUtils8isNotOneIiEEEES9_NSC_11use_defaultESK_EENS0_5tupleIJS9_S6_EEENSM_IJSA_SA_EEES6_PlJS6_EEE10hipError_tPvRmT3_T4_T5_T6_T7_T9_mT8_P12ihipStream_tbDpT10_ENKUlT_T0_E_clISt17integral_constantIbLb0EES19_EEDaS14_S15_EUlS14_E_NS1_11comp_targetILNS1_3genE8ELNS1_11target_archE1030ELNS1_3gpuE2ELNS1_3repE0EEENS1_30default_config_static_selectorELNS0_4arch9wavefront6targetE1EEEvT1_, .Lfunc_end111-_ZN7rocprim17ROCPRIM_400000_NS6detail17trampoline_kernelINS0_14default_configENS1_25partition_config_selectorILNS1_17partition_subalgoE5EiNS0_10empty_typeEbEEZZNS1_14partition_implILS5_5ELb0ES3_mPiPS6_N6thrust23THRUST_200600_302600_NS18transform_iteratorINSC_6detail9not_fun_tIN6dUtils8isNotOneIiEEEES9_NSC_11use_defaultESK_EENS0_5tupleIJS9_S6_EEENSM_IJSA_SA_EEES6_PlJS6_EEE10hipError_tPvRmT3_T4_T5_T6_T7_T9_mT8_P12ihipStream_tbDpT10_ENKUlT_T0_E_clISt17integral_constantIbLb0EES19_EEDaS14_S15_EUlS14_E_NS1_11comp_targetILNS1_3genE8ELNS1_11target_archE1030ELNS1_3gpuE2ELNS1_3repE0EEENS1_30default_config_static_selectorELNS0_4arch9wavefront6targetE1EEEvT1_
                                        ; -- End function
	.section	.AMDGPU.csdata,"",@progbits
; Kernel info:
; codeLenInByte = 0
; NumSgprs: 4
; NumVgprs: 0
; NumAgprs: 0
; TotalNumVgprs: 0
; ScratchSize: 0
; MemoryBound: 0
; FloatMode: 240
; IeeeMode: 1
; LDSByteSize: 0 bytes/workgroup (compile time only)
; SGPRBlocks: 0
; VGPRBlocks: 0
; NumSGPRsForWavesPerEU: 4
; NumVGPRsForWavesPerEU: 1
; AccumOffset: 4
; Occupancy: 8
; WaveLimiterHint : 0
; COMPUTE_PGM_RSRC2:SCRATCH_EN: 0
; COMPUTE_PGM_RSRC2:USER_SGPR: 6
; COMPUTE_PGM_RSRC2:TRAP_HANDLER: 0
; COMPUTE_PGM_RSRC2:TGID_X_EN: 1
; COMPUTE_PGM_RSRC2:TGID_Y_EN: 0
; COMPUTE_PGM_RSRC2:TGID_Z_EN: 0
; COMPUTE_PGM_RSRC2:TIDIG_COMP_CNT: 0
; COMPUTE_PGM_RSRC3_GFX90A:ACCUM_OFFSET: 0
; COMPUTE_PGM_RSRC3_GFX90A:TG_SPLIT: 0
	.section	.text._ZN7rocprim17ROCPRIM_400000_NS6detail17trampoline_kernelINS0_14default_configENS1_25transform_config_selectorImLb1EEEZNS1_14transform_implILb1ES3_S5_PmPlNS0_8identityIvEEEE10hipError_tT2_T3_mT4_P12ihipStream_tbEUlT_E_NS1_11comp_targetILNS1_3genE0ELNS1_11target_archE4294967295ELNS1_3gpuE0ELNS1_3repE0EEENS1_30default_config_static_selectorELNS0_4arch9wavefront6targetE1EEEvT1_,"axG",@progbits,_ZN7rocprim17ROCPRIM_400000_NS6detail17trampoline_kernelINS0_14default_configENS1_25transform_config_selectorImLb1EEEZNS1_14transform_implILb1ES3_S5_PmPlNS0_8identityIvEEEE10hipError_tT2_T3_mT4_P12ihipStream_tbEUlT_E_NS1_11comp_targetILNS1_3genE0ELNS1_11target_archE4294967295ELNS1_3gpuE0ELNS1_3repE0EEENS1_30default_config_static_selectorELNS0_4arch9wavefront6targetE1EEEvT1_,comdat
	.protected	_ZN7rocprim17ROCPRIM_400000_NS6detail17trampoline_kernelINS0_14default_configENS1_25transform_config_selectorImLb1EEEZNS1_14transform_implILb1ES3_S5_PmPlNS0_8identityIvEEEE10hipError_tT2_T3_mT4_P12ihipStream_tbEUlT_E_NS1_11comp_targetILNS1_3genE0ELNS1_11target_archE4294967295ELNS1_3gpuE0ELNS1_3repE0EEENS1_30default_config_static_selectorELNS0_4arch9wavefront6targetE1EEEvT1_ ; -- Begin function _ZN7rocprim17ROCPRIM_400000_NS6detail17trampoline_kernelINS0_14default_configENS1_25transform_config_selectorImLb1EEEZNS1_14transform_implILb1ES3_S5_PmPlNS0_8identityIvEEEE10hipError_tT2_T3_mT4_P12ihipStream_tbEUlT_E_NS1_11comp_targetILNS1_3genE0ELNS1_11target_archE4294967295ELNS1_3gpuE0ELNS1_3repE0EEENS1_30default_config_static_selectorELNS0_4arch9wavefront6targetE1EEEvT1_
	.globl	_ZN7rocprim17ROCPRIM_400000_NS6detail17trampoline_kernelINS0_14default_configENS1_25transform_config_selectorImLb1EEEZNS1_14transform_implILb1ES3_S5_PmPlNS0_8identityIvEEEE10hipError_tT2_T3_mT4_P12ihipStream_tbEUlT_E_NS1_11comp_targetILNS1_3genE0ELNS1_11target_archE4294967295ELNS1_3gpuE0ELNS1_3repE0EEENS1_30default_config_static_selectorELNS0_4arch9wavefront6targetE1EEEvT1_
	.p2align	8
	.type	_ZN7rocprim17ROCPRIM_400000_NS6detail17trampoline_kernelINS0_14default_configENS1_25transform_config_selectorImLb1EEEZNS1_14transform_implILb1ES3_S5_PmPlNS0_8identityIvEEEE10hipError_tT2_T3_mT4_P12ihipStream_tbEUlT_E_NS1_11comp_targetILNS1_3genE0ELNS1_11target_archE4294967295ELNS1_3gpuE0ELNS1_3repE0EEENS1_30default_config_static_selectorELNS0_4arch9wavefront6targetE1EEEvT1_,@function
_ZN7rocprim17ROCPRIM_400000_NS6detail17trampoline_kernelINS0_14default_configENS1_25transform_config_selectorImLb1EEEZNS1_14transform_implILb1ES3_S5_PmPlNS0_8identityIvEEEE10hipError_tT2_T3_mT4_P12ihipStream_tbEUlT_E_NS1_11comp_targetILNS1_3genE0ELNS1_11target_archE4294967295ELNS1_3gpuE0ELNS1_3repE0EEENS1_30default_config_static_selectorELNS0_4arch9wavefront6targetE1EEEvT1_: ; @_ZN7rocprim17ROCPRIM_400000_NS6detail17trampoline_kernelINS0_14default_configENS1_25transform_config_selectorImLb1EEEZNS1_14transform_implILb1ES3_S5_PmPlNS0_8identityIvEEEE10hipError_tT2_T3_mT4_P12ihipStream_tbEUlT_E_NS1_11comp_targetILNS1_3genE0ELNS1_11target_archE4294967295ELNS1_3gpuE0ELNS1_3repE0EEENS1_30default_config_static_selectorELNS0_4arch9wavefront6targetE1EEEvT1_
; %bb.0:
	.section	.rodata,"a",@progbits
	.p2align	6, 0x0
	.amdhsa_kernel _ZN7rocprim17ROCPRIM_400000_NS6detail17trampoline_kernelINS0_14default_configENS1_25transform_config_selectorImLb1EEEZNS1_14transform_implILb1ES3_S5_PmPlNS0_8identityIvEEEE10hipError_tT2_T3_mT4_P12ihipStream_tbEUlT_E_NS1_11comp_targetILNS1_3genE0ELNS1_11target_archE4294967295ELNS1_3gpuE0ELNS1_3repE0EEENS1_30default_config_static_selectorELNS0_4arch9wavefront6targetE1EEEvT1_
		.amdhsa_group_segment_fixed_size 0
		.amdhsa_private_segment_fixed_size 0
		.amdhsa_kernarg_size 40
		.amdhsa_user_sgpr_count 6
		.amdhsa_user_sgpr_private_segment_buffer 1
		.amdhsa_user_sgpr_dispatch_ptr 0
		.amdhsa_user_sgpr_queue_ptr 0
		.amdhsa_user_sgpr_kernarg_segment_ptr 1
		.amdhsa_user_sgpr_dispatch_id 0
		.amdhsa_user_sgpr_flat_scratch_init 0
		.amdhsa_user_sgpr_kernarg_preload_length 0
		.amdhsa_user_sgpr_kernarg_preload_offset 0
		.amdhsa_user_sgpr_private_segment_size 0
		.amdhsa_uses_dynamic_stack 0
		.amdhsa_system_sgpr_private_segment_wavefront_offset 0
		.amdhsa_system_sgpr_workgroup_id_x 1
		.amdhsa_system_sgpr_workgroup_id_y 0
		.amdhsa_system_sgpr_workgroup_id_z 0
		.amdhsa_system_sgpr_workgroup_info 0
		.amdhsa_system_vgpr_workitem_id 0
		.amdhsa_next_free_vgpr 1
		.amdhsa_next_free_sgpr 0
		.amdhsa_accum_offset 4
		.amdhsa_reserve_vcc 0
		.amdhsa_reserve_flat_scratch 0
		.amdhsa_float_round_mode_32 0
		.amdhsa_float_round_mode_16_64 0
		.amdhsa_float_denorm_mode_32 3
		.amdhsa_float_denorm_mode_16_64 3
		.amdhsa_dx10_clamp 1
		.amdhsa_ieee_mode 1
		.amdhsa_fp16_overflow 0
		.amdhsa_tg_split 0
		.amdhsa_exception_fp_ieee_invalid_op 0
		.amdhsa_exception_fp_denorm_src 0
		.amdhsa_exception_fp_ieee_div_zero 0
		.amdhsa_exception_fp_ieee_overflow 0
		.amdhsa_exception_fp_ieee_underflow 0
		.amdhsa_exception_fp_ieee_inexact 0
		.amdhsa_exception_int_div_zero 0
	.end_amdhsa_kernel
	.section	.text._ZN7rocprim17ROCPRIM_400000_NS6detail17trampoline_kernelINS0_14default_configENS1_25transform_config_selectorImLb1EEEZNS1_14transform_implILb1ES3_S5_PmPlNS0_8identityIvEEEE10hipError_tT2_T3_mT4_P12ihipStream_tbEUlT_E_NS1_11comp_targetILNS1_3genE0ELNS1_11target_archE4294967295ELNS1_3gpuE0ELNS1_3repE0EEENS1_30default_config_static_selectorELNS0_4arch9wavefront6targetE1EEEvT1_,"axG",@progbits,_ZN7rocprim17ROCPRIM_400000_NS6detail17trampoline_kernelINS0_14default_configENS1_25transform_config_selectorImLb1EEEZNS1_14transform_implILb1ES3_S5_PmPlNS0_8identityIvEEEE10hipError_tT2_T3_mT4_P12ihipStream_tbEUlT_E_NS1_11comp_targetILNS1_3genE0ELNS1_11target_archE4294967295ELNS1_3gpuE0ELNS1_3repE0EEENS1_30default_config_static_selectorELNS0_4arch9wavefront6targetE1EEEvT1_,comdat
.Lfunc_end112:
	.size	_ZN7rocprim17ROCPRIM_400000_NS6detail17trampoline_kernelINS0_14default_configENS1_25transform_config_selectorImLb1EEEZNS1_14transform_implILb1ES3_S5_PmPlNS0_8identityIvEEEE10hipError_tT2_T3_mT4_P12ihipStream_tbEUlT_E_NS1_11comp_targetILNS1_3genE0ELNS1_11target_archE4294967295ELNS1_3gpuE0ELNS1_3repE0EEENS1_30default_config_static_selectorELNS0_4arch9wavefront6targetE1EEEvT1_, .Lfunc_end112-_ZN7rocprim17ROCPRIM_400000_NS6detail17trampoline_kernelINS0_14default_configENS1_25transform_config_selectorImLb1EEEZNS1_14transform_implILb1ES3_S5_PmPlNS0_8identityIvEEEE10hipError_tT2_T3_mT4_P12ihipStream_tbEUlT_E_NS1_11comp_targetILNS1_3genE0ELNS1_11target_archE4294967295ELNS1_3gpuE0ELNS1_3repE0EEENS1_30default_config_static_selectorELNS0_4arch9wavefront6targetE1EEEvT1_
                                        ; -- End function
	.section	.AMDGPU.csdata,"",@progbits
; Kernel info:
; codeLenInByte = 0
; NumSgprs: 4
; NumVgprs: 0
; NumAgprs: 0
; TotalNumVgprs: 0
; ScratchSize: 0
; MemoryBound: 0
; FloatMode: 240
; IeeeMode: 1
; LDSByteSize: 0 bytes/workgroup (compile time only)
; SGPRBlocks: 0
; VGPRBlocks: 0
; NumSGPRsForWavesPerEU: 4
; NumVGPRsForWavesPerEU: 1
; AccumOffset: 4
; Occupancy: 8
; WaveLimiterHint : 0
; COMPUTE_PGM_RSRC2:SCRATCH_EN: 0
; COMPUTE_PGM_RSRC2:USER_SGPR: 6
; COMPUTE_PGM_RSRC2:TRAP_HANDLER: 0
; COMPUTE_PGM_RSRC2:TGID_X_EN: 1
; COMPUTE_PGM_RSRC2:TGID_Y_EN: 0
; COMPUTE_PGM_RSRC2:TGID_Z_EN: 0
; COMPUTE_PGM_RSRC2:TIDIG_COMP_CNT: 0
; COMPUTE_PGM_RSRC3_GFX90A:ACCUM_OFFSET: 0
; COMPUTE_PGM_RSRC3_GFX90A:TG_SPLIT: 0
	.section	.text._ZN7rocprim17ROCPRIM_400000_NS6detail17trampoline_kernelINS0_14default_configENS1_25transform_config_selectorImLb1EEEZNS1_14transform_implILb1ES3_S5_PmPlNS0_8identityIvEEEE10hipError_tT2_T3_mT4_P12ihipStream_tbEUlT_E_NS1_11comp_targetILNS1_3genE10ELNS1_11target_archE1201ELNS1_3gpuE5ELNS1_3repE0EEENS1_30default_config_static_selectorELNS0_4arch9wavefront6targetE1EEEvT1_,"axG",@progbits,_ZN7rocprim17ROCPRIM_400000_NS6detail17trampoline_kernelINS0_14default_configENS1_25transform_config_selectorImLb1EEEZNS1_14transform_implILb1ES3_S5_PmPlNS0_8identityIvEEEE10hipError_tT2_T3_mT4_P12ihipStream_tbEUlT_E_NS1_11comp_targetILNS1_3genE10ELNS1_11target_archE1201ELNS1_3gpuE5ELNS1_3repE0EEENS1_30default_config_static_selectorELNS0_4arch9wavefront6targetE1EEEvT1_,comdat
	.protected	_ZN7rocprim17ROCPRIM_400000_NS6detail17trampoline_kernelINS0_14default_configENS1_25transform_config_selectorImLb1EEEZNS1_14transform_implILb1ES3_S5_PmPlNS0_8identityIvEEEE10hipError_tT2_T3_mT4_P12ihipStream_tbEUlT_E_NS1_11comp_targetILNS1_3genE10ELNS1_11target_archE1201ELNS1_3gpuE5ELNS1_3repE0EEENS1_30default_config_static_selectorELNS0_4arch9wavefront6targetE1EEEvT1_ ; -- Begin function _ZN7rocprim17ROCPRIM_400000_NS6detail17trampoline_kernelINS0_14default_configENS1_25transform_config_selectorImLb1EEEZNS1_14transform_implILb1ES3_S5_PmPlNS0_8identityIvEEEE10hipError_tT2_T3_mT4_P12ihipStream_tbEUlT_E_NS1_11comp_targetILNS1_3genE10ELNS1_11target_archE1201ELNS1_3gpuE5ELNS1_3repE0EEENS1_30default_config_static_selectorELNS0_4arch9wavefront6targetE1EEEvT1_
	.globl	_ZN7rocprim17ROCPRIM_400000_NS6detail17trampoline_kernelINS0_14default_configENS1_25transform_config_selectorImLb1EEEZNS1_14transform_implILb1ES3_S5_PmPlNS0_8identityIvEEEE10hipError_tT2_T3_mT4_P12ihipStream_tbEUlT_E_NS1_11comp_targetILNS1_3genE10ELNS1_11target_archE1201ELNS1_3gpuE5ELNS1_3repE0EEENS1_30default_config_static_selectorELNS0_4arch9wavefront6targetE1EEEvT1_
	.p2align	8
	.type	_ZN7rocprim17ROCPRIM_400000_NS6detail17trampoline_kernelINS0_14default_configENS1_25transform_config_selectorImLb1EEEZNS1_14transform_implILb1ES3_S5_PmPlNS0_8identityIvEEEE10hipError_tT2_T3_mT4_P12ihipStream_tbEUlT_E_NS1_11comp_targetILNS1_3genE10ELNS1_11target_archE1201ELNS1_3gpuE5ELNS1_3repE0EEENS1_30default_config_static_selectorELNS0_4arch9wavefront6targetE1EEEvT1_,@function
_ZN7rocprim17ROCPRIM_400000_NS6detail17trampoline_kernelINS0_14default_configENS1_25transform_config_selectorImLb1EEEZNS1_14transform_implILb1ES3_S5_PmPlNS0_8identityIvEEEE10hipError_tT2_T3_mT4_P12ihipStream_tbEUlT_E_NS1_11comp_targetILNS1_3genE10ELNS1_11target_archE1201ELNS1_3gpuE5ELNS1_3repE0EEENS1_30default_config_static_selectorELNS0_4arch9wavefront6targetE1EEEvT1_: ; @_ZN7rocprim17ROCPRIM_400000_NS6detail17trampoline_kernelINS0_14default_configENS1_25transform_config_selectorImLb1EEEZNS1_14transform_implILb1ES3_S5_PmPlNS0_8identityIvEEEE10hipError_tT2_T3_mT4_P12ihipStream_tbEUlT_E_NS1_11comp_targetILNS1_3genE10ELNS1_11target_archE1201ELNS1_3gpuE5ELNS1_3repE0EEENS1_30default_config_static_selectorELNS0_4arch9wavefront6targetE1EEEvT1_
; %bb.0:
	.section	.rodata,"a",@progbits
	.p2align	6, 0x0
	.amdhsa_kernel _ZN7rocprim17ROCPRIM_400000_NS6detail17trampoline_kernelINS0_14default_configENS1_25transform_config_selectorImLb1EEEZNS1_14transform_implILb1ES3_S5_PmPlNS0_8identityIvEEEE10hipError_tT2_T3_mT4_P12ihipStream_tbEUlT_E_NS1_11comp_targetILNS1_3genE10ELNS1_11target_archE1201ELNS1_3gpuE5ELNS1_3repE0EEENS1_30default_config_static_selectorELNS0_4arch9wavefront6targetE1EEEvT1_
		.amdhsa_group_segment_fixed_size 0
		.amdhsa_private_segment_fixed_size 0
		.amdhsa_kernarg_size 40
		.amdhsa_user_sgpr_count 6
		.amdhsa_user_sgpr_private_segment_buffer 1
		.amdhsa_user_sgpr_dispatch_ptr 0
		.amdhsa_user_sgpr_queue_ptr 0
		.amdhsa_user_sgpr_kernarg_segment_ptr 1
		.amdhsa_user_sgpr_dispatch_id 0
		.amdhsa_user_sgpr_flat_scratch_init 0
		.amdhsa_user_sgpr_kernarg_preload_length 0
		.amdhsa_user_sgpr_kernarg_preload_offset 0
		.amdhsa_user_sgpr_private_segment_size 0
		.amdhsa_uses_dynamic_stack 0
		.amdhsa_system_sgpr_private_segment_wavefront_offset 0
		.amdhsa_system_sgpr_workgroup_id_x 1
		.amdhsa_system_sgpr_workgroup_id_y 0
		.amdhsa_system_sgpr_workgroup_id_z 0
		.amdhsa_system_sgpr_workgroup_info 0
		.amdhsa_system_vgpr_workitem_id 0
		.amdhsa_next_free_vgpr 1
		.amdhsa_next_free_sgpr 0
		.amdhsa_accum_offset 4
		.amdhsa_reserve_vcc 0
		.amdhsa_reserve_flat_scratch 0
		.amdhsa_float_round_mode_32 0
		.amdhsa_float_round_mode_16_64 0
		.amdhsa_float_denorm_mode_32 3
		.amdhsa_float_denorm_mode_16_64 3
		.amdhsa_dx10_clamp 1
		.amdhsa_ieee_mode 1
		.amdhsa_fp16_overflow 0
		.amdhsa_tg_split 0
		.amdhsa_exception_fp_ieee_invalid_op 0
		.amdhsa_exception_fp_denorm_src 0
		.amdhsa_exception_fp_ieee_div_zero 0
		.amdhsa_exception_fp_ieee_overflow 0
		.amdhsa_exception_fp_ieee_underflow 0
		.amdhsa_exception_fp_ieee_inexact 0
		.amdhsa_exception_int_div_zero 0
	.end_amdhsa_kernel
	.section	.text._ZN7rocprim17ROCPRIM_400000_NS6detail17trampoline_kernelINS0_14default_configENS1_25transform_config_selectorImLb1EEEZNS1_14transform_implILb1ES3_S5_PmPlNS0_8identityIvEEEE10hipError_tT2_T3_mT4_P12ihipStream_tbEUlT_E_NS1_11comp_targetILNS1_3genE10ELNS1_11target_archE1201ELNS1_3gpuE5ELNS1_3repE0EEENS1_30default_config_static_selectorELNS0_4arch9wavefront6targetE1EEEvT1_,"axG",@progbits,_ZN7rocprim17ROCPRIM_400000_NS6detail17trampoline_kernelINS0_14default_configENS1_25transform_config_selectorImLb1EEEZNS1_14transform_implILb1ES3_S5_PmPlNS0_8identityIvEEEE10hipError_tT2_T3_mT4_P12ihipStream_tbEUlT_E_NS1_11comp_targetILNS1_3genE10ELNS1_11target_archE1201ELNS1_3gpuE5ELNS1_3repE0EEENS1_30default_config_static_selectorELNS0_4arch9wavefront6targetE1EEEvT1_,comdat
.Lfunc_end113:
	.size	_ZN7rocprim17ROCPRIM_400000_NS6detail17trampoline_kernelINS0_14default_configENS1_25transform_config_selectorImLb1EEEZNS1_14transform_implILb1ES3_S5_PmPlNS0_8identityIvEEEE10hipError_tT2_T3_mT4_P12ihipStream_tbEUlT_E_NS1_11comp_targetILNS1_3genE10ELNS1_11target_archE1201ELNS1_3gpuE5ELNS1_3repE0EEENS1_30default_config_static_selectorELNS0_4arch9wavefront6targetE1EEEvT1_, .Lfunc_end113-_ZN7rocprim17ROCPRIM_400000_NS6detail17trampoline_kernelINS0_14default_configENS1_25transform_config_selectorImLb1EEEZNS1_14transform_implILb1ES3_S5_PmPlNS0_8identityIvEEEE10hipError_tT2_T3_mT4_P12ihipStream_tbEUlT_E_NS1_11comp_targetILNS1_3genE10ELNS1_11target_archE1201ELNS1_3gpuE5ELNS1_3repE0EEENS1_30default_config_static_selectorELNS0_4arch9wavefront6targetE1EEEvT1_
                                        ; -- End function
	.section	.AMDGPU.csdata,"",@progbits
; Kernel info:
; codeLenInByte = 0
; NumSgprs: 4
; NumVgprs: 0
; NumAgprs: 0
; TotalNumVgprs: 0
; ScratchSize: 0
; MemoryBound: 0
; FloatMode: 240
; IeeeMode: 1
; LDSByteSize: 0 bytes/workgroup (compile time only)
; SGPRBlocks: 0
; VGPRBlocks: 0
; NumSGPRsForWavesPerEU: 4
; NumVGPRsForWavesPerEU: 1
; AccumOffset: 4
; Occupancy: 8
; WaveLimiterHint : 0
; COMPUTE_PGM_RSRC2:SCRATCH_EN: 0
; COMPUTE_PGM_RSRC2:USER_SGPR: 6
; COMPUTE_PGM_RSRC2:TRAP_HANDLER: 0
; COMPUTE_PGM_RSRC2:TGID_X_EN: 1
; COMPUTE_PGM_RSRC2:TGID_Y_EN: 0
; COMPUTE_PGM_RSRC2:TGID_Z_EN: 0
; COMPUTE_PGM_RSRC2:TIDIG_COMP_CNT: 0
; COMPUTE_PGM_RSRC3_GFX90A:ACCUM_OFFSET: 0
; COMPUTE_PGM_RSRC3_GFX90A:TG_SPLIT: 0
	.section	.text._ZN7rocprim17ROCPRIM_400000_NS6detail17trampoline_kernelINS0_14default_configENS1_25transform_config_selectorImLb1EEEZNS1_14transform_implILb1ES3_S5_PmPlNS0_8identityIvEEEE10hipError_tT2_T3_mT4_P12ihipStream_tbEUlT_E_NS1_11comp_targetILNS1_3genE5ELNS1_11target_archE942ELNS1_3gpuE9ELNS1_3repE0EEENS1_30default_config_static_selectorELNS0_4arch9wavefront6targetE1EEEvT1_,"axG",@progbits,_ZN7rocprim17ROCPRIM_400000_NS6detail17trampoline_kernelINS0_14default_configENS1_25transform_config_selectorImLb1EEEZNS1_14transform_implILb1ES3_S5_PmPlNS0_8identityIvEEEE10hipError_tT2_T3_mT4_P12ihipStream_tbEUlT_E_NS1_11comp_targetILNS1_3genE5ELNS1_11target_archE942ELNS1_3gpuE9ELNS1_3repE0EEENS1_30default_config_static_selectorELNS0_4arch9wavefront6targetE1EEEvT1_,comdat
	.protected	_ZN7rocprim17ROCPRIM_400000_NS6detail17trampoline_kernelINS0_14default_configENS1_25transform_config_selectorImLb1EEEZNS1_14transform_implILb1ES3_S5_PmPlNS0_8identityIvEEEE10hipError_tT2_T3_mT4_P12ihipStream_tbEUlT_E_NS1_11comp_targetILNS1_3genE5ELNS1_11target_archE942ELNS1_3gpuE9ELNS1_3repE0EEENS1_30default_config_static_selectorELNS0_4arch9wavefront6targetE1EEEvT1_ ; -- Begin function _ZN7rocprim17ROCPRIM_400000_NS6detail17trampoline_kernelINS0_14default_configENS1_25transform_config_selectorImLb1EEEZNS1_14transform_implILb1ES3_S5_PmPlNS0_8identityIvEEEE10hipError_tT2_T3_mT4_P12ihipStream_tbEUlT_E_NS1_11comp_targetILNS1_3genE5ELNS1_11target_archE942ELNS1_3gpuE9ELNS1_3repE0EEENS1_30default_config_static_selectorELNS0_4arch9wavefront6targetE1EEEvT1_
	.globl	_ZN7rocprim17ROCPRIM_400000_NS6detail17trampoline_kernelINS0_14default_configENS1_25transform_config_selectorImLb1EEEZNS1_14transform_implILb1ES3_S5_PmPlNS0_8identityIvEEEE10hipError_tT2_T3_mT4_P12ihipStream_tbEUlT_E_NS1_11comp_targetILNS1_3genE5ELNS1_11target_archE942ELNS1_3gpuE9ELNS1_3repE0EEENS1_30default_config_static_selectorELNS0_4arch9wavefront6targetE1EEEvT1_
	.p2align	8
	.type	_ZN7rocprim17ROCPRIM_400000_NS6detail17trampoline_kernelINS0_14default_configENS1_25transform_config_selectorImLb1EEEZNS1_14transform_implILb1ES3_S5_PmPlNS0_8identityIvEEEE10hipError_tT2_T3_mT4_P12ihipStream_tbEUlT_E_NS1_11comp_targetILNS1_3genE5ELNS1_11target_archE942ELNS1_3gpuE9ELNS1_3repE0EEENS1_30default_config_static_selectorELNS0_4arch9wavefront6targetE1EEEvT1_,@function
_ZN7rocprim17ROCPRIM_400000_NS6detail17trampoline_kernelINS0_14default_configENS1_25transform_config_selectorImLb1EEEZNS1_14transform_implILb1ES3_S5_PmPlNS0_8identityIvEEEE10hipError_tT2_T3_mT4_P12ihipStream_tbEUlT_E_NS1_11comp_targetILNS1_3genE5ELNS1_11target_archE942ELNS1_3gpuE9ELNS1_3repE0EEENS1_30default_config_static_selectorELNS0_4arch9wavefront6targetE1EEEvT1_: ; @_ZN7rocprim17ROCPRIM_400000_NS6detail17trampoline_kernelINS0_14default_configENS1_25transform_config_selectorImLb1EEEZNS1_14transform_implILb1ES3_S5_PmPlNS0_8identityIvEEEE10hipError_tT2_T3_mT4_P12ihipStream_tbEUlT_E_NS1_11comp_targetILNS1_3genE5ELNS1_11target_archE942ELNS1_3gpuE9ELNS1_3repE0EEENS1_30default_config_static_selectorELNS0_4arch9wavefront6targetE1EEEvT1_
; %bb.0:
	.section	.rodata,"a",@progbits
	.p2align	6, 0x0
	.amdhsa_kernel _ZN7rocprim17ROCPRIM_400000_NS6detail17trampoline_kernelINS0_14default_configENS1_25transform_config_selectorImLb1EEEZNS1_14transform_implILb1ES3_S5_PmPlNS0_8identityIvEEEE10hipError_tT2_T3_mT4_P12ihipStream_tbEUlT_E_NS1_11comp_targetILNS1_3genE5ELNS1_11target_archE942ELNS1_3gpuE9ELNS1_3repE0EEENS1_30default_config_static_selectorELNS0_4arch9wavefront6targetE1EEEvT1_
		.amdhsa_group_segment_fixed_size 0
		.amdhsa_private_segment_fixed_size 0
		.amdhsa_kernarg_size 40
		.amdhsa_user_sgpr_count 6
		.amdhsa_user_sgpr_private_segment_buffer 1
		.amdhsa_user_sgpr_dispatch_ptr 0
		.amdhsa_user_sgpr_queue_ptr 0
		.amdhsa_user_sgpr_kernarg_segment_ptr 1
		.amdhsa_user_sgpr_dispatch_id 0
		.amdhsa_user_sgpr_flat_scratch_init 0
		.amdhsa_user_sgpr_kernarg_preload_length 0
		.amdhsa_user_sgpr_kernarg_preload_offset 0
		.amdhsa_user_sgpr_private_segment_size 0
		.amdhsa_uses_dynamic_stack 0
		.amdhsa_system_sgpr_private_segment_wavefront_offset 0
		.amdhsa_system_sgpr_workgroup_id_x 1
		.amdhsa_system_sgpr_workgroup_id_y 0
		.amdhsa_system_sgpr_workgroup_id_z 0
		.amdhsa_system_sgpr_workgroup_info 0
		.amdhsa_system_vgpr_workitem_id 0
		.amdhsa_next_free_vgpr 1
		.amdhsa_next_free_sgpr 0
		.amdhsa_accum_offset 4
		.amdhsa_reserve_vcc 0
		.amdhsa_reserve_flat_scratch 0
		.amdhsa_float_round_mode_32 0
		.amdhsa_float_round_mode_16_64 0
		.amdhsa_float_denorm_mode_32 3
		.amdhsa_float_denorm_mode_16_64 3
		.amdhsa_dx10_clamp 1
		.amdhsa_ieee_mode 1
		.amdhsa_fp16_overflow 0
		.amdhsa_tg_split 0
		.amdhsa_exception_fp_ieee_invalid_op 0
		.amdhsa_exception_fp_denorm_src 0
		.amdhsa_exception_fp_ieee_div_zero 0
		.amdhsa_exception_fp_ieee_overflow 0
		.amdhsa_exception_fp_ieee_underflow 0
		.amdhsa_exception_fp_ieee_inexact 0
		.amdhsa_exception_int_div_zero 0
	.end_amdhsa_kernel
	.section	.text._ZN7rocprim17ROCPRIM_400000_NS6detail17trampoline_kernelINS0_14default_configENS1_25transform_config_selectorImLb1EEEZNS1_14transform_implILb1ES3_S5_PmPlNS0_8identityIvEEEE10hipError_tT2_T3_mT4_P12ihipStream_tbEUlT_E_NS1_11comp_targetILNS1_3genE5ELNS1_11target_archE942ELNS1_3gpuE9ELNS1_3repE0EEENS1_30default_config_static_selectorELNS0_4arch9wavefront6targetE1EEEvT1_,"axG",@progbits,_ZN7rocprim17ROCPRIM_400000_NS6detail17trampoline_kernelINS0_14default_configENS1_25transform_config_selectorImLb1EEEZNS1_14transform_implILb1ES3_S5_PmPlNS0_8identityIvEEEE10hipError_tT2_T3_mT4_P12ihipStream_tbEUlT_E_NS1_11comp_targetILNS1_3genE5ELNS1_11target_archE942ELNS1_3gpuE9ELNS1_3repE0EEENS1_30default_config_static_selectorELNS0_4arch9wavefront6targetE1EEEvT1_,comdat
.Lfunc_end114:
	.size	_ZN7rocprim17ROCPRIM_400000_NS6detail17trampoline_kernelINS0_14default_configENS1_25transform_config_selectorImLb1EEEZNS1_14transform_implILb1ES3_S5_PmPlNS0_8identityIvEEEE10hipError_tT2_T3_mT4_P12ihipStream_tbEUlT_E_NS1_11comp_targetILNS1_3genE5ELNS1_11target_archE942ELNS1_3gpuE9ELNS1_3repE0EEENS1_30default_config_static_selectorELNS0_4arch9wavefront6targetE1EEEvT1_, .Lfunc_end114-_ZN7rocprim17ROCPRIM_400000_NS6detail17trampoline_kernelINS0_14default_configENS1_25transform_config_selectorImLb1EEEZNS1_14transform_implILb1ES3_S5_PmPlNS0_8identityIvEEEE10hipError_tT2_T3_mT4_P12ihipStream_tbEUlT_E_NS1_11comp_targetILNS1_3genE5ELNS1_11target_archE942ELNS1_3gpuE9ELNS1_3repE0EEENS1_30default_config_static_selectorELNS0_4arch9wavefront6targetE1EEEvT1_
                                        ; -- End function
	.section	.AMDGPU.csdata,"",@progbits
; Kernel info:
; codeLenInByte = 0
; NumSgprs: 4
; NumVgprs: 0
; NumAgprs: 0
; TotalNumVgprs: 0
; ScratchSize: 0
; MemoryBound: 0
; FloatMode: 240
; IeeeMode: 1
; LDSByteSize: 0 bytes/workgroup (compile time only)
; SGPRBlocks: 0
; VGPRBlocks: 0
; NumSGPRsForWavesPerEU: 4
; NumVGPRsForWavesPerEU: 1
; AccumOffset: 4
; Occupancy: 8
; WaveLimiterHint : 0
; COMPUTE_PGM_RSRC2:SCRATCH_EN: 0
; COMPUTE_PGM_RSRC2:USER_SGPR: 6
; COMPUTE_PGM_RSRC2:TRAP_HANDLER: 0
; COMPUTE_PGM_RSRC2:TGID_X_EN: 1
; COMPUTE_PGM_RSRC2:TGID_Y_EN: 0
; COMPUTE_PGM_RSRC2:TGID_Z_EN: 0
; COMPUTE_PGM_RSRC2:TIDIG_COMP_CNT: 0
; COMPUTE_PGM_RSRC3_GFX90A:ACCUM_OFFSET: 0
; COMPUTE_PGM_RSRC3_GFX90A:TG_SPLIT: 0
	.section	.text._ZN7rocprim17ROCPRIM_400000_NS6detail17trampoline_kernelINS0_14default_configENS1_25transform_config_selectorImLb1EEEZNS1_14transform_implILb1ES3_S5_PmPlNS0_8identityIvEEEE10hipError_tT2_T3_mT4_P12ihipStream_tbEUlT_E_NS1_11comp_targetILNS1_3genE4ELNS1_11target_archE910ELNS1_3gpuE8ELNS1_3repE0EEENS1_30default_config_static_selectorELNS0_4arch9wavefront6targetE1EEEvT1_,"axG",@progbits,_ZN7rocprim17ROCPRIM_400000_NS6detail17trampoline_kernelINS0_14default_configENS1_25transform_config_selectorImLb1EEEZNS1_14transform_implILb1ES3_S5_PmPlNS0_8identityIvEEEE10hipError_tT2_T3_mT4_P12ihipStream_tbEUlT_E_NS1_11comp_targetILNS1_3genE4ELNS1_11target_archE910ELNS1_3gpuE8ELNS1_3repE0EEENS1_30default_config_static_selectorELNS0_4arch9wavefront6targetE1EEEvT1_,comdat
	.protected	_ZN7rocprim17ROCPRIM_400000_NS6detail17trampoline_kernelINS0_14default_configENS1_25transform_config_selectorImLb1EEEZNS1_14transform_implILb1ES3_S5_PmPlNS0_8identityIvEEEE10hipError_tT2_T3_mT4_P12ihipStream_tbEUlT_E_NS1_11comp_targetILNS1_3genE4ELNS1_11target_archE910ELNS1_3gpuE8ELNS1_3repE0EEENS1_30default_config_static_selectorELNS0_4arch9wavefront6targetE1EEEvT1_ ; -- Begin function _ZN7rocprim17ROCPRIM_400000_NS6detail17trampoline_kernelINS0_14default_configENS1_25transform_config_selectorImLb1EEEZNS1_14transform_implILb1ES3_S5_PmPlNS0_8identityIvEEEE10hipError_tT2_T3_mT4_P12ihipStream_tbEUlT_E_NS1_11comp_targetILNS1_3genE4ELNS1_11target_archE910ELNS1_3gpuE8ELNS1_3repE0EEENS1_30default_config_static_selectorELNS0_4arch9wavefront6targetE1EEEvT1_
	.globl	_ZN7rocprim17ROCPRIM_400000_NS6detail17trampoline_kernelINS0_14default_configENS1_25transform_config_selectorImLb1EEEZNS1_14transform_implILb1ES3_S5_PmPlNS0_8identityIvEEEE10hipError_tT2_T3_mT4_P12ihipStream_tbEUlT_E_NS1_11comp_targetILNS1_3genE4ELNS1_11target_archE910ELNS1_3gpuE8ELNS1_3repE0EEENS1_30default_config_static_selectorELNS0_4arch9wavefront6targetE1EEEvT1_
	.p2align	8
	.type	_ZN7rocprim17ROCPRIM_400000_NS6detail17trampoline_kernelINS0_14default_configENS1_25transform_config_selectorImLb1EEEZNS1_14transform_implILb1ES3_S5_PmPlNS0_8identityIvEEEE10hipError_tT2_T3_mT4_P12ihipStream_tbEUlT_E_NS1_11comp_targetILNS1_3genE4ELNS1_11target_archE910ELNS1_3gpuE8ELNS1_3repE0EEENS1_30default_config_static_selectorELNS0_4arch9wavefront6targetE1EEEvT1_,@function
_ZN7rocprim17ROCPRIM_400000_NS6detail17trampoline_kernelINS0_14default_configENS1_25transform_config_selectorImLb1EEEZNS1_14transform_implILb1ES3_S5_PmPlNS0_8identityIvEEEE10hipError_tT2_T3_mT4_P12ihipStream_tbEUlT_E_NS1_11comp_targetILNS1_3genE4ELNS1_11target_archE910ELNS1_3gpuE8ELNS1_3repE0EEENS1_30default_config_static_selectorELNS0_4arch9wavefront6targetE1EEEvT1_: ; @_ZN7rocprim17ROCPRIM_400000_NS6detail17trampoline_kernelINS0_14default_configENS1_25transform_config_selectorImLb1EEEZNS1_14transform_implILb1ES3_S5_PmPlNS0_8identityIvEEEE10hipError_tT2_T3_mT4_P12ihipStream_tbEUlT_E_NS1_11comp_targetILNS1_3genE4ELNS1_11target_archE910ELNS1_3gpuE8ELNS1_3repE0EEENS1_30default_config_static_selectorELNS0_4arch9wavefront6targetE1EEEvT1_
; %bb.0:
	s_load_dwordx8 s[8:15], s[4:5], 0x0
	s_load_dword s2, s[4:5], 0x28
	s_waitcnt lgkmcnt(0)
	s_lshl_b64 s[0:1], s[10:11], 3
	s_add_u32 s4, s8, s0
	s_addc_u32 s5, s9, s1
	s_add_u32 s8, s14, s0
	s_addc_u32 s9, s15, s1
	s_lshl_b32 s0, s6, 11
	s_mov_b32 s1, 0
	s_add_i32 s7, s2, -1
	s_lshl_b64 s[2:3], s[0:1], 3
	s_add_u32 s4, s4, s2
	s_addc_u32 s5, s5, s3
	s_cmp_lg_u32 s6, s7
	s_mov_b64 s[6:7], -1
	s_cbranch_scc0 .LBB115_2
; %bb.1:
	v_lshlrev_b32_e32 v1, 4, v0
	global_load_dwordx4 v[2:5], v1, s[4:5]
	s_add_u32 s6, s8, s2
	s_addc_u32 s7, s9, s3
	s_waitcnt vmcnt(0)
	global_store_dwordx4 v1, v[2:5], s[6:7]
	s_mov_b64 s[6:7], 0
.LBB115_2:
	s_andn2_b64 vcc, exec, s[6:7]
	s_cbranch_vccnz .LBB115_11
; %bb.3:
	s_sub_i32 s6, s12, s0
	v_cmp_gt_u32_e32 vcc, s6, v0
	v_lshlrev_b32_e32 v1, 3, v0
                                        ; implicit-def: $vgpr2_vgpr3_vgpr4_vgpr5
	s_and_saveexec_b64 s[0:1], vcc
	s_cbranch_execz .LBB115_5
; %bb.4:
	global_load_dwordx2 v[2:3], v1, s[4:5]
.LBB115_5:
	s_or_b64 exec, exec, s[0:1]
	v_or_b32_e32 v0, 0x400, v0
	v_cmp_gt_u32_e64 s[0:1], s6, v0
	s_and_saveexec_b64 s[6:7], s[0:1]
	s_cbranch_execz .LBB115_7
; %bb.6:
	v_lshlrev_b32_e32 v0, 3, v0
	global_load_dwordx2 v[4:5], v0, s[4:5]
.LBB115_7:
	s_or_b64 exec, exec, s[6:7]
	s_add_u32 s2, s8, s2
	s_addc_u32 s3, s9, s3
	v_mov_b32_e32 v6, s3
	v_add_co_u32_e64 v0, s[2:3], s2, v1
	v_addc_co_u32_e64 v1, s[2:3], 0, v6, s[2:3]
	s_and_saveexec_b64 s[2:3], vcc
	s_cbranch_execz .LBB115_9
; %bb.8:
	s_waitcnt vmcnt(0)
	global_store_dwordx2 v[0:1], v[2:3], off
.LBB115_9:
	s_or_b64 exec, exec, s[2:3]
	s_and_saveexec_b64 s[2:3], s[0:1]
	s_cbranch_execz .LBB115_11
; %bb.10:
	v_add_co_u32_e32 v0, vcc, 0x2000, v0
	v_addc_co_u32_e32 v1, vcc, 0, v1, vcc
	s_waitcnt vmcnt(0)
	global_store_dwordx2 v[0:1], v[4:5], off
.LBB115_11:
	s_endpgm
	.section	.rodata,"a",@progbits
	.p2align	6, 0x0
	.amdhsa_kernel _ZN7rocprim17ROCPRIM_400000_NS6detail17trampoline_kernelINS0_14default_configENS1_25transform_config_selectorImLb1EEEZNS1_14transform_implILb1ES3_S5_PmPlNS0_8identityIvEEEE10hipError_tT2_T3_mT4_P12ihipStream_tbEUlT_E_NS1_11comp_targetILNS1_3genE4ELNS1_11target_archE910ELNS1_3gpuE8ELNS1_3repE0EEENS1_30default_config_static_selectorELNS0_4arch9wavefront6targetE1EEEvT1_
		.amdhsa_group_segment_fixed_size 0
		.amdhsa_private_segment_fixed_size 0
		.amdhsa_kernarg_size 296
		.amdhsa_user_sgpr_count 6
		.amdhsa_user_sgpr_private_segment_buffer 1
		.amdhsa_user_sgpr_dispatch_ptr 0
		.amdhsa_user_sgpr_queue_ptr 0
		.amdhsa_user_sgpr_kernarg_segment_ptr 1
		.amdhsa_user_sgpr_dispatch_id 0
		.amdhsa_user_sgpr_flat_scratch_init 0
		.amdhsa_user_sgpr_kernarg_preload_length 0
		.amdhsa_user_sgpr_kernarg_preload_offset 0
		.amdhsa_user_sgpr_private_segment_size 0
		.amdhsa_uses_dynamic_stack 0
		.amdhsa_system_sgpr_private_segment_wavefront_offset 0
		.amdhsa_system_sgpr_workgroup_id_x 1
		.amdhsa_system_sgpr_workgroup_id_y 0
		.amdhsa_system_sgpr_workgroup_id_z 0
		.amdhsa_system_sgpr_workgroup_info 0
		.amdhsa_system_vgpr_workitem_id 0
		.amdhsa_next_free_vgpr 7
		.amdhsa_next_free_sgpr 16
		.amdhsa_accum_offset 8
		.amdhsa_reserve_vcc 1
		.amdhsa_reserve_flat_scratch 0
		.amdhsa_float_round_mode_32 0
		.amdhsa_float_round_mode_16_64 0
		.amdhsa_float_denorm_mode_32 3
		.amdhsa_float_denorm_mode_16_64 3
		.amdhsa_dx10_clamp 1
		.amdhsa_ieee_mode 1
		.amdhsa_fp16_overflow 0
		.amdhsa_tg_split 0
		.amdhsa_exception_fp_ieee_invalid_op 0
		.amdhsa_exception_fp_denorm_src 0
		.amdhsa_exception_fp_ieee_div_zero 0
		.amdhsa_exception_fp_ieee_overflow 0
		.amdhsa_exception_fp_ieee_underflow 0
		.amdhsa_exception_fp_ieee_inexact 0
		.amdhsa_exception_int_div_zero 0
	.end_amdhsa_kernel
	.section	.text._ZN7rocprim17ROCPRIM_400000_NS6detail17trampoline_kernelINS0_14default_configENS1_25transform_config_selectorImLb1EEEZNS1_14transform_implILb1ES3_S5_PmPlNS0_8identityIvEEEE10hipError_tT2_T3_mT4_P12ihipStream_tbEUlT_E_NS1_11comp_targetILNS1_3genE4ELNS1_11target_archE910ELNS1_3gpuE8ELNS1_3repE0EEENS1_30default_config_static_selectorELNS0_4arch9wavefront6targetE1EEEvT1_,"axG",@progbits,_ZN7rocprim17ROCPRIM_400000_NS6detail17trampoline_kernelINS0_14default_configENS1_25transform_config_selectorImLb1EEEZNS1_14transform_implILb1ES3_S5_PmPlNS0_8identityIvEEEE10hipError_tT2_T3_mT4_P12ihipStream_tbEUlT_E_NS1_11comp_targetILNS1_3genE4ELNS1_11target_archE910ELNS1_3gpuE8ELNS1_3repE0EEENS1_30default_config_static_selectorELNS0_4arch9wavefront6targetE1EEEvT1_,comdat
.Lfunc_end115:
	.size	_ZN7rocprim17ROCPRIM_400000_NS6detail17trampoline_kernelINS0_14default_configENS1_25transform_config_selectorImLb1EEEZNS1_14transform_implILb1ES3_S5_PmPlNS0_8identityIvEEEE10hipError_tT2_T3_mT4_P12ihipStream_tbEUlT_E_NS1_11comp_targetILNS1_3genE4ELNS1_11target_archE910ELNS1_3gpuE8ELNS1_3repE0EEENS1_30default_config_static_selectorELNS0_4arch9wavefront6targetE1EEEvT1_, .Lfunc_end115-_ZN7rocprim17ROCPRIM_400000_NS6detail17trampoline_kernelINS0_14default_configENS1_25transform_config_selectorImLb1EEEZNS1_14transform_implILb1ES3_S5_PmPlNS0_8identityIvEEEE10hipError_tT2_T3_mT4_P12ihipStream_tbEUlT_E_NS1_11comp_targetILNS1_3genE4ELNS1_11target_archE910ELNS1_3gpuE8ELNS1_3repE0EEENS1_30default_config_static_selectorELNS0_4arch9wavefront6targetE1EEEvT1_
                                        ; -- End function
	.section	.AMDGPU.csdata,"",@progbits
; Kernel info:
; codeLenInByte = 280
; NumSgprs: 20
; NumVgprs: 7
; NumAgprs: 0
; TotalNumVgprs: 7
; ScratchSize: 0
; MemoryBound: 1
; FloatMode: 240
; IeeeMode: 1
; LDSByteSize: 0 bytes/workgroup (compile time only)
; SGPRBlocks: 2
; VGPRBlocks: 0
; NumSGPRsForWavesPerEU: 20
; NumVGPRsForWavesPerEU: 7
; AccumOffset: 8
; Occupancy: 8
; WaveLimiterHint : 0
; COMPUTE_PGM_RSRC2:SCRATCH_EN: 0
; COMPUTE_PGM_RSRC2:USER_SGPR: 6
; COMPUTE_PGM_RSRC2:TRAP_HANDLER: 0
; COMPUTE_PGM_RSRC2:TGID_X_EN: 1
; COMPUTE_PGM_RSRC2:TGID_Y_EN: 0
; COMPUTE_PGM_RSRC2:TGID_Z_EN: 0
; COMPUTE_PGM_RSRC2:TIDIG_COMP_CNT: 0
; COMPUTE_PGM_RSRC3_GFX90A:ACCUM_OFFSET: 1
; COMPUTE_PGM_RSRC3_GFX90A:TG_SPLIT: 0
	.section	.text._ZN7rocprim17ROCPRIM_400000_NS6detail17trampoline_kernelINS0_14default_configENS1_25transform_config_selectorImLb1EEEZNS1_14transform_implILb1ES3_S5_PmPlNS0_8identityIvEEEE10hipError_tT2_T3_mT4_P12ihipStream_tbEUlT_E_NS1_11comp_targetILNS1_3genE3ELNS1_11target_archE908ELNS1_3gpuE7ELNS1_3repE0EEENS1_30default_config_static_selectorELNS0_4arch9wavefront6targetE1EEEvT1_,"axG",@progbits,_ZN7rocprim17ROCPRIM_400000_NS6detail17trampoline_kernelINS0_14default_configENS1_25transform_config_selectorImLb1EEEZNS1_14transform_implILb1ES3_S5_PmPlNS0_8identityIvEEEE10hipError_tT2_T3_mT4_P12ihipStream_tbEUlT_E_NS1_11comp_targetILNS1_3genE3ELNS1_11target_archE908ELNS1_3gpuE7ELNS1_3repE0EEENS1_30default_config_static_selectorELNS0_4arch9wavefront6targetE1EEEvT1_,comdat
	.protected	_ZN7rocprim17ROCPRIM_400000_NS6detail17trampoline_kernelINS0_14default_configENS1_25transform_config_selectorImLb1EEEZNS1_14transform_implILb1ES3_S5_PmPlNS0_8identityIvEEEE10hipError_tT2_T3_mT4_P12ihipStream_tbEUlT_E_NS1_11comp_targetILNS1_3genE3ELNS1_11target_archE908ELNS1_3gpuE7ELNS1_3repE0EEENS1_30default_config_static_selectorELNS0_4arch9wavefront6targetE1EEEvT1_ ; -- Begin function _ZN7rocprim17ROCPRIM_400000_NS6detail17trampoline_kernelINS0_14default_configENS1_25transform_config_selectorImLb1EEEZNS1_14transform_implILb1ES3_S5_PmPlNS0_8identityIvEEEE10hipError_tT2_T3_mT4_P12ihipStream_tbEUlT_E_NS1_11comp_targetILNS1_3genE3ELNS1_11target_archE908ELNS1_3gpuE7ELNS1_3repE0EEENS1_30default_config_static_selectorELNS0_4arch9wavefront6targetE1EEEvT1_
	.globl	_ZN7rocprim17ROCPRIM_400000_NS6detail17trampoline_kernelINS0_14default_configENS1_25transform_config_selectorImLb1EEEZNS1_14transform_implILb1ES3_S5_PmPlNS0_8identityIvEEEE10hipError_tT2_T3_mT4_P12ihipStream_tbEUlT_E_NS1_11comp_targetILNS1_3genE3ELNS1_11target_archE908ELNS1_3gpuE7ELNS1_3repE0EEENS1_30default_config_static_selectorELNS0_4arch9wavefront6targetE1EEEvT1_
	.p2align	8
	.type	_ZN7rocprim17ROCPRIM_400000_NS6detail17trampoline_kernelINS0_14default_configENS1_25transform_config_selectorImLb1EEEZNS1_14transform_implILb1ES3_S5_PmPlNS0_8identityIvEEEE10hipError_tT2_T3_mT4_P12ihipStream_tbEUlT_E_NS1_11comp_targetILNS1_3genE3ELNS1_11target_archE908ELNS1_3gpuE7ELNS1_3repE0EEENS1_30default_config_static_selectorELNS0_4arch9wavefront6targetE1EEEvT1_,@function
_ZN7rocprim17ROCPRIM_400000_NS6detail17trampoline_kernelINS0_14default_configENS1_25transform_config_selectorImLb1EEEZNS1_14transform_implILb1ES3_S5_PmPlNS0_8identityIvEEEE10hipError_tT2_T3_mT4_P12ihipStream_tbEUlT_E_NS1_11comp_targetILNS1_3genE3ELNS1_11target_archE908ELNS1_3gpuE7ELNS1_3repE0EEENS1_30default_config_static_selectorELNS0_4arch9wavefront6targetE1EEEvT1_: ; @_ZN7rocprim17ROCPRIM_400000_NS6detail17trampoline_kernelINS0_14default_configENS1_25transform_config_selectorImLb1EEEZNS1_14transform_implILb1ES3_S5_PmPlNS0_8identityIvEEEE10hipError_tT2_T3_mT4_P12ihipStream_tbEUlT_E_NS1_11comp_targetILNS1_3genE3ELNS1_11target_archE908ELNS1_3gpuE7ELNS1_3repE0EEENS1_30default_config_static_selectorELNS0_4arch9wavefront6targetE1EEEvT1_
; %bb.0:
	.section	.rodata,"a",@progbits
	.p2align	6, 0x0
	.amdhsa_kernel _ZN7rocprim17ROCPRIM_400000_NS6detail17trampoline_kernelINS0_14default_configENS1_25transform_config_selectorImLb1EEEZNS1_14transform_implILb1ES3_S5_PmPlNS0_8identityIvEEEE10hipError_tT2_T3_mT4_P12ihipStream_tbEUlT_E_NS1_11comp_targetILNS1_3genE3ELNS1_11target_archE908ELNS1_3gpuE7ELNS1_3repE0EEENS1_30default_config_static_selectorELNS0_4arch9wavefront6targetE1EEEvT1_
		.amdhsa_group_segment_fixed_size 0
		.amdhsa_private_segment_fixed_size 0
		.amdhsa_kernarg_size 40
		.amdhsa_user_sgpr_count 6
		.amdhsa_user_sgpr_private_segment_buffer 1
		.amdhsa_user_sgpr_dispatch_ptr 0
		.amdhsa_user_sgpr_queue_ptr 0
		.amdhsa_user_sgpr_kernarg_segment_ptr 1
		.amdhsa_user_sgpr_dispatch_id 0
		.amdhsa_user_sgpr_flat_scratch_init 0
		.amdhsa_user_sgpr_kernarg_preload_length 0
		.amdhsa_user_sgpr_kernarg_preload_offset 0
		.amdhsa_user_sgpr_private_segment_size 0
		.amdhsa_uses_dynamic_stack 0
		.amdhsa_system_sgpr_private_segment_wavefront_offset 0
		.amdhsa_system_sgpr_workgroup_id_x 1
		.amdhsa_system_sgpr_workgroup_id_y 0
		.amdhsa_system_sgpr_workgroup_id_z 0
		.amdhsa_system_sgpr_workgroup_info 0
		.amdhsa_system_vgpr_workitem_id 0
		.amdhsa_next_free_vgpr 1
		.amdhsa_next_free_sgpr 0
		.amdhsa_accum_offset 4
		.amdhsa_reserve_vcc 0
		.amdhsa_reserve_flat_scratch 0
		.amdhsa_float_round_mode_32 0
		.amdhsa_float_round_mode_16_64 0
		.amdhsa_float_denorm_mode_32 3
		.amdhsa_float_denorm_mode_16_64 3
		.amdhsa_dx10_clamp 1
		.amdhsa_ieee_mode 1
		.amdhsa_fp16_overflow 0
		.amdhsa_tg_split 0
		.amdhsa_exception_fp_ieee_invalid_op 0
		.amdhsa_exception_fp_denorm_src 0
		.amdhsa_exception_fp_ieee_div_zero 0
		.amdhsa_exception_fp_ieee_overflow 0
		.amdhsa_exception_fp_ieee_underflow 0
		.amdhsa_exception_fp_ieee_inexact 0
		.amdhsa_exception_int_div_zero 0
	.end_amdhsa_kernel
	.section	.text._ZN7rocprim17ROCPRIM_400000_NS6detail17trampoline_kernelINS0_14default_configENS1_25transform_config_selectorImLb1EEEZNS1_14transform_implILb1ES3_S5_PmPlNS0_8identityIvEEEE10hipError_tT2_T3_mT4_P12ihipStream_tbEUlT_E_NS1_11comp_targetILNS1_3genE3ELNS1_11target_archE908ELNS1_3gpuE7ELNS1_3repE0EEENS1_30default_config_static_selectorELNS0_4arch9wavefront6targetE1EEEvT1_,"axG",@progbits,_ZN7rocprim17ROCPRIM_400000_NS6detail17trampoline_kernelINS0_14default_configENS1_25transform_config_selectorImLb1EEEZNS1_14transform_implILb1ES3_S5_PmPlNS0_8identityIvEEEE10hipError_tT2_T3_mT4_P12ihipStream_tbEUlT_E_NS1_11comp_targetILNS1_3genE3ELNS1_11target_archE908ELNS1_3gpuE7ELNS1_3repE0EEENS1_30default_config_static_selectorELNS0_4arch9wavefront6targetE1EEEvT1_,comdat
.Lfunc_end116:
	.size	_ZN7rocprim17ROCPRIM_400000_NS6detail17trampoline_kernelINS0_14default_configENS1_25transform_config_selectorImLb1EEEZNS1_14transform_implILb1ES3_S5_PmPlNS0_8identityIvEEEE10hipError_tT2_T3_mT4_P12ihipStream_tbEUlT_E_NS1_11comp_targetILNS1_3genE3ELNS1_11target_archE908ELNS1_3gpuE7ELNS1_3repE0EEENS1_30default_config_static_selectorELNS0_4arch9wavefront6targetE1EEEvT1_, .Lfunc_end116-_ZN7rocprim17ROCPRIM_400000_NS6detail17trampoline_kernelINS0_14default_configENS1_25transform_config_selectorImLb1EEEZNS1_14transform_implILb1ES3_S5_PmPlNS0_8identityIvEEEE10hipError_tT2_T3_mT4_P12ihipStream_tbEUlT_E_NS1_11comp_targetILNS1_3genE3ELNS1_11target_archE908ELNS1_3gpuE7ELNS1_3repE0EEENS1_30default_config_static_selectorELNS0_4arch9wavefront6targetE1EEEvT1_
                                        ; -- End function
	.section	.AMDGPU.csdata,"",@progbits
; Kernel info:
; codeLenInByte = 0
; NumSgprs: 4
; NumVgprs: 0
; NumAgprs: 0
; TotalNumVgprs: 0
; ScratchSize: 0
; MemoryBound: 0
; FloatMode: 240
; IeeeMode: 1
; LDSByteSize: 0 bytes/workgroup (compile time only)
; SGPRBlocks: 0
; VGPRBlocks: 0
; NumSGPRsForWavesPerEU: 4
; NumVGPRsForWavesPerEU: 1
; AccumOffset: 4
; Occupancy: 8
; WaveLimiterHint : 0
; COMPUTE_PGM_RSRC2:SCRATCH_EN: 0
; COMPUTE_PGM_RSRC2:USER_SGPR: 6
; COMPUTE_PGM_RSRC2:TRAP_HANDLER: 0
; COMPUTE_PGM_RSRC2:TGID_X_EN: 1
; COMPUTE_PGM_RSRC2:TGID_Y_EN: 0
; COMPUTE_PGM_RSRC2:TGID_Z_EN: 0
; COMPUTE_PGM_RSRC2:TIDIG_COMP_CNT: 0
; COMPUTE_PGM_RSRC3_GFX90A:ACCUM_OFFSET: 0
; COMPUTE_PGM_RSRC3_GFX90A:TG_SPLIT: 0
	.section	.text._ZN7rocprim17ROCPRIM_400000_NS6detail17trampoline_kernelINS0_14default_configENS1_25transform_config_selectorImLb1EEEZNS1_14transform_implILb1ES3_S5_PmPlNS0_8identityIvEEEE10hipError_tT2_T3_mT4_P12ihipStream_tbEUlT_E_NS1_11comp_targetILNS1_3genE2ELNS1_11target_archE906ELNS1_3gpuE6ELNS1_3repE0EEENS1_30default_config_static_selectorELNS0_4arch9wavefront6targetE1EEEvT1_,"axG",@progbits,_ZN7rocprim17ROCPRIM_400000_NS6detail17trampoline_kernelINS0_14default_configENS1_25transform_config_selectorImLb1EEEZNS1_14transform_implILb1ES3_S5_PmPlNS0_8identityIvEEEE10hipError_tT2_T3_mT4_P12ihipStream_tbEUlT_E_NS1_11comp_targetILNS1_3genE2ELNS1_11target_archE906ELNS1_3gpuE6ELNS1_3repE0EEENS1_30default_config_static_selectorELNS0_4arch9wavefront6targetE1EEEvT1_,comdat
	.protected	_ZN7rocprim17ROCPRIM_400000_NS6detail17trampoline_kernelINS0_14default_configENS1_25transform_config_selectorImLb1EEEZNS1_14transform_implILb1ES3_S5_PmPlNS0_8identityIvEEEE10hipError_tT2_T3_mT4_P12ihipStream_tbEUlT_E_NS1_11comp_targetILNS1_3genE2ELNS1_11target_archE906ELNS1_3gpuE6ELNS1_3repE0EEENS1_30default_config_static_selectorELNS0_4arch9wavefront6targetE1EEEvT1_ ; -- Begin function _ZN7rocprim17ROCPRIM_400000_NS6detail17trampoline_kernelINS0_14default_configENS1_25transform_config_selectorImLb1EEEZNS1_14transform_implILb1ES3_S5_PmPlNS0_8identityIvEEEE10hipError_tT2_T3_mT4_P12ihipStream_tbEUlT_E_NS1_11comp_targetILNS1_3genE2ELNS1_11target_archE906ELNS1_3gpuE6ELNS1_3repE0EEENS1_30default_config_static_selectorELNS0_4arch9wavefront6targetE1EEEvT1_
	.globl	_ZN7rocprim17ROCPRIM_400000_NS6detail17trampoline_kernelINS0_14default_configENS1_25transform_config_selectorImLb1EEEZNS1_14transform_implILb1ES3_S5_PmPlNS0_8identityIvEEEE10hipError_tT2_T3_mT4_P12ihipStream_tbEUlT_E_NS1_11comp_targetILNS1_3genE2ELNS1_11target_archE906ELNS1_3gpuE6ELNS1_3repE0EEENS1_30default_config_static_selectorELNS0_4arch9wavefront6targetE1EEEvT1_
	.p2align	8
	.type	_ZN7rocprim17ROCPRIM_400000_NS6detail17trampoline_kernelINS0_14default_configENS1_25transform_config_selectorImLb1EEEZNS1_14transform_implILb1ES3_S5_PmPlNS0_8identityIvEEEE10hipError_tT2_T3_mT4_P12ihipStream_tbEUlT_E_NS1_11comp_targetILNS1_3genE2ELNS1_11target_archE906ELNS1_3gpuE6ELNS1_3repE0EEENS1_30default_config_static_selectorELNS0_4arch9wavefront6targetE1EEEvT1_,@function
_ZN7rocprim17ROCPRIM_400000_NS6detail17trampoline_kernelINS0_14default_configENS1_25transform_config_selectorImLb1EEEZNS1_14transform_implILb1ES3_S5_PmPlNS0_8identityIvEEEE10hipError_tT2_T3_mT4_P12ihipStream_tbEUlT_E_NS1_11comp_targetILNS1_3genE2ELNS1_11target_archE906ELNS1_3gpuE6ELNS1_3repE0EEENS1_30default_config_static_selectorELNS0_4arch9wavefront6targetE1EEEvT1_: ; @_ZN7rocprim17ROCPRIM_400000_NS6detail17trampoline_kernelINS0_14default_configENS1_25transform_config_selectorImLb1EEEZNS1_14transform_implILb1ES3_S5_PmPlNS0_8identityIvEEEE10hipError_tT2_T3_mT4_P12ihipStream_tbEUlT_E_NS1_11comp_targetILNS1_3genE2ELNS1_11target_archE906ELNS1_3gpuE6ELNS1_3repE0EEENS1_30default_config_static_selectorELNS0_4arch9wavefront6targetE1EEEvT1_
; %bb.0:
	.section	.rodata,"a",@progbits
	.p2align	6, 0x0
	.amdhsa_kernel _ZN7rocprim17ROCPRIM_400000_NS6detail17trampoline_kernelINS0_14default_configENS1_25transform_config_selectorImLb1EEEZNS1_14transform_implILb1ES3_S5_PmPlNS0_8identityIvEEEE10hipError_tT2_T3_mT4_P12ihipStream_tbEUlT_E_NS1_11comp_targetILNS1_3genE2ELNS1_11target_archE906ELNS1_3gpuE6ELNS1_3repE0EEENS1_30default_config_static_selectorELNS0_4arch9wavefront6targetE1EEEvT1_
		.amdhsa_group_segment_fixed_size 0
		.amdhsa_private_segment_fixed_size 0
		.amdhsa_kernarg_size 40
		.amdhsa_user_sgpr_count 6
		.amdhsa_user_sgpr_private_segment_buffer 1
		.amdhsa_user_sgpr_dispatch_ptr 0
		.amdhsa_user_sgpr_queue_ptr 0
		.amdhsa_user_sgpr_kernarg_segment_ptr 1
		.amdhsa_user_sgpr_dispatch_id 0
		.amdhsa_user_sgpr_flat_scratch_init 0
		.amdhsa_user_sgpr_kernarg_preload_length 0
		.amdhsa_user_sgpr_kernarg_preload_offset 0
		.amdhsa_user_sgpr_private_segment_size 0
		.amdhsa_uses_dynamic_stack 0
		.amdhsa_system_sgpr_private_segment_wavefront_offset 0
		.amdhsa_system_sgpr_workgroup_id_x 1
		.amdhsa_system_sgpr_workgroup_id_y 0
		.amdhsa_system_sgpr_workgroup_id_z 0
		.amdhsa_system_sgpr_workgroup_info 0
		.amdhsa_system_vgpr_workitem_id 0
		.amdhsa_next_free_vgpr 1
		.amdhsa_next_free_sgpr 0
		.amdhsa_accum_offset 4
		.amdhsa_reserve_vcc 0
		.amdhsa_reserve_flat_scratch 0
		.amdhsa_float_round_mode_32 0
		.amdhsa_float_round_mode_16_64 0
		.amdhsa_float_denorm_mode_32 3
		.amdhsa_float_denorm_mode_16_64 3
		.amdhsa_dx10_clamp 1
		.amdhsa_ieee_mode 1
		.amdhsa_fp16_overflow 0
		.amdhsa_tg_split 0
		.amdhsa_exception_fp_ieee_invalid_op 0
		.amdhsa_exception_fp_denorm_src 0
		.amdhsa_exception_fp_ieee_div_zero 0
		.amdhsa_exception_fp_ieee_overflow 0
		.amdhsa_exception_fp_ieee_underflow 0
		.amdhsa_exception_fp_ieee_inexact 0
		.amdhsa_exception_int_div_zero 0
	.end_amdhsa_kernel
	.section	.text._ZN7rocprim17ROCPRIM_400000_NS6detail17trampoline_kernelINS0_14default_configENS1_25transform_config_selectorImLb1EEEZNS1_14transform_implILb1ES3_S5_PmPlNS0_8identityIvEEEE10hipError_tT2_T3_mT4_P12ihipStream_tbEUlT_E_NS1_11comp_targetILNS1_3genE2ELNS1_11target_archE906ELNS1_3gpuE6ELNS1_3repE0EEENS1_30default_config_static_selectorELNS0_4arch9wavefront6targetE1EEEvT1_,"axG",@progbits,_ZN7rocprim17ROCPRIM_400000_NS6detail17trampoline_kernelINS0_14default_configENS1_25transform_config_selectorImLb1EEEZNS1_14transform_implILb1ES3_S5_PmPlNS0_8identityIvEEEE10hipError_tT2_T3_mT4_P12ihipStream_tbEUlT_E_NS1_11comp_targetILNS1_3genE2ELNS1_11target_archE906ELNS1_3gpuE6ELNS1_3repE0EEENS1_30default_config_static_selectorELNS0_4arch9wavefront6targetE1EEEvT1_,comdat
.Lfunc_end117:
	.size	_ZN7rocprim17ROCPRIM_400000_NS6detail17trampoline_kernelINS0_14default_configENS1_25transform_config_selectorImLb1EEEZNS1_14transform_implILb1ES3_S5_PmPlNS0_8identityIvEEEE10hipError_tT2_T3_mT4_P12ihipStream_tbEUlT_E_NS1_11comp_targetILNS1_3genE2ELNS1_11target_archE906ELNS1_3gpuE6ELNS1_3repE0EEENS1_30default_config_static_selectorELNS0_4arch9wavefront6targetE1EEEvT1_, .Lfunc_end117-_ZN7rocprim17ROCPRIM_400000_NS6detail17trampoline_kernelINS0_14default_configENS1_25transform_config_selectorImLb1EEEZNS1_14transform_implILb1ES3_S5_PmPlNS0_8identityIvEEEE10hipError_tT2_T3_mT4_P12ihipStream_tbEUlT_E_NS1_11comp_targetILNS1_3genE2ELNS1_11target_archE906ELNS1_3gpuE6ELNS1_3repE0EEENS1_30default_config_static_selectorELNS0_4arch9wavefront6targetE1EEEvT1_
                                        ; -- End function
	.section	.AMDGPU.csdata,"",@progbits
; Kernel info:
; codeLenInByte = 0
; NumSgprs: 4
; NumVgprs: 0
; NumAgprs: 0
; TotalNumVgprs: 0
; ScratchSize: 0
; MemoryBound: 0
; FloatMode: 240
; IeeeMode: 1
; LDSByteSize: 0 bytes/workgroup (compile time only)
; SGPRBlocks: 0
; VGPRBlocks: 0
; NumSGPRsForWavesPerEU: 4
; NumVGPRsForWavesPerEU: 1
; AccumOffset: 4
; Occupancy: 8
; WaveLimiterHint : 0
; COMPUTE_PGM_RSRC2:SCRATCH_EN: 0
; COMPUTE_PGM_RSRC2:USER_SGPR: 6
; COMPUTE_PGM_RSRC2:TRAP_HANDLER: 0
; COMPUTE_PGM_RSRC2:TGID_X_EN: 1
; COMPUTE_PGM_RSRC2:TGID_Y_EN: 0
; COMPUTE_PGM_RSRC2:TGID_Z_EN: 0
; COMPUTE_PGM_RSRC2:TIDIG_COMP_CNT: 0
; COMPUTE_PGM_RSRC3_GFX90A:ACCUM_OFFSET: 0
; COMPUTE_PGM_RSRC3_GFX90A:TG_SPLIT: 0
	.section	.text._ZN7rocprim17ROCPRIM_400000_NS6detail17trampoline_kernelINS0_14default_configENS1_25transform_config_selectorImLb1EEEZNS1_14transform_implILb1ES3_S5_PmPlNS0_8identityIvEEEE10hipError_tT2_T3_mT4_P12ihipStream_tbEUlT_E_NS1_11comp_targetILNS1_3genE9ELNS1_11target_archE1100ELNS1_3gpuE3ELNS1_3repE0EEENS1_30default_config_static_selectorELNS0_4arch9wavefront6targetE1EEEvT1_,"axG",@progbits,_ZN7rocprim17ROCPRIM_400000_NS6detail17trampoline_kernelINS0_14default_configENS1_25transform_config_selectorImLb1EEEZNS1_14transform_implILb1ES3_S5_PmPlNS0_8identityIvEEEE10hipError_tT2_T3_mT4_P12ihipStream_tbEUlT_E_NS1_11comp_targetILNS1_3genE9ELNS1_11target_archE1100ELNS1_3gpuE3ELNS1_3repE0EEENS1_30default_config_static_selectorELNS0_4arch9wavefront6targetE1EEEvT1_,comdat
	.protected	_ZN7rocprim17ROCPRIM_400000_NS6detail17trampoline_kernelINS0_14default_configENS1_25transform_config_selectorImLb1EEEZNS1_14transform_implILb1ES3_S5_PmPlNS0_8identityIvEEEE10hipError_tT2_T3_mT4_P12ihipStream_tbEUlT_E_NS1_11comp_targetILNS1_3genE9ELNS1_11target_archE1100ELNS1_3gpuE3ELNS1_3repE0EEENS1_30default_config_static_selectorELNS0_4arch9wavefront6targetE1EEEvT1_ ; -- Begin function _ZN7rocprim17ROCPRIM_400000_NS6detail17trampoline_kernelINS0_14default_configENS1_25transform_config_selectorImLb1EEEZNS1_14transform_implILb1ES3_S5_PmPlNS0_8identityIvEEEE10hipError_tT2_T3_mT4_P12ihipStream_tbEUlT_E_NS1_11comp_targetILNS1_3genE9ELNS1_11target_archE1100ELNS1_3gpuE3ELNS1_3repE0EEENS1_30default_config_static_selectorELNS0_4arch9wavefront6targetE1EEEvT1_
	.globl	_ZN7rocprim17ROCPRIM_400000_NS6detail17trampoline_kernelINS0_14default_configENS1_25transform_config_selectorImLb1EEEZNS1_14transform_implILb1ES3_S5_PmPlNS0_8identityIvEEEE10hipError_tT2_T3_mT4_P12ihipStream_tbEUlT_E_NS1_11comp_targetILNS1_3genE9ELNS1_11target_archE1100ELNS1_3gpuE3ELNS1_3repE0EEENS1_30default_config_static_selectorELNS0_4arch9wavefront6targetE1EEEvT1_
	.p2align	8
	.type	_ZN7rocprim17ROCPRIM_400000_NS6detail17trampoline_kernelINS0_14default_configENS1_25transform_config_selectorImLb1EEEZNS1_14transform_implILb1ES3_S5_PmPlNS0_8identityIvEEEE10hipError_tT2_T3_mT4_P12ihipStream_tbEUlT_E_NS1_11comp_targetILNS1_3genE9ELNS1_11target_archE1100ELNS1_3gpuE3ELNS1_3repE0EEENS1_30default_config_static_selectorELNS0_4arch9wavefront6targetE1EEEvT1_,@function
_ZN7rocprim17ROCPRIM_400000_NS6detail17trampoline_kernelINS0_14default_configENS1_25transform_config_selectorImLb1EEEZNS1_14transform_implILb1ES3_S5_PmPlNS0_8identityIvEEEE10hipError_tT2_T3_mT4_P12ihipStream_tbEUlT_E_NS1_11comp_targetILNS1_3genE9ELNS1_11target_archE1100ELNS1_3gpuE3ELNS1_3repE0EEENS1_30default_config_static_selectorELNS0_4arch9wavefront6targetE1EEEvT1_: ; @_ZN7rocprim17ROCPRIM_400000_NS6detail17trampoline_kernelINS0_14default_configENS1_25transform_config_selectorImLb1EEEZNS1_14transform_implILb1ES3_S5_PmPlNS0_8identityIvEEEE10hipError_tT2_T3_mT4_P12ihipStream_tbEUlT_E_NS1_11comp_targetILNS1_3genE9ELNS1_11target_archE1100ELNS1_3gpuE3ELNS1_3repE0EEENS1_30default_config_static_selectorELNS0_4arch9wavefront6targetE1EEEvT1_
; %bb.0:
	.section	.rodata,"a",@progbits
	.p2align	6, 0x0
	.amdhsa_kernel _ZN7rocprim17ROCPRIM_400000_NS6detail17trampoline_kernelINS0_14default_configENS1_25transform_config_selectorImLb1EEEZNS1_14transform_implILb1ES3_S5_PmPlNS0_8identityIvEEEE10hipError_tT2_T3_mT4_P12ihipStream_tbEUlT_E_NS1_11comp_targetILNS1_3genE9ELNS1_11target_archE1100ELNS1_3gpuE3ELNS1_3repE0EEENS1_30default_config_static_selectorELNS0_4arch9wavefront6targetE1EEEvT1_
		.amdhsa_group_segment_fixed_size 0
		.amdhsa_private_segment_fixed_size 0
		.amdhsa_kernarg_size 40
		.amdhsa_user_sgpr_count 6
		.amdhsa_user_sgpr_private_segment_buffer 1
		.amdhsa_user_sgpr_dispatch_ptr 0
		.amdhsa_user_sgpr_queue_ptr 0
		.amdhsa_user_sgpr_kernarg_segment_ptr 1
		.amdhsa_user_sgpr_dispatch_id 0
		.amdhsa_user_sgpr_flat_scratch_init 0
		.amdhsa_user_sgpr_kernarg_preload_length 0
		.amdhsa_user_sgpr_kernarg_preload_offset 0
		.amdhsa_user_sgpr_private_segment_size 0
		.amdhsa_uses_dynamic_stack 0
		.amdhsa_system_sgpr_private_segment_wavefront_offset 0
		.amdhsa_system_sgpr_workgroup_id_x 1
		.amdhsa_system_sgpr_workgroup_id_y 0
		.amdhsa_system_sgpr_workgroup_id_z 0
		.amdhsa_system_sgpr_workgroup_info 0
		.amdhsa_system_vgpr_workitem_id 0
		.amdhsa_next_free_vgpr 1
		.amdhsa_next_free_sgpr 0
		.amdhsa_accum_offset 4
		.amdhsa_reserve_vcc 0
		.amdhsa_reserve_flat_scratch 0
		.amdhsa_float_round_mode_32 0
		.amdhsa_float_round_mode_16_64 0
		.amdhsa_float_denorm_mode_32 3
		.amdhsa_float_denorm_mode_16_64 3
		.amdhsa_dx10_clamp 1
		.amdhsa_ieee_mode 1
		.amdhsa_fp16_overflow 0
		.amdhsa_tg_split 0
		.amdhsa_exception_fp_ieee_invalid_op 0
		.amdhsa_exception_fp_denorm_src 0
		.amdhsa_exception_fp_ieee_div_zero 0
		.amdhsa_exception_fp_ieee_overflow 0
		.amdhsa_exception_fp_ieee_underflow 0
		.amdhsa_exception_fp_ieee_inexact 0
		.amdhsa_exception_int_div_zero 0
	.end_amdhsa_kernel
	.section	.text._ZN7rocprim17ROCPRIM_400000_NS6detail17trampoline_kernelINS0_14default_configENS1_25transform_config_selectorImLb1EEEZNS1_14transform_implILb1ES3_S5_PmPlNS0_8identityIvEEEE10hipError_tT2_T3_mT4_P12ihipStream_tbEUlT_E_NS1_11comp_targetILNS1_3genE9ELNS1_11target_archE1100ELNS1_3gpuE3ELNS1_3repE0EEENS1_30default_config_static_selectorELNS0_4arch9wavefront6targetE1EEEvT1_,"axG",@progbits,_ZN7rocprim17ROCPRIM_400000_NS6detail17trampoline_kernelINS0_14default_configENS1_25transform_config_selectorImLb1EEEZNS1_14transform_implILb1ES3_S5_PmPlNS0_8identityIvEEEE10hipError_tT2_T3_mT4_P12ihipStream_tbEUlT_E_NS1_11comp_targetILNS1_3genE9ELNS1_11target_archE1100ELNS1_3gpuE3ELNS1_3repE0EEENS1_30default_config_static_selectorELNS0_4arch9wavefront6targetE1EEEvT1_,comdat
.Lfunc_end118:
	.size	_ZN7rocprim17ROCPRIM_400000_NS6detail17trampoline_kernelINS0_14default_configENS1_25transform_config_selectorImLb1EEEZNS1_14transform_implILb1ES3_S5_PmPlNS0_8identityIvEEEE10hipError_tT2_T3_mT4_P12ihipStream_tbEUlT_E_NS1_11comp_targetILNS1_3genE9ELNS1_11target_archE1100ELNS1_3gpuE3ELNS1_3repE0EEENS1_30default_config_static_selectorELNS0_4arch9wavefront6targetE1EEEvT1_, .Lfunc_end118-_ZN7rocprim17ROCPRIM_400000_NS6detail17trampoline_kernelINS0_14default_configENS1_25transform_config_selectorImLb1EEEZNS1_14transform_implILb1ES3_S5_PmPlNS0_8identityIvEEEE10hipError_tT2_T3_mT4_P12ihipStream_tbEUlT_E_NS1_11comp_targetILNS1_3genE9ELNS1_11target_archE1100ELNS1_3gpuE3ELNS1_3repE0EEENS1_30default_config_static_selectorELNS0_4arch9wavefront6targetE1EEEvT1_
                                        ; -- End function
	.section	.AMDGPU.csdata,"",@progbits
; Kernel info:
; codeLenInByte = 0
; NumSgprs: 4
; NumVgprs: 0
; NumAgprs: 0
; TotalNumVgprs: 0
; ScratchSize: 0
; MemoryBound: 0
; FloatMode: 240
; IeeeMode: 1
; LDSByteSize: 0 bytes/workgroup (compile time only)
; SGPRBlocks: 0
; VGPRBlocks: 0
; NumSGPRsForWavesPerEU: 4
; NumVGPRsForWavesPerEU: 1
; AccumOffset: 4
; Occupancy: 8
; WaveLimiterHint : 0
; COMPUTE_PGM_RSRC2:SCRATCH_EN: 0
; COMPUTE_PGM_RSRC2:USER_SGPR: 6
; COMPUTE_PGM_RSRC2:TRAP_HANDLER: 0
; COMPUTE_PGM_RSRC2:TGID_X_EN: 1
; COMPUTE_PGM_RSRC2:TGID_Y_EN: 0
; COMPUTE_PGM_RSRC2:TGID_Z_EN: 0
; COMPUTE_PGM_RSRC2:TIDIG_COMP_CNT: 0
; COMPUTE_PGM_RSRC3_GFX90A:ACCUM_OFFSET: 0
; COMPUTE_PGM_RSRC3_GFX90A:TG_SPLIT: 0
	.section	.text._ZN7rocprim17ROCPRIM_400000_NS6detail17trampoline_kernelINS0_14default_configENS1_25transform_config_selectorImLb1EEEZNS1_14transform_implILb1ES3_S5_PmPlNS0_8identityIvEEEE10hipError_tT2_T3_mT4_P12ihipStream_tbEUlT_E_NS1_11comp_targetILNS1_3genE8ELNS1_11target_archE1030ELNS1_3gpuE2ELNS1_3repE0EEENS1_30default_config_static_selectorELNS0_4arch9wavefront6targetE1EEEvT1_,"axG",@progbits,_ZN7rocprim17ROCPRIM_400000_NS6detail17trampoline_kernelINS0_14default_configENS1_25transform_config_selectorImLb1EEEZNS1_14transform_implILb1ES3_S5_PmPlNS0_8identityIvEEEE10hipError_tT2_T3_mT4_P12ihipStream_tbEUlT_E_NS1_11comp_targetILNS1_3genE8ELNS1_11target_archE1030ELNS1_3gpuE2ELNS1_3repE0EEENS1_30default_config_static_selectorELNS0_4arch9wavefront6targetE1EEEvT1_,comdat
	.protected	_ZN7rocprim17ROCPRIM_400000_NS6detail17trampoline_kernelINS0_14default_configENS1_25transform_config_selectorImLb1EEEZNS1_14transform_implILb1ES3_S5_PmPlNS0_8identityIvEEEE10hipError_tT2_T3_mT4_P12ihipStream_tbEUlT_E_NS1_11comp_targetILNS1_3genE8ELNS1_11target_archE1030ELNS1_3gpuE2ELNS1_3repE0EEENS1_30default_config_static_selectorELNS0_4arch9wavefront6targetE1EEEvT1_ ; -- Begin function _ZN7rocprim17ROCPRIM_400000_NS6detail17trampoline_kernelINS0_14default_configENS1_25transform_config_selectorImLb1EEEZNS1_14transform_implILb1ES3_S5_PmPlNS0_8identityIvEEEE10hipError_tT2_T3_mT4_P12ihipStream_tbEUlT_E_NS1_11comp_targetILNS1_3genE8ELNS1_11target_archE1030ELNS1_3gpuE2ELNS1_3repE0EEENS1_30default_config_static_selectorELNS0_4arch9wavefront6targetE1EEEvT1_
	.globl	_ZN7rocprim17ROCPRIM_400000_NS6detail17trampoline_kernelINS0_14default_configENS1_25transform_config_selectorImLb1EEEZNS1_14transform_implILb1ES3_S5_PmPlNS0_8identityIvEEEE10hipError_tT2_T3_mT4_P12ihipStream_tbEUlT_E_NS1_11comp_targetILNS1_3genE8ELNS1_11target_archE1030ELNS1_3gpuE2ELNS1_3repE0EEENS1_30default_config_static_selectorELNS0_4arch9wavefront6targetE1EEEvT1_
	.p2align	8
	.type	_ZN7rocprim17ROCPRIM_400000_NS6detail17trampoline_kernelINS0_14default_configENS1_25transform_config_selectorImLb1EEEZNS1_14transform_implILb1ES3_S5_PmPlNS0_8identityIvEEEE10hipError_tT2_T3_mT4_P12ihipStream_tbEUlT_E_NS1_11comp_targetILNS1_3genE8ELNS1_11target_archE1030ELNS1_3gpuE2ELNS1_3repE0EEENS1_30default_config_static_selectorELNS0_4arch9wavefront6targetE1EEEvT1_,@function
_ZN7rocprim17ROCPRIM_400000_NS6detail17trampoline_kernelINS0_14default_configENS1_25transform_config_selectorImLb1EEEZNS1_14transform_implILb1ES3_S5_PmPlNS0_8identityIvEEEE10hipError_tT2_T3_mT4_P12ihipStream_tbEUlT_E_NS1_11comp_targetILNS1_3genE8ELNS1_11target_archE1030ELNS1_3gpuE2ELNS1_3repE0EEENS1_30default_config_static_selectorELNS0_4arch9wavefront6targetE1EEEvT1_: ; @_ZN7rocprim17ROCPRIM_400000_NS6detail17trampoline_kernelINS0_14default_configENS1_25transform_config_selectorImLb1EEEZNS1_14transform_implILb1ES3_S5_PmPlNS0_8identityIvEEEE10hipError_tT2_T3_mT4_P12ihipStream_tbEUlT_E_NS1_11comp_targetILNS1_3genE8ELNS1_11target_archE1030ELNS1_3gpuE2ELNS1_3repE0EEENS1_30default_config_static_selectorELNS0_4arch9wavefront6targetE1EEEvT1_
; %bb.0:
	.section	.rodata,"a",@progbits
	.p2align	6, 0x0
	.amdhsa_kernel _ZN7rocprim17ROCPRIM_400000_NS6detail17trampoline_kernelINS0_14default_configENS1_25transform_config_selectorImLb1EEEZNS1_14transform_implILb1ES3_S5_PmPlNS0_8identityIvEEEE10hipError_tT2_T3_mT4_P12ihipStream_tbEUlT_E_NS1_11comp_targetILNS1_3genE8ELNS1_11target_archE1030ELNS1_3gpuE2ELNS1_3repE0EEENS1_30default_config_static_selectorELNS0_4arch9wavefront6targetE1EEEvT1_
		.amdhsa_group_segment_fixed_size 0
		.amdhsa_private_segment_fixed_size 0
		.amdhsa_kernarg_size 40
		.amdhsa_user_sgpr_count 6
		.amdhsa_user_sgpr_private_segment_buffer 1
		.amdhsa_user_sgpr_dispatch_ptr 0
		.amdhsa_user_sgpr_queue_ptr 0
		.amdhsa_user_sgpr_kernarg_segment_ptr 1
		.amdhsa_user_sgpr_dispatch_id 0
		.amdhsa_user_sgpr_flat_scratch_init 0
		.amdhsa_user_sgpr_kernarg_preload_length 0
		.amdhsa_user_sgpr_kernarg_preload_offset 0
		.amdhsa_user_sgpr_private_segment_size 0
		.amdhsa_uses_dynamic_stack 0
		.amdhsa_system_sgpr_private_segment_wavefront_offset 0
		.amdhsa_system_sgpr_workgroup_id_x 1
		.amdhsa_system_sgpr_workgroup_id_y 0
		.amdhsa_system_sgpr_workgroup_id_z 0
		.amdhsa_system_sgpr_workgroup_info 0
		.amdhsa_system_vgpr_workitem_id 0
		.amdhsa_next_free_vgpr 1
		.amdhsa_next_free_sgpr 0
		.amdhsa_accum_offset 4
		.amdhsa_reserve_vcc 0
		.amdhsa_reserve_flat_scratch 0
		.amdhsa_float_round_mode_32 0
		.amdhsa_float_round_mode_16_64 0
		.amdhsa_float_denorm_mode_32 3
		.amdhsa_float_denorm_mode_16_64 3
		.amdhsa_dx10_clamp 1
		.amdhsa_ieee_mode 1
		.amdhsa_fp16_overflow 0
		.amdhsa_tg_split 0
		.amdhsa_exception_fp_ieee_invalid_op 0
		.amdhsa_exception_fp_denorm_src 0
		.amdhsa_exception_fp_ieee_div_zero 0
		.amdhsa_exception_fp_ieee_overflow 0
		.amdhsa_exception_fp_ieee_underflow 0
		.amdhsa_exception_fp_ieee_inexact 0
		.amdhsa_exception_int_div_zero 0
	.end_amdhsa_kernel
	.section	.text._ZN7rocprim17ROCPRIM_400000_NS6detail17trampoline_kernelINS0_14default_configENS1_25transform_config_selectorImLb1EEEZNS1_14transform_implILb1ES3_S5_PmPlNS0_8identityIvEEEE10hipError_tT2_T3_mT4_P12ihipStream_tbEUlT_E_NS1_11comp_targetILNS1_3genE8ELNS1_11target_archE1030ELNS1_3gpuE2ELNS1_3repE0EEENS1_30default_config_static_selectorELNS0_4arch9wavefront6targetE1EEEvT1_,"axG",@progbits,_ZN7rocprim17ROCPRIM_400000_NS6detail17trampoline_kernelINS0_14default_configENS1_25transform_config_selectorImLb1EEEZNS1_14transform_implILb1ES3_S5_PmPlNS0_8identityIvEEEE10hipError_tT2_T3_mT4_P12ihipStream_tbEUlT_E_NS1_11comp_targetILNS1_3genE8ELNS1_11target_archE1030ELNS1_3gpuE2ELNS1_3repE0EEENS1_30default_config_static_selectorELNS0_4arch9wavefront6targetE1EEEvT1_,comdat
.Lfunc_end119:
	.size	_ZN7rocprim17ROCPRIM_400000_NS6detail17trampoline_kernelINS0_14default_configENS1_25transform_config_selectorImLb1EEEZNS1_14transform_implILb1ES3_S5_PmPlNS0_8identityIvEEEE10hipError_tT2_T3_mT4_P12ihipStream_tbEUlT_E_NS1_11comp_targetILNS1_3genE8ELNS1_11target_archE1030ELNS1_3gpuE2ELNS1_3repE0EEENS1_30default_config_static_selectorELNS0_4arch9wavefront6targetE1EEEvT1_, .Lfunc_end119-_ZN7rocprim17ROCPRIM_400000_NS6detail17trampoline_kernelINS0_14default_configENS1_25transform_config_selectorImLb1EEEZNS1_14transform_implILb1ES3_S5_PmPlNS0_8identityIvEEEE10hipError_tT2_T3_mT4_P12ihipStream_tbEUlT_E_NS1_11comp_targetILNS1_3genE8ELNS1_11target_archE1030ELNS1_3gpuE2ELNS1_3repE0EEENS1_30default_config_static_selectorELNS0_4arch9wavefront6targetE1EEEvT1_
                                        ; -- End function
	.section	.AMDGPU.csdata,"",@progbits
; Kernel info:
; codeLenInByte = 0
; NumSgprs: 4
; NumVgprs: 0
; NumAgprs: 0
; TotalNumVgprs: 0
; ScratchSize: 0
; MemoryBound: 0
; FloatMode: 240
; IeeeMode: 1
; LDSByteSize: 0 bytes/workgroup (compile time only)
; SGPRBlocks: 0
; VGPRBlocks: 0
; NumSGPRsForWavesPerEU: 4
; NumVGPRsForWavesPerEU: 1
; AccumOffset: 4
; Occupancy: 8
; WaveLimiterHint : 0
; COMPUTE_PGM_RSRC2:SCRATCH_EN: 0
; COMPUTE_PGM_RSRC2:USER_SGPR: 6
; COMPUTE_PGM_RSRC2:TRAP_HANDLER: 0
; COMPUTE_PGM_RSRC2:TGID_X_EN: 1
; COMPUTE_PGM_RSRC2:TGID_Y_EN: 0
; COMPUTE_PGM_RSRC2:TGID_Z_EN: 0
; COMPUTE_PGM_RSRC2:TIDIG_COMP_CNT: 0
; COMPUTE_PGM_RSRC3_GFX90A:ACCUM_OFFSET: 0
; COMPUTE_PGM_RSRC3_GFX90A:TG_SPLIT: 0
	.section	.text._ZN7rocprim17ROCPRIM_400000_NS6detail31init_lookback_scan_state_kernelINS1_19lookback_scan_stateImLb1ELb1EEENS1_16block_id_wrapperIjLb1EEEEEvT_jT0_jPNS7_10value_typeE,"axG",@progbits,_ZN7rocprim17ROCPRIM_400000_NS6detail31init_lookback_scan_state_kernelINS1_19lookback_scan_stateImLb1ELb1EEENS1_16block_id_wrapperIjLb1EEEEEvT_jT0_jPNS7_10value_typeE,comdat
	.protected	_ZN7rocprim17ROCPRIM_400000_NS6detail31init_lookback_scan_state_kernelINS1_19lookback_scan_stateImLb1ELb1EEENS1_16block_id_wrapperIjLb1EEEEEvT_jT0_jPNS7_10value_typeE ; -- Begin function _ZN7rocprim17ROCPRIM_400000_NS6detail31init_lookback_scan_state_kernelINS1_19lookback_scan_stateImLb1ELb1EEENS1_16block_id_wrapperIjLb1EEEEEvT_jT0_jPNS7_10value_typeE
	.globl	_ZN7rocprim17ROCPRIM_400000_NS6detail31init_lookback_scan_state_kernelINS1_19lookback_scan_stateImLb1ELb1EEENS1_16block_id_wrapperIjLb1EEEEEvT_jT0_jPNS7_10value_typeE
	.p2align	8
	.type	_ZN7rocprim17ROCPRIM_400000_NS6detail31init_lookback_scan_state_kernelINS1_19lookback_scan_stateImLb1ELb1EEENS1_16block_id_wrapperIjLb1EEEEEvT_jT0_jPNS7_10value_typeE,@function
_ZN7rocprim17ROCPRIM_400000_NS6detail31init_lookback_scan_state_kernelINS1_19lookback_scan_stateImLb1ELb1EEENS1_16block_id_wrapperIjLb1EEEEEvT_jT0_jPNS7_10value_typeE: ; @_ZN7rocprim17ROCPRIM_400000_NS6detail31init_lookback_scan_state_kernelINS1_19lookback_scan_stateImLb1ELb1EEENS1_16block_id_wrapperIjLb1EEEEEvT_jT0_jPNS7_10value_typeE
; %bb.0:
	s_load_dword s7, s[4:5], 0x34
	s_load_dwordx2 s[2:3], s[4:5], 0x20
	s_load_dwordx2 s[0:1], s[4:5], 0x0
	s_load_dword s14, s[4:5], 0x8
	s_waitcnt lgkmcnt(0)
	s_and_b32 s7, s7, 0xffff
	s_mul_i32 s6, s6, s7
	s_cmp_eq_u64 s[2:3], 0
	v_add_u32_e32 v0, s6, v0
	s_cbranch_scc1 .LBB120_10
; %bb.1:
	s_load_dword s8, s[4:5], 0x18
	s_mov_b32 s9, 0
	s_waitcnt lgkmcnt(0)
	s_cmp_lt_u32 s8, s14
	s_cselect_b32 s6, s8, 0
	v_cmp_eq_u32_e32 vcc, s6, v0
	s_and_saveexec_b64 s[6:7], vcc
	s_cbranch_execz .LBB120_9
; %bb.2:
	s_add_i32 s8, s8, 64
	s_lshl_b64 s[8:9], s[8:9], 4
	s_add_u32 s12, s0, s8
	s_addc_u32 s13, s1, s9
	v_pk_mov_b32 v[2:3], s[12:13], s[12:13] op_sel:[0,1]
	;;#ASMSTART
	global_load_dwordx4 v[2:5], v[2:3] off glc	
s_waitcnt vmcnt(0)
	;;#ASMEND
	v_mov_b32_e32 v7, 0
	v_and_b32_e32 v6, 0xff, v4
	s_mov_b64 s[10:11], 0
	v_cmp_eq_u64_e32 vcc, 0, v[6:7]
	s_and_saveexec_b64 s[8:9], vcc
	s_cbranch_execz .LBB120_8
; %bb.3:
	s_mov_b32 s15, 1
	v_pk_mov_b32 v[8:9], s[12:13], s[12:13] op_sel:[0,1]
.LBB120_4:                              ; =>This Loop Header: Depth=1
                                        ;     Child Loop BB120_5 Depth 2
	s_max_u32 s12, s15, 1
.LBB120_5:                              ;   Parent Loop BB120_4 Depth=1
                                        ; =>  This Inner Loop Header: Depth=2
	s_add_i32 s12, s12, -1
	s_cmp_eq_u32 s12, 0
	s_sleep 1
	s_cbranch_scc0 .LBB120_5
; %bb.6:                                ;   in Loop: Header=BB120_4 Depth=1
	s_cmp_lt_u32 s15, 32
	s_cselect_b64 s[12:13], -1, 0
	s_cmp_lg_u64 s[12:13], 0
	;;#ASMSTART
	global_load_dwordx4 v[2:5], v[8:9] off glc	
s_waitcnt vmcnt(0)
	;;#ASMEND
	v_and_b32_e32 v6, 0xff, v4
	s_addc_u32 s15, s15, 0
	v_cmp_ne_u64_e32 vcc, 0, v[6:7]
	s_or_b64 s[10:11], vcc, s[10:11]
	s_andn2_b64 exec, exec, s[10:11]
	s_cbranch_execnz .LBB120_4
; %bb.7:
	s_or_b64 exec, exec, s[10:11]
.LBB120_8:
	s_or_b64 exec, exec, s[8:9]
	v_mov_b32_e32 v1, 0
	global_store_dwordx2 v1, v[2:3], s[2:3]
.LBB120_9:
	s_or_b64 exec, exec, s[6:7]
.LBB120_10:
	v_cmp_eq_u32_e32 vcc, 0, v0
	s_and_saveexec_b64 s[2:3], vcc
	s_cbranch_execnz .LBB120_14
; %bb.11:
	s_or_b64 exec, exec, s[2:3]
	v_cmp_gt_u32_e32 vcc, s14, v0
	s_and_saveexec_b64 s[2:3], vcc
	s_cbranch_execnz .LBB120_15
.LBB120_12:
	s_or_b64 exec, exec, s[2:3]
	v_cmp_gt_u32_e32 vcc, 64, v0
	s_and_saveexec_b64 s[2:3], vcc
	s_cbranch_execnz .LBB120_16
.LBB120_13:
	s_endpgm
.LBB120_14:
	s_load_dwordx2 s[4:5], s[4:5], 0x10
	v_mov_b32_e32 v1, 0
	s_waitcnt lgkmcnt(0)
	global_store_dword v1, v1, s[4:5]
	s_or_b64 exec, exec, s[2:3]
	v_cmp_gt_u32_e32 vcc, s14, v0
	s_and_saveexec_b64 s[2:3], vcc
	s_cbranch_execz .LBB120_12
.LBB120_15:
	v_add_u32_e32 v2, 64, v0
	v_mov_b32_e32 v3, 0
	v_lshlrev_b64 v[4:5], 4, v[2:3]
	v_mov_b32_e32 v1, s1
	v_add_co_u32_e32 v6, vcc, s0, v4
	v_addc_co_u32_e32 v7, vcc, v1, v5, vcc
	v_mov_b32_e32 v2, v3
	v_mov_b32_e32 v4, v3
	;; [unrolled: 1-line block ×3, first 2 shown]
	global_store_dwordx4 v[6:7], v[2:5], off
	s_or_b64 exec, exec, s[2:3]
	v_cmp_gt_u32_e32 vcc, 64, v0
	s_and_saveexec_b64 s[2:3], vcc
	s_cbranch_execz .LBB120_13
.LBB120_16:
	v_mov_b32_e32 v1, 0
	v_lshlrev_b64 v[2:3], 4, v[0:1]
	v_mov_b32_e32 v0, s1
	v_add_co_u32_e32 v4, vcc, s0, v2
	v_addc_co_u32_e32 v5, vcc, v0, v3, vcc
	v_mov_b32_e32 v2, 0xff
	v_mov_b32_e32 v0, v1
	;; [unrolled: 1-line block ×3, first 2 shown]
	global_store_dwordx4 v[4:5], v[0:3], off
	s_endpgm
	.section	.rodata,"a",@progbits
	.p2align	6, 0x0
	.amdhsa_kernel _ZN7rocprim17ROCPRIM_400000_NS6detail31init_lookback_scan_state_kernelINS1_19lookback_scan_stateImLb1ELb1EEENS1_16block_id_wrapperIjLb1EEEEEvT_jT0_jPNS7_10value_typeE
		.amdhsa_group_segment_fixed_size 0
		.amdhsa_private_segment_fixed_size 0
		.amdhsa_kernarg_size 296
		.amdhsa_user_sgpr_count 6
		.amdhsa_user_sgpr_private_segment_buffer 1
		.amdhsa_user_sgpr_dispatch_ptr 0
		.amdhsa_user_sgpr_queue_ptr 0
		.amdhsa_user_sgpr_kernarg_segment_ptr 1
		.amdhsa_user_sgpr_dispatch_id 0
		.amdhsa_user_sgpr_flat_scratch_init 0
		.amdhsa_user_sgpr_kernarg_preload_length 0
		.amdhsa_user_sgpr_kernarg_preload_offset 0
		.amdhsa_user_sgpr_private_segment_size 0
		.amdhsa_uses_dynamic_stack 0
		.amdhsa_system_sgpr_private_segment_wavefront_offset 0
		.amdhsa_system_sgpr_workgroup_id_x 1
		.amdhsa_system_sgpr_workgroup_id_y 0
		.amdhsa_system_sgpr_workgroup_id_z 0
		.amdhsa_system_sgpr_workgroup_info 0
		.amdhsa_system_vgpr_workitem_id 0
		.amdhsa_next_free_vgpr 10
		.amdhsa_next_free_sgpr 16
		.amdhsa_accum_offset 12
		.amdhsa_reserve_vcc 1
		.amdhsa_reserve_flat_scratch 0
		.amdhsa_float_round_mode_32 0
		.amdhsa_float_round_mode_16_64 0
		.amdhsa_float_denorm_mode_32 3
		.amdhsa_float_denorm_mode_16_64 3
		.amdhsa_dx10_clamp 1
		.amdhsa_ieee_mode 1
		.amdhsa_fp16_overflow 0
		.amdhsa_tg_split 0
		.amdhsa_exception_fp_ieee_invalid_op 0
		.amdhsa_exception_fp_denorm_src 0
		.amdhsa_exception_fp_ieee_div_zero 0
		.amdhsa_exception_fp_ieee_overflow 0
		.amdhsa_exception_fp_ieee_underflow 0
		.amdhsa_exception_fp_ieee_inexact 0
		.amdhsa_exception_int_div_zero 0
	.end_amdhsa_kernel
	.section	.text._ZN7rocprim17ROCPRIM_400000_NS6detail31init_lookback_scan_state_kernelINS1_19lookback_scan_stateImLb1ELb1EEENS1_16block_id_wrapperIjLb1EEEEEvT_jT0_jPNS7_10value_typeE,"axG",@progbits,_ZN7rocprim17ROCPRIM_400000_NS6detail31init_lookback_scan_state_kernelINS1_19lookback_scan_stateImLb1ELb1EEENS1_16block_id_wrapperIjLb1EEEEEvT_jT0_jPNS7_10value_typeE,comdat
.Lfunc_end120:
	.size	_ZN7rocprim17ROCPRIM_400000_NS6detail31init_lookback_scan_state_kernelINS1_19lookback_scan_stateImLb1ELb1EEENS1_16block_id_wrapperIjLb1EEEEEvT_jT0_jPNS7_10value_typeE, .Lfunc_end120-_ZN7rocprim17ROCPRIM_400000_NS6detail31init_lookback_scan_state_kernelINS1_19lookback_scan_stateImLb1ELb1EEENS1_16block_id_wrapperIjLb1EEEEEvT_jT0_jPNS7_10value_typeE
                                        ; -- End function
	.section	.AMDGPU.csdata,"",@progbits
; Kernel info:
; codeLenInByte = 480
; NumSgprs: 20
; NumVgprs: 10
; NumAgprs: 0
; TotalNumVgprs: 10
; ScratchSize: 0
; MemoryBound: 0
; FloatMode: 240
; IeeeMode: 1
; LDSByteSize: 0 bytes/workgroup (compile time only)
; SGPRBlocks: 2
; VGPRBlocks: 1
; NumSGPRsForWavesPerEU: 20
; NumVGPRsForWavesPerEU: 10
; AccumOffset: 12
; Occupancy: 8
; WaveLimiterHint : 0
; COMPUTE_PGM_RSRC2:SCRATCH_EN: 0
; COMPUTE_PGM_RSRC2:USER_SGPR: 6
; COMPUTE_PGM_RSRC2:TRAP_HANDLER: 0
; COMPUTE_PGM_RSRC2:TGID_X_EN: 1
; COMPUTE_PGM_RSRC2:TGID_Y_EN: 0
; COMPUTE_PGM_RSRC2:TGID_Z_EN: 0
; COMPUTE_PGM_RSRC2:TIDIG_COMP_CNT: 0
; COMPUTE_PGM_RSRC3_GFX90A:ACCUM_OFFSET: 2
; COMPUTE_PGM_RSRC3_GFX90A:TG_SPLIT: 0
	.section	.text._ZN7rocprim17ROCPRIM_400000_NS6detail17trampoline_kernelINS0_14default_configENS1_25partition_config_selectorILNS1_17partition_subalgoE5EiNS0_10empty_typeEbEEZZNS1_14partition_implILS5_5ELb0ES3_mPiPS6_N6thrust23THRUST_200600_302600_NS18transform_iteratorINSC_6detail9not_fun_tIN6dUtils8isNotOneIiEEEES9_NSC_11use_defaultESK_EENS0_5tupleIJS9_S6_EEENSM_IJSA_SA_EEES6_PlJS6_EEE10hipError_tPvRmT3_T4_T5_T6_T7_T9_mT8_P12ihipStream_tbDpT10_ENKUlT_T0_E_clISt17integral_constantIbLb1EES19_EEDaS14_S15_EUlS14_E_NS1_11comp_targetILNS1_3genE0ELNS1_11target_archE4294967295ELNS1_3gpuE0ELNS1_3repE0EEENS1_30default_config_static_selectorELNS0_4arch9wavefront6targetE1EEEvT1_,"axG",@progbits,_ZN7rocprim17ROCPRIM_400000_NS6detail17trampoline_kernelINS0_14default_configENS1_25partition_config_selectorILNS1_17partition_subalgoE5EiNS0_10empty_typeEbEEZZNS1_14partition_implILS5_5ELb0ES3_mPiPS6_N6thrust23THRUST_200600_302600_NS18transform_iteratorINSC_6detail9not_fun_tIN6dUtils8isNotOneIiEEEES9_NSC_11use_defaultESK_EENS0_5tupleIJS9_S6_EEENSM_IJSA_SA_EEES6_PlJS6_EEE10hipError_tPvRmT3_T4_T5_T6_T7_T9_mT8_P12ihipStream_tbDpT10_ENKUlT_T0_E_clISt17integral_constantIbLb1EES19_EEDaS14_S15_EUlS14_E_NS1_11comp_targetILNS1_3genE0ELNS1_11target_archE4294967295ELNS1_3gpuE0ELNS1_3repE0EEENS1_30default_config_static_selectorELNS0_4arch9wavefront6targetE1EEEvT1_,comdat
	.protected	_ZN7rocprim17ROCPRIM_400000_NS6detail17trampoline_kernelINS0_14default_configENS1_25partition_config_selectorILNS1_17partition_subalgoE5EiNS0_10empty_typeEbEEZZNS1_14partition_implILS5_5ELb0ES3_mPiPS6_N6thrust23THRUST_200600_302600_NS18transform_iteratorINSC_6detail9not_fun_tIN6dUtils8isNotOneIiEEEES9_NSC_11use_defaultESK_EENS0_5tupleIJS9_S6_EEENSM_IJSA_SA_EEES6_PlJS6_EEE10hipError_tPvRmT3_T4_T5_T6_T7_T9_mT8_P12ihipStream_tbDpT10_ENKUlT_T0_E_clISt17integral_constantIbLb1EES19_EEDaS14_S15_EUlS14_E_NS1_11comp_targetILNS1_3genE0ELNS1_11target_archE4294967295ELNS1_3gpuE0ELNS1_3repE0EEENS1_30default_config_static_selectorELNS0_4arch9wavefront6targetE1EEEvT1_ ; -- Begin function _ZN7rocprim17ROCPRIM_400000_NS6detail17trampoline_kernelINS0_14default_configENS1_25partition_config_selectorILNS1_17partition_subalgoE5EiNS0_10empty_typeEbEEZZNS1_14partition_implILS5_5ELb0ES3_mPiPS6_N6thrust23THRUST_200600_302600_NS18transform_iteratorINSC_6detail9not_fun_tIN6dUtils8isNotOneIiEEEES9_NSC_11use_defaultESK_EENS0_5tupleIJS9_S6_EEENSM_IJSA_SA_EEES6_PlJS6_EEE10hipError_tPvRmT3_T4_T5_T6_T7_T9_mT8_P12ihipStream_tbDpT10_ENKUlT_T0_E_clISt17integral_constantIbLb1EES19_EEDaS14_S15_EUlS14_E_NS1_11comp_targetILNS1_3genE0ELNS1_11target_archE4294967295ELNS1_3gpuE0ELNS1_3repE0EEENS1_30default_config_static_selectorELNS0_4arch9wavefront6targetE1EEEvT1_
	.globl	_ZN7rocprim17ROCPRIM_400000_NS6detail17trampoline_kernelINS0_14default_configENS1_25partition_config_selectorILNS1_17partition_subalgoE5EiNS0_10empty_typeEbEEZZNS1_14partition_implILS5_5ELb0ES3_mPiPS6_N6thrust23THRUST_200600_302600_NS18transform_iteratorINSC_6detail9not_fun_tIN6dUtils8isNotOneIiEEEES9_NSC_11use_defaultESK_EENS0_5tupleIJS9_S6_EEENSM_IJSA_SA_EEES6_PlJS6_EEE10hipError_tPvRmT3_T4_T5_T6_T7_T9_mT8_P12ihipStream_tbDpT10_ENKUlT_T0_E_clISt17integral_constantIbLb1EES19_EEDaS14_S15_EUlS14_E_NS1_11comp_targetILNS1_3genE0ELNS1_11target_archE4294967295ELNS1_3gpuE0ELNS1_3repE0EEENS1_30default_config_static_selectorELNS0_4arch9wavefront6targetE1EEEvT1_
	.p2align	8
	.type	_ZN7rocprim17ROCPRIM_400000_NS6detail17trampoline_kernelINS0_14default_configENS1_25partition_config_selectorILNS1_17partition_subalgoE5EiNS0_10empty_typeEbEEZZNS1_14partition_implILS5_5ELb0ES3_mPiPS6_N6thrust23THRUST_200600_302600_NS18transform_iteratorINSC_6detail9not_fun_tIN6dUtils8isNotOneIiEEEES9_NSC_11use_defaultESK_EENS0_5tupleIJS9_S6_EEENSM_IJSA_SA_EEES6_PlJS6_EEE10hipError_tPvRmT3_T4_T5_T6_T7_T9_mT8_P12ihipStream_tbDpT10_ENKUlT_T0_E_clISt17integral_constantIbLb1EES19_EEDaS14_S15_EUlS14_E_NS1_11comp_targetILNS1_3genE0ELNS1_11target_archE4294967295ELNS1_3gpuE0ELNS1_3repE0EEENS1_30default_config_static_selectorELNS0_4arch9wavefront6targetE1EEEvT1_,@function
_ZN7rocprim17ROCPRIM_400000_NS6detail17trampoline_kernelINS0_14default_configENS1_25partition_config_selectorILNS1_17partition_subalgoE5EiNS0_10empty_typeEbEEZZNS1_14partition_implILS5_5ELb0ES3_mPiPS6_N6thrust23THRUST_200600_302600_NS18transform_iteratorINSC_6detail9not_fun_tIN6dUtils8isNotOneIiEEEES9_NSC_11use_defaultESK_EENS0_5tupleIJS9_S6_EEENSM_IJSA_SA_EEES6_PlJS6_EEE10hipError_tPvRmT3_T4_T5_T6_T7_T9_mT8_P12ihipStream_tbDpT10_ENKUlT_T0_E_clISt17integral_constantIbLb1EES19_EEDaS14_S15_EUlS14_E_NS1_11comp_targetILNS1_3genE0ELNS1_11target_archE4294967295ELNS1_3gpuE0ELNS1_3repE0EEENS1_30default_config_static_selectorELNS0_4arch9wavefront6targetE1EEEvT1_: ; @_ZN7rocprim17ROCPRIM_400000_NS6detail17trampoline_kernelINS0_14default_configENS1_25partition_config_selectorILNS1_17partition_subalgoE5EiNS0_10empty_typeEbEEZZNS1_14partition_implILS5_5ELb0ES3_mPiPS6_N6thrust23THRUST_200600_302600_NS18transform_iteratorINSC_6detail9not_fun_tIN6dUtils8isNotOneIiEEEES9_NSC_11use_defaultESK_EENS0_5tupleIJS9_S6_EEENSM_IJSA_SA_EEES6_PlJS6_EEE10hipError_tPvRmT3_T4_T5_T6_T7_T9_mT8_P12ihipStream_tbDpT10_ENKUlT_T0_E_clISt17integral_constantIbLb1EES19_EEDaS14_S15_EUlS14_E_NS1_11comp_targetILNS1_3genE0ELNS1_11target_archE4294967295ELNS1_3gpuE0ELNS1_3repE0EEENS1_30default_config_static_selectorELNS0_4arch9wavefront6targetE1EEEvT1_
; %bb.0:
	.section	.rodata,"a",@progbits
	.p2align	6, 0x0
	.amdhsa_kernel _ZN7rocprim17ROCPRIM_400000_NS6detail17trampoline_kernelINS0_14default_configENS1_25partition_config_selectorILNS1_17partition_subalgoE5EiNS0_10empty_typeEbEEZZNS1_14partition_implILS5_5ELb0ES3_mPiPS6_N6thrust23THRUST_200600_302600_NS18transform_iteratorINSC_6detail9not_fun_tIN6dUtils8isNotOneIiEEEES9_NSC_11use_defaultESK_EENS0_5tupleIJS9_S6_EEENSM_IJSA_SA_EEES6_PlJS6_EEE10hipError_tPvRmT3_T4_T5_T6_T7_T9_mT8_P12ihipStream_tbDpT10_ENKUlT_T0_E_clISt17integral_constantIbLb1EES19_EEDaS14_S15_EUlS14_E_NS1_11comp_targetILNS1_3genE0ELNS1_11target_archE4294967295ELNS1_3gpuE0ELNS1_3repE0EEENS1_30default_config_static_selectorELNS0_4arch9wavefront6targetE1EEEvT1_
		.amdhsa_group_segment_fixed_size 0
		.amdhsa_private_segment_fixed_size 0
		.amdhsa_kernarg_size 136
		.amdhsa_user_sgpr_count 6
		.amdhsa_user_sgpr_private_segment_buffer 1
		.amdhsa_user_sgpr_dispatch_ptr 0
		.amdhsa_user_sgpr_queue_ptr 0
		.amdhsa_user_sgpr_kernarg_segment_ptr 1
		.amdhsa_user_sgpr_dispatch_id 0
		.amdhsa_user_sgpr_flat_scratch_init 0
		.amdhsa_user_sgpr_kernarg_preload_length 0
		.amdhsa_user_sgpr_kernarg_preload_offset 0
		.amdhsa_user_sgpr_private_segment_size 0
		.amdhsa_uses_dynamic_stack 0
		.amdhsa_system_sgpr_private_segment_wavefront_offset 0
		.amdhsa_system_sgpr_workgroup_id_x 1
		.amdhsa_system_sgpr_workgroup_id_y 0
		.amdhsa_system_sgpr_workgroup_id_z 0
		.amdhsa_system_sgpr_workgroup_info 0
		.amdhsa_system_vgpr_workitem_id 0
		.amdhsa_next_free_vgpr 1
		.amdhsa_next_free_sgpr 0
		.amdhsa_accum_offset 4
		.amdhsa_reserve_vcc 0
		.amdhsa_reserve_flat_scratch 0
		.amdhsa_float_round_mode_32 0
		.amdhsa_float_round_mode_16_64 0
		.amdhsa_float_denorm_mode_32 3
		.amdhsa_float_denorm_mode_16_64 3
		.amdhsa_dx10_clamp 1
		.amdhsa_ieee_mode 1
		.amdhsa_fp16_overflow 0
		.amdhsa_tg_split 0
		.amdhsa_exception_fp_ieee_invalid_op 0
		.amdhsa_exception_fp_denorm_src 0
		.amdhsa_exception_fp_ieee_div_zero 0
		.amdhsa_exception_fp_ieee_overflow 0
		.amdhsa_exception_fp_ieee_underflow 0
		.amdhsa_exception_fp_ieee_inexact 0
		.amdhsa_exception_int_div_zero 0
	.end_amdhsa_kernel
	.section	.text._ZN7rocprim17ROCPRIM_400000_NS6detail17trampoline_kernelINS0_14default_configENS1_25partition_config_selectorILNS1_17partition_subalgoE5EiNS0_10empty_typeEbEEZZNS1_14partition_implILS5_5ELb0ES3_mPiPS6_N6thrust23THRUST_200600_302600_NS18transform_iteratorINSC_6detail9not_fun_tIN6dUtils8isNotOneIiEEEES9_NSC_11use_defaultESK_EENS0_5tupleIJS9_S6_EEENSM_IJSA_SA_EEES6_PlJS6_EEE10hipError_tPvRmT3_T4_T5_T6_T7_T9_mT8_P12ihipStream_tbDpT10_ENKUlT_T0_E_clISt17integral_constantIbLb1EES19_EEDaS14_S15_EUlS14_E_NS1_11comp_targetILNS1_3genE0ELNS1_11target_archE4294967295ELNS1_3gpuE0ELNS1_3repE0EEENS1_30default_config_static_selectorELNS0_4arch9wavefront6targetE1EEEvT1_,"axG",@progbits,_ZN7rocprim17ROCPRIM_400000_NS6detail17trampoline_kernelINS0_14default_configENS1_25partition_config_selectorILNS1_17partition_subalgoE5EiNS0_10empty_typeEbEEZZNS1_14partition_implILS5_5ELb0ES3_mPiPS6_N6thrust23THRUST_200600_302600_NS18transform_iteratorINSC_6detail9not_fun_tIN6dUtils8isNotOneIiEEEES9_NSC_11use_defaultESK_EENS0_5tupleIJS9_S6_EEENSM_IJSA_SA_EEES6_PlJS6_EEE10hipError_tPvRmT3_T4_T5_T6_T7_T9_mT8_P12ihipStream_tbDpT10_ENKUlT_T0_E_clISt17integral_constantIbLb1EES19_EEDaS14_S15_EUlS14_E_NS1_11comp_targetILNS1_3genE0ELNS1_11target_archE4294967295ELNS1_3gpuE0ELNS1_3repE0EEENS1_30default_config_static_selectorELNS0_4arch9wavefront6targetE1EEEvT1_,comdat
.Lfunc_end121:
	.size	_ZN7rocprim17ROCPRIM_400000_NS6detail17trampoline_kernelINS0_14default_configENS1_25partition_config_selectorILNS1_17partition_subalgoE5EiNS0_10empty_typeEbEEZZNS1_14partition_implILS5_5ELb0ES3_mPiPS6_N6thrust23THRUST_200600_302600_NS18transform_iteratorINSC_6detail9not_fun_tIN6dUtils8isNotOneIiEEEES9_NSC_11use_defaultESK_EENS0_5tupleIJS9_S6_EEENSM_IJSA_SA_EEES6_PlJS6_EEE10hipError_tPvRmT3_T4_T5_T6_T7_T9_mT8_P12ihipStream_tbDpT10_ENKUlT_T0_E_clISt17integral_constantIbLb1EES19_EEDaS14_S15_EUlS14_E_NS1_11comp_targetILNS1_3genE0ELNS1_11target_archE4294967295ELNS1_3gpuE0ELNS1_3repE0EEENS1_30default_config_static_selectorELNS0_4arch9wavefront6targetE1EEEvT1_, .Lfunc_end121-_ZN7rocprim17ROCPRIM_400000_NS6detail17trampoline_kernelINS0_14default_configENS1_25partition_config_selectorILNS1_17partition_subalgoE5EiNS0_10empty_typeEbEEZZNS1_14partition_implILS5_5ELb0ES3_mPiPS6_N6thrust23THRUST_200600_302600_NS18transform_iteratorINSC_6detail9not_fun_tIN6dUtils8isNotOneIiEEEES9_NSC_11use_defaultESK_EENS0_5tupleIJS9_S6_EEENSM_IJSA_SA_EEES6_PlJS6_EEE10hipError_tPvRmT3_T4_T5_T6_T7_T9_mT8_P12ihipStream_tbDpT10_ENKUlT_T0_E_clISt17integral_constantIbLb1EES19_EEDaS14_S15_EUlS14_E_NS1_11comp_targetILNS1_3genE0ELNS1_11target_archE4294967295ELNS1_3gpuE0ELNS1_3repE0EEENS1_30default_config_static_selectorELNS0_4arch9wavefront6targetE1EEEvT1_
                                        ; -- End function
	.section	.AMDGPU.csdata,"",@progbits
; Kernel info:
; codeLenInByte = 0
; NumSgprs: 4
; NumVgprs: 0
; NumAgprs: 0
; TotalNumVgprs: 0
; ScratchSize: 0
; MemoryBound: 0
; FloatMode: 240
; IeeeMode: 1
; LDSByteSize: 0 bytes/workgroup (compile time only)
; SGPRBlocks: 0
; VGPRBlocks: 0
; NumSGPRsForWavesPerEU: 4
; NumVGPRsForWavesPerEU: 1
; AccumOffset: 4
; Occupancy: 8
; WaveLimiterHint : 0
; COMPUTE_PGM_RSRC2:SCRATCH_EN: 0
; COMPUTE_PGM_RSRC2:USER_SGPR: 6
; COMPUTE_PGM_RSRC2:TRAP_HANDLER: 0
; COMPUTE_PGM_RSRC2:TGID_X_EN: 1
; COMPUTE_PGM_RSRC2:TGID_Y_EN: 0
; COMPUTE_PGM_RSRC2:TGID_Z_EN: 0
; COMPUTE_PGM_RSRC2:TIDIG_COMP_CNT: 0
; COMPUTE_PGM_RSRC3_GFX90A:ACCUM_OFFSET: 0
; COMPUTE_PGM_RSRC3_GFX90A:TG_SPLIT: 0
	.section	.text._ZN7rocprim17ROCPRIM_400000_NS6detail17trampoline_kernelINS0_14default_configENS1_25partition_config_selectorILNS1_17partition_subalgoE5EiNS0_10empty_typeEbEEZZNS1_14partition_implILS5_5ELb0ES3_mPiPS6_N6thrust23THRUST_200600_302600_NS18transform_iteratorINSC_6detail9not_fun_tIN6dUtils8isNotOneIiEEEES9_NSC_11use_defaultESK_EENS0_5tupleIJS9_S6_EEENSM_IJSA_SA_EEES6_PlJS6_EEE10hipError_tPvRmT3_T4_T5_T6_T7_T9_mT8_P12ihipStream_tbDpT10_ENKUlT_T0_E_clISt17integral_constantIbLb1EES19_EEDaS14_S15_EUlS14_E_NS1_11comp_targetILNS1_3genE5ELNS1_11target_archE942ELNS1_3gpuE9ELNS1_3repE0EEENS1_30default_config_static_selectorELNS0_4arch9wavefront6targetE1EEEvT1_,"axG",@progbits,_ZN7rocprim17ROCPRIM_400000_NS6detail17trampoline_kernelINS0_14default_configENS1_25partition_config_selectorILNS1_17partition_subalgoE5EiNS0_10empty_typeEbEEZZNS1_14partition_implILS5_5ELb0ES3_mPiPS6_N6thrust23THRUST_200600_302600_NS18transform_iteratorINSC_6detail9not_fun_tIN6dUtils8isNotOneIiEEEES9_NSC_11use_defaultESK_EENS0_5tupleIJS9_S6_EEENSM_IJSA_SA_EEES6_PlJS6_EEE10hipError_tPvRmT3_T4_T5_T6_T7_T9_mT8_P12ihipStream_tbDpT10_ENKUlT_T0_E_clISt17integral_constantIbLb1EES19_EEDaS14_S15_EUlS14_E_NS1_11comp_targetILNS1_3genE5ELNS1_11target_archE942ELNS1_3gpuE9ELNS1_3repE0EEENS1_30default_config_static_selectorELNS0_4arch9wavefront6targetE1EEEvT1_,comdat
	.protected	_ZN7rocprim17ROCPRIM_400000_NS6detail17trampoline_kernelINS0_14default_configENS1_25partition_config_selectorILNS1_17partition_subalgoE5EiNS0_10empty_typeEbEEZZNS1_14partition_implILS5_5ELb0ES3_mPiPS6_N6thrust23THRUST_200600_302600_NS18transform_iteratorINSC_6detail9not_fun_tIN6dUtils8isNotOneIiEEEES9_NSC_11use_defaultESK_EENS0_5tupleIJS9_S6_EEENSM_IJSA_SA_EEES6_PlJS6_EEE10hipError_tPvRmT3_T4_T5_T6_T7_T9_mT8_P12ihipStream_tbDpT10_ENKUlT_T0_E_clISt17integral_constantIbLb1EES19_EEDaS14_S15_EUlS14_E_NS1_11comp_targetILNS1_3genE5ELNS1_11target_archE942ELNS1_3gpuE9ELNS1_3repE0EEENS1_30default_config_static_selectorELNS0_4arch9wavefront6targetE1EEEvT1_ ; -- Begin function _ZN7rocprim17ROCPRIM_400000_NS6detail17trampoline_kernelINS0_14default_configENS1_25partition_config_selectorILNS1_17partition_subalgoE5EiNS0_10empty_typeEbEEZZNS1_14partition_implILS5_5ELb0ES3_mPiPS6_N6thrust23THRUST_200600_302600_NS18transform_iteratorINSC_6detail9not_fun_tIN6dUtils8isNotOneIiEEEES9_NSC_11use_defaultESK_EENS0_5tupleIJS9_S6_EEENSM_IJSA_SA_EEES6_PlJS6_EEE10hipError_tPvRmT3_T4_T5_T6_T7_T9_mT8_P12ihipStream_tbDpT10_ENKUlT_T0_E_clISt17integral_constantIbLb1EES19_EEDaS14_S15_EUlS14_E_NS1_11comp_targetILNS1_3genE5ELNS1_11target_archE942ELNS1_3gpuE9ELNS1_3repE0EEENS1_30default_config_static_selectorELNS0_4arch9wavefront6targetE1EEEvT1_
	.globl	_ZN7rocprim17ROCPRIM_400000_NS6detail17trampoline_kernelINS0_14default_configENS1_25partition_config_selectorILNS1_17partition_subalgoE5EiNS0_10empty_typeEbEEZZNS1_14partition_implILS5_5ELb0ES3_mPiPS6_N6thrust23THRUST_200600_302600_NS18transform_iteratorINSC_6detail9not_fun_tIN6dUtils8isNotOneIiEEEES9_NSC_11use_defaultESK_EENS0_5tupleIJS9_S6_EEENSM_IJSA_SA_EEES6_PlJS6_EEE10hipError_tPvRmT3_T4_T5_T6_T7_T9_mT8_P12ihipStream_tbDpT10_ENKUlT_T0_E_clISt17integral_constantIbLb1EES19_EEDaS14_S15_EUlS14_E_NS1_11comp_targetILNS1_3genE5ELNS1_11target_archE942ELNS1_3gpuE9ELNS1_3repE0EEENS1_30default_config_static_selectorELNS0_4arch9wavefront6targetE1EEEvT1_
	.p2align	8
	.type	_ZN7rocprim17ROCPRIM_400000_NS6detail17trampoline_kernelINS0_14default_configENS1_25partition_config_selectorILNS1_17partition_subalgoE5EiNS0_10empty_typeEbEEZZNS1_14partition_implILS5_5ELb0ES3_mPiPS6_N6thrust23THRUST_200600_302600_NS18transform_iteratorINSC_6detail9not_fun_tIN6dUtils8isNotOneIiEEEES9_NSC_11use_defaultESK_EENS0_5tupleIJS9_S6_EEENSM_IJSA_SA_EEES6_PlJS6_EEE10hipError_tPvRmT3_T4_T5_T6_T7_T9_mT8_P12ihipStream_tbDpT10_ENKUlT_T0_E_clISt17integral_constantIbLb1EES19_EEDaS14_S15_EUlS14_E_NS1_11comp_targetILNS1_3genE5ELNS1_11target_archE942ELNS1_3gpuE9ELNS1_3repE0EEENS1_30default_config_static_selectorELNS0_4arch9wavefront6targetE1EEEvT1_,@function
_ZN7rocprim17ROCPRIM_400000_NS6detail17trampoline_kernelINS0_14default_configENS1_25partition_config_selectorILNS1_17partition_subalgoE5EiNS0_10empty_typeEbEEZZNS1_14partition_implILS5_5ELb0ES3_mPiPS6_N6thrust23THRUST_200600_302600_NS18transform_iteratorINSC_6detail9not_fun_tIN6dUtils8isNotOneIiEEEES9_NSC_11use_defaultESK_EENS0_5tupleIJS9_S6_EEENSM_IJSA_SA_EEES6_PlJS6_EEE10hipError_tPvRmT3_T4_T5_T6_T7_T9_mT8_P12ihipStream_tbDpT10_ENKUlT_T0_E_clISt17integral_constantIbLb1EES19_EEDaS14_S15_EUlS14_E_NS1_11comp_targetILNS1_3genE5ELNS1_11target_archE942ELNS1_3gpuE9ELNS1_3repE0EEENS1_30default_config_static_selectorELNS0_4arch9wavefront6targetE1EEEvT1_: ; @_ZN7rocprim17ROCPRIM_400000_NS6detail17trampoline_kernelINS0_14default_configENS1_25partition_config_selectorILNS1_17partition_subalgoE5EiNS0_10empty_typeEbEEZZNS1_14partition_implILS5_5ELb0ES3_mPiPS6_N6thrust23THRUST_200600_302600_NS18transform_iteratorINSC_6detail9not_fun_tIN6dUtils8isNotOneIiEEEES9_NSC_11use_defaultESK_EENS0_5tupleIJS9_S6_EEENSM_IJSA_SA_EEES6_PlJS6_EEE10hipError_tPvRmT3_T4_T5_T6_T7_T9_mT8_P12ihipStream_tbDpT10_ENKUlT_T0_E_clISt17integral_constantIbLb1EES19_EEDaS14_S15_EUlS14_E_NS1_11comp_targetILNS1_3genE5ELNS1_11target_archE942ELNS1_3gpuE9ELNS1_3repE0EEENS1_30default_config_static_selectorELNS0_4arch9wavefront6targetE1EEEvT1_
; %bb.0:
	.section	.rodata,"a",@progbits
	.p2align	6, 0x0
	.amdhsa_kernel _ZN7rocprim17ROCPRIM_400000_NS6detail17trampoline_kernelINS0_14default_configENS1_25partition_config_selectorILNS1_17partition_subalgoE5EiNS0_10empty_typeEbEEZZNS1_14partition_implILS5_5ELb0ES3_mPiPS6_N6thrust23THRUST_200600_302600_NS18transform_iteratorINSC_6detail9not_fun_tIN6dUtils8isNotOneIiEEEES9_NSC_11use_defaultESK_EENS0_5tupleIJS9_S6_EEENSM_IJSA_SA_EEES6_PlJS6_EEE10hipError_tPvRmT3_T4_T5_T6_T7_T9_mT8_P12ihipStream_tbDpT10_ENKUlT_T0_E_clISt17integral_constantIbLb1EES19_EEDaS14_S15_EUlS14_E_NS1_11comp_targetILNS1_3genE5ELNS1_11target_archE942ELNS1_3gpuE9ELNS1_3repE0EEENS1_30default_config_static_selectorELNS0_4arch9wavefront6targetE1EEEvT1_
		.amdhsa_group_segment_fixed_size 0
		.amdhsa_private_segment_fixed_size 0
		.amdhsa_kernarg_size 136
		.amdhsa_user_sgpr_count 6
		.amdhsa_user_sgpr_private_segment_buffer 1
		.amdhsa_user_sgpr_dispatch_ptr 0
		.amdhsa_user_sgpr_queue_ptr 0
		.amdhsa_user_sgpr_kernarg_segment_ptr 1
		.amdhsa_user_sgpr_dispatch_id 0
		.amdhsa_user_sgpr_flat_scratch_init 0
		.amdhsa_user_sgpr_kernarg_preload_length 0
		.amdhsa_user_sgpr_kernarg_preload_offset 0
		.amdhsa_user_sgpr_private_segment_size 0
		.amdhsa_uses_dynamic_stack 0
		.amdhsa_system_sgpr_private_segment_wavefront_offset 0
		.amdhsa_system_sgpr_workgroup_id_x 1
		.amdhsa_system_sgpr_workgroup_id_y 0
		.amdhsa_system_sgpr_workgroup_id_z 0
		.amdhsa_system_sgpr_workgroup_info 0
		.amdhsa_system_vgpr_workitem_id 0
		.amdhsa_next_free_vgpr 1
		.amdhsa_next_free_sgpr 0
		.amdhsa_accum_offset 4
		.amdhsa_reserve_vcc 0
		.amdhsa_reserve_flat_scratch 0
		.amdhsa_float_round_mode_32 0
		.amdhsa_float_round_mode_16_64 0
		.amdhsa_float_denorm_mode_32 3
		.amdhsa_float_denorm_mode_16_64 3
		.amdhsa_dx10_clamp 1
		.amdhsa_ieee_mode 1
		.amdhsa_fp16_overflow 0
		.amdhsa_tg_split 0
		.amdhsa_exception_fp_ieee_invalid_op 0
		.amdhsa_exception_fp_denorm_src 0
		.amdhsa_exception_fp_ieee_div_zero 0
		.amdhsa_exception_fp_ieee_overflow 0
		.amdhsa_exception_fp_ieee_underflow 0
		.amdhsa_exception_fp_ieee_inexact 0
		.amdhsa_exception_int_div_zero 0
	.end_amdhsa_kernel
	.section	.text._ZN7rocprim17ROCPRIM_400000_NS6detail17trampoline_kernelINS0_14default_configENS1_25partition_config_selectorILNS1_17partition_subalgoE5EiNS0_10empty_typeEbEEZZNS1_14partition_implILS5_5ELb0ES3_mPiPS6_N6thrust23THRUST_200600_302600_NS18transform_iteratorINSC_6detail9not_fun_tIN6dUtils8isNotOneIiEEEES9_NSC_11use_defaultESK_EENS0_5tupleIJS9_S6_EEENSM_IJSA_SA_EEES6_PlJS6_EEE10hipError_tPvRmT3_T4_T5_T6_T7_T9_mT8_P12ihipStream_tbDpT10_ENKUlT_T0_E_clISt17integral_constantIbLb1EES19_EEDaS14_S15_EUlS14_E_NS1_11comp_targetILNS1_3genE5ELNS1_11target_archE942ELNS1_3gpuE9ELNS1_3repE0EEENS1_30default_config_static_selectorELNS0_4arch9wavefront6targetE1EEEvT1_,"axG",@progbits,_ZN7rocprim17ROCPRIM_400000_NS6detail17trampoline_kernelINS0_14default_configENS1_25partition_config_selectorILNS1_17partition_subalgoE5EiNS0_10empty_typeEbEEZZNS1_14partition_implILS5_5ELb0ES3_mPiPS6_N6thrust23THRUST_200600_302600_NS18transform_iteratorINSC_6detail9not_fun_tIN6dUtils8isNotOneIiEEEES9_NSC_11use_defaultESK_EENS0_5tupleIJS9_S6_EEENSM_IJSA_SA_EEES6_PlJS6_EEE10hipError_tPvRmT3_T4_T5_T6_T7_T9_mT8_P12ihipStream_tbDpT10_ENKUlT_T0_E_clISt17integral_constantIbLb1EES19_EEDaS14_S15_EUlS14_E_NS1_11comp_targetILNS1_3genE5ELNS1_11target_archE942ELNS1_3gpuE9ELNS1_3repE0EEENS1_30default_config_static_selectorELNS0_4arch9wavefront6targetE1EEEvT1_,comdat
.Lfunc_end122:
	.size	_ZN7rocprim17ROCPRIM_400000_NS6detail17trampoline_kernelINS0_14default_configENS1_25partition_config_selectorILNS1_17partition_subalgoE5EiNS0_10empty_typeEbEEZZNS1_14partition_implILS5_5ELb0ES3_mPiPS6_N6thrust23THRUST_200600_302600_NS18transform_iteratorINSC_6detail9not_fun_tIN6dUtils8isNotOneIiEEEES9_NSC_11use_defaultESK_EENS0_5tupleIJS9_S6_EEENSM_IJSA_SA_EEES6_PlJS6_EEE10hipError_tPvRmT3_T4_T5_T6_T7_T9_mT8_P12ihipStream_tbDpT10_ENKUlT_T0_E_clISt17integral_constantIbLb1EES19_EEDaS14_S15_EUlS14_E_NS1_11comp_targetILNS1_3genE5ELNS1_11target_archE942ELNS1_3gpuE9ELNS1_3repE0EEENS1_30default_config_static_selectorELNS0_4arch9wavefront6targetE1EEEvT1_, .Lfunc_end122-_ZN7rocprim17ROCPRIM_400000_NS6detail17trampoline_kernelINS0_14default_configENS1_25partition_config_selectorILNS1_17partition_subalgoE5EiNS0_10empty_typeEbEEZZNS1_14partition_implILS5_5ELb0ES3_mPiPS6_N6thrust23THRUST_200600_302600_NS18transform_iteratorINSC_6detail9not_fun_tIN6dUtils8isNotOneIiEEEES9_NSC_11use_defaultESK_EENS0_5tupleIJS9_S6_EEENSM_IJSA_SA_EEES6_PlJS6_EEE10hipError_tPvRmT3_T4_T5_T6_T7_T9_mT8_P12ihipStream_tbDpT10_ENKUlT_T0_E_clISt17integral_constantIbLb1EES19_EEDaS14_S15_EUlS14_E_NS1_11comp_targetILNS1_3genE5ELNS1_11target_archE942ELNS1_3gpuE9ELNS1_3repE0EEENS1_30default_config_static_selectorELNS0_4arch9wavefront6targetE1EEEvT1_
                                        ; -- End function
	.section	.AMDGPU.csdata,"",@progbits
; Kernel info:
; codeLenInByte = 0
; NumSgprs: 4
; NumVgprs: 0
; NumAgprs: 0
; TotalNumVgprs: 0
; ScratchSize: 0
; MemoryBound: 0
; FloatMode: 240
; IeeeMode: 1
; LDSByteSize: 0 bytes/workgroup (compile time only)
; SGPRBlocks: 0
; VGPRBlocks: 0
; NumSGPRsForWavesPerEU: 4
; NumVGPRsForWavesPerEU: 1
; AccumOffset: 4
; Occupancy: 8
; WaveLimiterHint : 0
; COMPUTE_PGM_RSRC2:SCRATCH_EN: 0
; COMPUTE_PGM_RSRC2:USER_SGPR: 6
; COMPUTE_PGM_RSRC2:TRAP_HANDLER: 0
; COMPUTE_PGM_RSRC2:TGID_X_EN: 1
; COMPUTE_PGM_RSRC2:TGID_Y_EN: 0
; COMPUTE_PGM_RSRC2:TGID_Z_EN: 0
; COMPUTE_PGM_RSRC2:TIDIG_COMP_CNT: 0
; COMPUTE_PGM_RSRC3_GFX90A:ACCUM_OFFSET: 0
; COMPUTE_PGM_RSRC3_GFX90A:TG_SPLIT: 0
	.section	.text._ZN7rocprim17ROCPRIM_400000_NS6detail17trampoline_kernelINS0_14default_configENS1_25partition_config_selectorILNS1_17partition_subalgoE5EiNS0_10empty_typeEbEEZZNS1_14partition_implILS5_5ELb0ES3_mPiPS6_N6thrust23THRUST_200600_302600_NS18transform_iteratorINSC_6detail9not_fun_tIN6dUtils8isNotOneIiEEEES9_NSC_11use_defaultESK_EENS0_5tupleIJS9_S6_EEENSM_IJSA_SA_EEES6_PlJS6_EEE10hipError_tPvRmT3_T4_T5_T6_T7_T9_mT8_P12ihipStream_tbDpT10_ENKUlT_T0_E_clISt17integral_constantIbLb1EES19_EEDaS14_S15_EUlS14_E_NS1_11comp_targetILNS1_3genE4ELNS1_11target_archE910ELNS1_3gpuE8ELNS1_3repE0EEENS1_30default_config_static_selectorELNS0_4arch9wavefront6targetE1EEEvT1_,"axG",@progbits,_ZN7rocprim17ROCPRIM_400000_NS6detail17trampoline_kernelINS0_14default_configENS1_25partition_config_selectorILNS1_17partition_subalgoE5EiNS0_10empty_typeEbEEZZNS1_14partition_implILS5_5ELb0ES3_mPiPS6_N6thrust23THRUST_200600_302600_NS18transform_iteratorINSC_6detail9not_fun_tIN6dUtils8isNotOneIiEEEES9_NSC_11use_defaultESK_EENS0_5tupleIJS9_S6_EEENSM_IJSA_SA_EEES6_PlJS6_EEE10hipError_tPvRmT3_T4_T5_T6_T7_T9_mT8_P12ihipStream_tbDpT10_ENKUlT_T0_E_clISt17integral_constantIbLb1EES19_EEDaS14_S15_EUlS14_E_NS1_11comp_targetILNS1_3genE4ELNS1_11target_archE910ELNS1_3gpuE8ELNS1_3repE0EEENS1_30default_config_static_selectorELNS0_4arch9wavefront6targetE1EEEvT1_,comdat
	.protected	_ZN7rocprim17ROCPRIM_400000_NS6detail17trampoline_kernelINS0_14default_configENS1_25partition_config_selectorILNS1_17partition_subalgoE5EiNS0_10empty_typeEbEEZZNS1_14partition_implILS5_5ELb0ES3_mPiPS6_N6thrust23THRUST_200600_302600_NS18transform_iteratorINSC_6detail9not_fun_tIN6dUtils8isNotOneIiEEEES9_NSC_11use_defaultESK_EENS0_5tupleIJS9_S6_EEENSM_IJSA_SA_EEES6_PlJS6_EEE10hipError_tPvRmT3_T4_T5_T6_T7_T9_mT8_P12ihipStream_tbDpT10_ENKUlT_T0_E_clISt17integral_constantIbLb1EES19_EEDaS14_S15_EUlS14_E_NS1_11comp_targetILNS1_3genE4ELNS1_11target_archE910ELNS1_3gpuE8ELNS1_3repE0EEENS1_30default_config_static_selectorELNS0_4arch9wavefront6targetE1EEEvT1_ ; -- Begin function _ZN7rocprim17ROCPRIM_400000_NS6detail17trampoline_kernelINS0_14default_configENS1_25partition_config_selectorILNS1_17partition_subalgoE5EiNS0_10empty_typeEbEEZZNS1_14partition_implILS5_5ELb0ES3_mPiPS6_N6thrust23THRUST_200600_302600_NS18transform_iteratorINSC_6detail9not_fun_tIN6dUtils8isNotOneIiEEEES9_NSC_11use_defaultESK_EENS0_5tupleIJS9_S6_EEENSM_IJSA_SA_EEES6_PlJS6_EEE10hipError_tPvRmT3_T4_T5_T6_T7_T9_mT8_P12ihipStream_tbDpT10_ENKUlT_T0_E_clISt17integral_constantIbLb1EES19_EEDaS14_S15_EUlS14_E_NS1_11comp_targetILNS1_3genE4ELNS1_11target_archE910ELNS1_3gpuE8ELNS1_3repE0EEENS1_30default_config_static_selectorELNS0_4arch9wavefront6targetE1EEEvT1_
	.globl	_ZN7rocprim17ROCPRIM_400000_NS6detail17trampoline_kernelINS0_14default_configENS1_25partition_config_selectorILNS1_17partition_subalgoE5EiNS0_10empty_typeEbEEZZNS1_14partition_implILS5_5ELb0ES3_mPiPS6_N6thrust23THRUST_200600_302600_NS18transform_iteratorINSC_6detail9not_fun_tIN6dUtils8isNotOneIiEEEES9_NSC_11use_defaultESK_EENS0_5tupleIJS9_S6_EEENSM_IJSA_SA_EEES6_PlJS6_EEE10hipError_tPvRmT3_T4_T5_T6_T7_T9_mT8_P12ihipStream_tbDpT10_ENKUlT_T0_E_clISt17integral_constantIbLb1EES19_EEDaS14_S15_EUlS14_E_NS1_11comp_targetILNS1_3genE4ELNS1_11target_archE910ELNS1_3gpuE8ELNS1_3repE0EEENS1_30default_config_static_selectorELNS0_4arch9wavefront6targetE1EEEvT1_
	.p2align	8
	.type	_ZN7rocprim17ROCPRIM_400000_NS6detail17trampoline_kernelINS0_14default_configENS1_25partition_config_selectorILNS1_17partition_subalgoE5EiNS0_10empty_typeEbEEZZNS1_14partition_implILS5_5ELb0ES3_mPiPS6_N6thrust23THRUST_200600_302600_NS18transform_iteratorINSC_6detail9not_fun_tIN6dUtils8isNotOneIiEEEES9_NSC_11use_defaultESK_EENS0_5tupleIJS9_S6_EEENSM_IJSA_SA_EEES6_PlJS6_EEE10hipError_tPvRmT3_T4_T5_T6_T7_T9_mT8_P12ihipStream_tbDpT10_ENKUlT_T0_E_clISt17integral_constantIbLb1EES19_EEDaS14_S15_EUlS14_E_NS1_11comp_targetILNS1_3genE4ELNS1_11target_archE910ELNS1_3gpuE8ELNS1_3repE0EEENS1_30default_config_static_selectorELNS0_4arch9wavefront6targetE1EEEvT1_,@function
_ZN7rocprim17ROCPRIM_400000_NS6detail17trampoline_kernelINS0_14default_configENS1_25partition_config_selectorILNS1_17partition_subalgoE5EiNS0_10empty_typeEbEEZZNS1_14partition_implILS5_5ELb0ES3_mPiPS6_N6thrust23THRUST_200600_302600_NS18transform_iteratorINSC_6detail9not_fun_tIN6dUtils8isNotOneIiEEEES9_NSC_11use_defaultESK_EENS0_5tupleIJS9_S6_EEENSM_IJSA_SA_EEES6_PlJS6_EEE10hipError_tPvRmT3_T4_T5_T6_T7_T9_mT8_P12ihipStream_tbDpT10_ENKUlT_T0_E_clISt17integral_constantIbLb1EES19_EEDaS14_S15_EUlS14_E_NS1_11comp_targetILNS1_3genE4ELNS1_11target_archE910ELNS1_3gpuE8ELNS1_3repE0EEENS1_30default_config_static_selectorELNS0_4arch9wavefront6targetE1EEEvT1_: ; @_ZN7rocprim17ROCPRIM_400000_NS6detail17trampoline_kernelINS0_14default_configENS1_25partition_config_selectorILNS1_17partition_subalgoE5EiNS0_10empty_typeEbEEZZNS1_14partition_implILS5_5ELb0ES3_mPiPS6_N6thrust23THRUST_200600_302600_NS18transform_iteratorINSC_6detail9not_fun_tIN6dUtils8isNotOneIiEEEES9_NSC_11use_defaultESK_EENS0_5tupleIJS9_S6_EEENSM_IJSA_SA_EEES6_PlJS6_EEE10hipError_tPvRmT3_T4_T5_T6_T7_T9_mT8_P12ihipStream_tbDpT10_ENKUlT_T0_E_clISt17integral_constantIbLb1EES19_EEDaS14_S15_EUlS14_E_NS1_11comp_targetILNS1_3genE4ELNS1_11target_archE910ELNS1_3gpuE8ELNS1_3repE0EEENS1_30default_config_static_selectorELNS0_4arch9wavefront6targetE1EEEvT1_
; %bb.0:
	s_load_dwordx2 s[6:7], s[4:5], 0x20
	s_load_dwordx2 s[14:15], s[4:5], 0x30
	;; [unrolled: 1-line block ×3, first 2 shown]
	s_load_dwordx4 s[16:19], s[4:5], 0x48
	s_load_dwordx2 s[22:23], s[4:5], 0x68
	v_cmp_eq_u32_e64 s[0:1], 0, v0
	s_and_saveexec_b64 s[8:9], s[0:1]
	s_cbranch_execz .LBB123_4
; %bb.1:
	s_mov_b64 s[12:13], exec
	v_mbcnt_lo_u32_b32 v1, s12, 0
	v_mbcnt_hi_u32_b32 v1, s13, v1
	v_cmp_eq_u32_e32 vcc, 0, v1
                                        ; implicit-def: $vgpr2
	s_and_saveexec_b64 s[10:11], vcc
	s_cbranch_execz .LBB123_3
; %bb.2:
	s_load_dwordx2 s[20:21], s[4:5], 0x78
	s_bcnt1_i32_b64 s12, s[12:13]
	v_mov_b32_e32 v2, 0
	v_mov_b32_e32 v3, s12
	s_waitcnt lgkmcnt(0)
	global_atomic_add v2, v2, v3, s[20:21] glc
.LBB123_3:
	s_or_b64 exec, exec, s[10:11]
	s_waitcnt vmcnt(0)
	v_readfirstlane_b32 s10, v2
	v_add_u32_e32 v1, s10, v1
	v_mov_b32_e32 v2, 0
	ds_write_b32 v2, v1
.LBB123_4:
	s_or_b64 exec, exec, s[8:9]
	v_mov_b32_e32 v1, 0
	s_load_dwordx4 s[8:11], s[4:5], 0x8
	s_load_dword s12, s[4:5], 0x70
	s_waitcnt lgkmcnt(0)
	s_barrier
	ds_read_b32 v4, v1
	s_waitcnt lgkmcnt(0)
	s_barrier
	global_load_dwordx2 v[12:13], v1, s[18:19]
	s_lshl_b64 s[4:5], s[10:11], 2
	v_mov_b32_e32 v3, s3
	s_add_u32 s13, s8, s4
	s_mul_i32 s3, s12, 0x700
	s_addc_u32 s26, s9, s5
	s_add_i32 s9, s3, s10
	s_sub_i32 s25, s2, s9
	s_add_i32 s18, s12, -1
	s_addk_i32 s25, 0x700
	v_mov_b32_e32 v2, s2
	s_add_u32 s2, s10, s3
	v_readfirstlane_b32 s24, v4
	s_addc_u32 s3, s11, 0
	s_cmp_eq_u32 s24, s18
	v_cmp_ge_u64_e32 vcc, s[2:3], v[2:3]
	s_cselect_b64 s[18:19], -1, 0
	s_mul_i32 s8, s24, 0x700
	s_mov_b32 s9, 0
	s_and_b64 s[10:11], vcc, s[18:19]
	s_xor_b64 s[20:21], s[10:11], -1
	s_lshl_b64 s[8:9], s[8:9], 2
	s_add_u32 s10, s13, s8
	s_mov_b64 s[2:3], -1
	s_addc_u32 s11, s26, s9
	s_and_b64 vcc, exec, s[20:21]
	s_cbranch_vccz .LBB123_6
; %bb.5:
	v_lshlrev_b32_e32 v1, 2, v0
	v_mov_b32_e32 v2, s11
	v_add_co_u32_e32 v3, vcc, s10, v1
	v_addc_co_u32_e32 v4, vcc, 0, v2, vcc
	v_add_co_u32_e32 v2, vcc, 0x1000, v3
	v_addc_co_u32_e32 v3, vcc, 0, v4, vcc
	global_load_dword v4, v1, s[10:11]
	global_load_dword v5, v1, s[10:11] offset:1024
	global_load_dword v6, v1, s[10:11] offset:2048
	;; [unrolled: 1-line block ×3, first 2 shown]
	global_load_dword v8, v[2:3], off
	global_load_dword v9, v[2:3], off offset:1024
	global_load_dword v10, v[2:3], off offset:2048
	s_mov_b64 s[2:3], 0
	s_waitcnt vmcnt(5)
	ds_write2st64_b32 v1, v4, v5 offset1:4
	s_waitcnt vmcnt(3)
	ds_write2st64_b32 v1, v6, v7 offset0:8 offset1:12
	s_waitcnt vmcnt(1)
	ds_write2st64_b32 v1, v8, v9 offset0:16 offset1:20
	s_waitcnt vmcnt(0)
	ds_write_b32 v1, v10 offset:6144
	s_waitcnt lgkmcnt(0)
	s_barrier
.LBB123_6:
	s_andn2_b64 vcc, exec, s[2:3]
	v_cmp_gt_u32_e64 s[2:3], s25, v0
	s_cbranch_vccnz .LBB123_22
; %bb.7:
                                        ; implicit-def: $vgpr2_vgpr3_vgpr4_vgpr5_vgpr6_vgpr7_vgpr8
	s_and_saveexec_b64 s[12:13], s[2:3]
	s_cbranch_execz .LBB123_9
; %bb.8:
	v_lshlrev_b32_e32 v1, 2, v0
	global_load_dword v2, v1, s[10:11]
.LBB123_9:
	s_or_b64 exec, exec, s[12:13]
	v_or_b32_e32 v1, 0x100, v0
	v_cmp_gt_u32_e32 vcc, s25, v1
	s_and_saveexec_b64 s[2:3], vcc
	s_cbranch_execz .LBB123_11
; %bb.10:
	v_lshlrev_b32_e32 v1, 2, v0
	global_load_dword v3, v1, s[10:11] offset:1024
.LBB123_11:
	s_or_b64 exec, exec, s[2:3]
	v_or_b32_e32 v1, 0x200, v0
	v_cmp_gt_u32_e32 vcc, s25, v1
	s_and_saveexec_b64 s[2:3], vcc
	s_cbranch_execz .LBB123_13
; %bb.12:
	v_lshlrev_b32_e32 v1, 2, v0
	global_load_dword v4, v1, s[10:11] offset:2048
.LBB123_13:
	;; [unrolled: 9-line block ×3, first 2 shown]
	s_or_b64 exec, exec, s[2:3]
	v_or_b32_e32 v1, 0x400, v0
	v_cmp_gt_u32_e32 vcc, s25, v1
	s_and_saveexec_b64 s[2:3], vcc
	s_cbranch_execz .LBB123_17
; %bb.16:
	v_lshlrev_b32_e32 v1, 2, v1
	global_load_dword v6, v1, s[10:11]
.LBB123_17:
	s_or_b64 exec, exec, s[2:3]
	v_or_b32_e32 v1, 0x500, v0
	v_cmp_gt_u32_e32 vcc, s25, v1
	s_and_saveexec_b64 s[2:3], vcc
	s_cbranch_execz .LBB123_19
; %bb.18:
	v_lshlrev_b32_e32 v1, 2, v1
	global_load_dword v7, v1, s[10:11]
.LBB123_19:
	;; [unrolled: 9-line block ×3, first 2 shown]
	s_or_b64 exec, exec, s[2:3]
	v_lshlrev_b32_e32 v1, 2, v0
	s_waitcnt vmcnt(0)
	ds_write2st64_b32 v1, v2, v3 offset1:4
	ds_write2st64_b32 v1, v4, v5 offset0:8 offset1:12
	ds_write2st64_b32 v1, v6, v7 offset0:16 offset1:20
	ds_write_b32 v1, v8 offset:6144
	s_waitcnt lgkmcnt(0)
	s_barrier
.LBB123_22:
	v_mul_u32_u24_e32 v1, 7, v0
	v_lshlrev_b32_e32 v1, 2, v1
	ds_read2_b32 v[16:17], v1 offset1:1
	ds_read2_b32 v[14:15], v1 offset0:2 offset1:3
	ds_read2_b32 v[10:11], v1 offset0:4 offset1:5
	ds_read_b32 v19, v1 offset:24
	s_add_u32 s2, s6, s4
	s_addc_u32 s3, s7, s5
	s_add_u32 s2, s2, s8
	s_addc_u32 s3, s3, s9
	s_mov_b64 s[4:5], -1
	s_and_b64 vcc, exec, s[20:21]
	s_waitcnt lgkmcnt(0)
	s_barrier
	s_cbranch_vccz .LBB123_24
; %bb.23:
	v_lshlrev_b32_e32 v2, 2, v0
	v_mov_b32_e32 v3, s3
	global_load_dword v4, v2, s[2:3]
	global_load_dword v5, v2, s[2:3] offset:1024
	global_load_dword v6, v2, s[2:3] offset:2048
	v_add_co_u32_e32 v7, vcc, s2, v2
	v_addc_co_u32_e32 v3, vcc, 0, v3, vcc
	global_load_dword v8, v2, s[2:3] offset:3072
	s_movk_i32 s4, 0x1000
	v_add_co_u32_e32 v2, vcc, s4, v7
	v_addc_co_u32_e32 v3, vcc, 0, v3, vcc
	global_load_dword v7, v[2:3], off
	global_load_dword v9, v[2:3], off offset:1024
	global_load_dword v18, v[2:3], off offset:2048
	s_mov_b64 s[4:5], 0
	s_waitcnt vmcnt(6)
	v_cmp_eq_u32_e32 vcc, 1, v4
	v_cndmask_b32_e64 v2, 0, 1, vcc
	s_waitcnt vmcnt(5)
	v_cmp_eq_u32_e32 vcc, 1, v5
	v_cndmask_b32_e64 v3, 0, 1, vcc
	;; [unrolled: 3-line block ×4, first 2 shown]
	ds_write_b8 v0, v2
	ds_write_b8 v0, v3 offset:256
	ds_write_b8 v0, v4 offset:512
	;; [unrolled: 1-line block ×3, first 2 shown]
	s_waitcnt vmcnt(2)
	v_cmp_eq_u32_e32 vcc, 1, v7
	v_cndmask_b32_e64 v2, 0, 1, vcc
	s_waitcnt vmcnt(1)
	v_cmp_eq_u32_e32 vcc, 1, v9
	v_cndmask_b32_e64 v3, 0, 1, vcc
	;; [unrolled: 3-line block ×3, first 2 shown]
	ds_write_b8 v0, v2 offset:1024
	ds_write_b8 v0, v3 offset:1280
	;; [unrolled: 1-line block ×3, first 2 shown]
	s_waitcnt lgkmcnt(0)
	s_barrier
.LBB123_24:
	s_andn2_b64 vcc, exec, s[4:5]
	s_cbranch_vccnz .LBB123_40
; %bb.25:
	v_cmp_gt_u32_e32 vcc, s25, v0
	v_mov_b32_e32 v2, 0
	v_mov_b32_e32 v3, 0
	s_and_saveexec_b64 s[4:5], vcc
	s_cbranch_execz .LBB123_27
; %bb.26:
	v_lshlrev_b32_e32 v3, 2, v0
	global_load_dword v3, v3, s[2:3]
	s_waitcnt vmcnt(0)
	v_cmp_eq_u32_e32 vcc, 1, v3
	v_cndmask_b32_e64 v3, 0, 1, vcc
.LBB123_27:
	s_or_b64 exec, exec, s[4:5]
	v_or_b32_e32 v4, 0x100, v0
	v_cmp_gt_u32_e32 vcc, s25, v4
	s_and_saveexec_b64 s[4:5], vcc
	s_cbranch_execz .LBB123_29
; %bb.28:
	v_lshlrev_b32_e32 v2, 2, v0
	global_load_dword v2, v2, s[2:3] offset:1024
	s_waitcnt vmcnt(0)
	v_cmp_eq_u32_e32 vcc, 1, v2
	v_cndmask_b32_e64 v2, 0, 1, vcc
.LBB123_29:
	s_or_b64 exec, exec, s[4:5]
	v_or_b32_e32 v4, 0x200, v0
	v_cmp_gt_u32_e32 vcc, s25, v4
	v_mov_b32_e32 v4, 0
	v_mov_b32_e32 v5, 0
	s_and_saveexec_b64 s[4:5], vcc
	s_cbranch_execz .LBB123_31
; %bb.30:
	v_lshlrev_b32_e32 v5, 2, v0
	global_load_dword v5, v5, s[2:3] offset:2048
	s_waitcnt vmcnt(0)
	v_cmp_eq_u32_e32 vcc, 1, v5
	v_cndmask_b32_e64 v5, 0, 1, vcc
.LBB123_31:
	s_or_b64 exec, exec, s[4:5]
	v_or_b32_e32 v6, 0x300, v0
	v_cmp_gt_u32_e32 vcc, s25, v6
	s_and_saveexec_b64 s[4:5], vcc
	s_cbranch_execz .LBB123_33
; %bb.32:
	v_lshlrev_b32_e32 v4, 2, v0
	global_load_dword v4, v4, s[2:3] offset:3072
	s_waitcnt vmcnt(0)
	v_cmp_eq_u32_e32 vcc, 1, v4
	v_cndmask_b32_e64 v4, 0, 1, vcc
.LBB123_33:
	s_or_b64 exec, exec, s[4:5]
	v_or_b32_e32 v8, 0x400, v0
	v_cmp_gt_u32_e32 vcc, s25, v8
	v_mov_b32_e32 v6, 0
	v_mov_b32_e32 v7, 0
	s_and_saveexec_b64 s[4:5], vcc
	s_cbranch_execz .LBB123_35
; %bb.34:
	v_lshlrev_b32_e32 v7, 2, v8
	global_load_dword v7, v7, s[2:3]
	s_waitcnt vmcnt(0)
	v_cmp_eq_u32_e32 vcc, 1, v7
	v_cndmask_b32_e64 v7, 0, 1, vcc
.LBB123_35:
	s_or_b64 exec, exec, s[4:5]
	v_or_b32_e32 v8, 0x500, v0
	v_cmp_gt_u32_e32 vcc, s25, v8
	s_and_saveexec_b64 s[4:5], vcc
	s_cbranch_execz .LBB123_37
; %bb.36:
	v_lshlrev_b32_e32 v6, 2, v8
	global_load_dword v6, v6, s[2:3]
	s_waitcnt vmcnt(0)
	v_cmp_eq_u32_e32 vcc, 1, v6
	v_cndmask_b32_e64 v6, 0, 1, vcc
.LBB123_37:
	s_or_b64 exec, exec, s[4:5]
	v_or_b32_e32 v9, 0x600, v0
	v_cmp_gt_u32_e32 vcc, s25, v9
	v_mov_b32_e32 v8, 0
	s_and_saveexec_b64 s[4:5], vcc
	s_cbranch_execz .LBB123_39
; %bb.38:
	v_lshlrev_b32_e32 v8, 2, v9
	global_load_dword v8, v8, s[2:3]
	s_waitcnt vmcnt(0)
	v_cmp_eq_u32_e32 vcc, 1, v8
	v_cndmask_b32_e64 v8, 0, 1, vcc
.LBB123_39:
	s_or_b64 exec, exec, s[4:5]
	ds_write_b8 v0, v3
	ds_write_b8 v0, v2 offset:256
	ds_write_b8 v0, v5 offset:512
	;; [unrolled: 1-line block ×6, first 2 shown]
	s_waitcnt lgkmcnt(0)
	s_barrier
.LBB123_40:
	s_movk_i32 s2, 0xffeb
	v_mad_i32_i24 v25, v0, s2, v1
	ds_read_u8 v1, v25
	ds_read_u8 v2, v25 offset:1
	ds_read_u8 v3, v25 offset:2
	;; [unrolled: 1-line block ×6, first 2 shown]
	s_waitcnt lgkmcnt(6)
	v_and_b32_e32 v28, 1, v1
	s_waitcnt lgkmcnt(5)
	v_and_b32_e32 v26, 1, v2
	;; [unrolled: 2-line block ×3, first 2 shown]
	v_add_co_u32_e32 v2, vcc, v26, v28
	v_addc_co_u32_e64 v3, s[2:3], 0, 0, vcc
	v_add_co_u32_e32 v2, vcc, v2, v24
	s_waitcnt lgkmcnt(3)
	v_and_b32_e32 v22, 1, v4
	v_addc_co_u32_e32 v3, vcc, 0, v3, vcc
	v_add_co_u32_e32 v2, vcc, v2, v22
	s_waitcnt lgkmcnt(2)
	v_and_b32_e32 v20, 1, v5
	v_addc_co_u32_e32 v3, vcc, 0, v3, vcc
	;; [unrolled: 4-line block ×4, first 2 shown]
	v_add_co_u32_e32 v30, vcc, v2, v21
	v_mbcnt_lo_u32_b32 v2, -1, 0
	v_mbcnt_hi_u32_b32 v23, -1, v2
	v_addc_co_u32_e32 v31, vcc, 0, v3, vcc
	v_and_b32_e32 v29, 15, v23
	s_cmp_lg_u32 s24, 0
	v_mov_b32_e32 v1, 0
	v_cmp_eq_u32_e64 s[4:5], 0, v29
	v_cmp_lt_u32_e64 s[2:3], 1, v29
	v_cmp_lt_u32_e64 s[10:11], 3, v29
	;; [unrolled: 1-line block ×3, first 2 shown]
	v_and_b32_e32 v27, 16, v23
	v_cmp_eq_u32_e64 s[6:7], 0, v23
	v_cmp_ne_u32_e32 vcc, 0, v23
	s_barrier
	s_cbranch_scc0 .LBB123_73
; %bb.41:
	v_mov_b32_dpp v2, v30 row_shr:1 row_mask:0xf bank_mask:0xf
	v_add_co_u32_e64 v2, s[12:13], v30, v2
	v_addc_co_u32_e64 v3, s[12:13], 0, v31, s[12:13]
	v_mov_b32_dpp v1, v1 row_shr:1 row_mask:0xf bank_mask:0xf
	v_add_co_u32_e64 v4, s[12:13], 0, v2
	v_addc_co_u32_e64 v1, s[12:13], v1, v3, s[12:13]
	v_cndmask_b32_e64 v2, v2, v30, s[4:5]
	v_cndmask_b32_e64 v3, v1, 0, s[4:5]
	v_cndmask_b32_e64 v4, v4, v30, s[4:5]
	v_mov_b32_dpp v5, v2 row_shr:2 row_mask:0xf bank_mask:0xf
	v_cndmask_b32_e64 v1, v1, v31, s[4:5]
	v_mov_b32_dpp v6, v3 row_shr:2 row_mask:0xf bank_mask:0xf
	v_add_co_u32_e64 v5, s[12:13], v5, v4
	v_addc_co_u32_e64 v6, s[12:13], v6, v1, s[12:13]
	v_cndmask_b32_e64 v2, v2, v5, s[2:3]
	v_cndmask_b32_e64 v3, v3, v6, s[2:3]
	v_cndmask_b32_e64 v4, v4, v5, s[2:3]
	v_mov_b32_dpp v5, v2 row_shr:4 row_mask:0xf bank_mask:0xf
	v_cndmask_b32_e64 v1, v1, v6, s[2:3]
	;; [unrolled: 8-line block ×3, first 2 shown]
	v_mov_b32_dpp v6, v3 row_shr:8 row_mask:0xf bank_mask:0xf
	v_add_co_u32_e64 v5, s[10:11], v5, v4
	v_addc_co_u32_e64 v6, s[10:11], v6, v1, s[10:11]
	v_cndmask_b32_e64 v2, v2, v5, s[8:9]
	v_cndmask_b32_e64 v3, v3, v6, s[8:9]
	;; [unrolled: 1-line block ×3, first 2 shown]
	v_mov_b32_dpp v5, v2 row_bcast:15 row_mask:0xf bank_mask:0xf
	v_cndmask_b32_e64 v1, v1, v6, s[8:9]
	v_mov_b32_dpp v6, v3 row_bcast:15 row_mask:0xf bank_mask:0xf
	v_add_co_u32_e64 v5, s[8:9], v5, v4
	v_addc_co_u32_e64 v7, s[8:9], v6, v1, s[8:9]
	v_cmp_eq_u32_e64 s[8:9], 0, v27
	v_cndmask_b32_e64 v3, v7, v3, s[8:9]
	v_cndmask_b32_e64 v2, v5, v2, s[8:9]
	s_nop 0
	v_mov_b32_dpp v8, v3 row_bcast:31 row_mask:0xf bank_mask:0xf
	v_mov_b32_dpp v6, v2 row_bcast:31 row_mask:0xf bank_mask:0xf
	v_pk_mov_b32 v[2:3], v[30:31], v[30:31] op_sel:[0,1]
	s_and_saveexec_b64 s[10:11], vcc
; %bb.42:
	v_cmp_lt_u32_e32 vcc, 31, v23
	v_cndmask_b32_e64 v2, v5, v4, s[8:9]
	v_cndmask_b32_e32 v4, 0, v6, vcc
	v_cndmask_b32_e64 v1, v7, v1, s[8:9]
	v_cndmask_b32_e32 v3, 0, v8, vcc
	v_add_co_u32_e32 v2, vcc, v4, v2
	v_addc_co_u32_e32 v3, vcc, v3, v1, vcc
; %bb.43:
	s_or_b64 exec, exec, s[10:11]
	v_or_b32_e32 v4, 63, v0
	v_lshrrev_b32_e32 v1, 6, v0
	v_cmp_eq_u32_e32 vcc, v4, v0
	s_and_saveexec_b64 s[8:9], vcc
	s_cbranch_execz .LBB123_45
; %bb.44:
	v_lshlrev_b32_e32 v4, 3, v1
	ds_write_b64 v4, v[2:3]
.LBB123_45:
	s_or_b64 exec, exec, s[8:9]
	v_cmp_gt_u32_e32 vcc, 4, v0
	s_waitcnt lgkmcnt(0)
	s_barrier
	s_and_saveexec_b64 s[10:11], vcc
	s_cbranch_execz .LBB123_47
; %bb.46:
	v_lshlrev_b32_e32 v6, 3, v0
	ds_read_b64 v[4:5], v6
	v_and_b32_e32 v7, 3, v23
	v_cmp_ne_u32_e64 s[8:9], 1, v7
	s_waitcnt lgkmcnt(0)
	v_mov_b32_dpp v8, v4 row_shr:1 row_mask:0xf bank_mask:0xf
	v_add_co_u32_e32 v8, vcc, v4, v8
	v_addc_co_u32_e32 v32, vcc, 0, v5, vcc
	v_mov_b32_dpp v9, v5 row_shr:1 row_mask:0xf bank_mask:0xf
	v_add_co_u32_e32 v33, vcc, 0, v8
	v_addc_co_u32_e32 v9, vcc, v9, v32, vcc
	v_cmp_eq_u32_e32 vcc, 0, v7
	v_cndmask_b32_e32 v8, v8, v4, vcc
	v_cndmask_b32_e32 v32, v9, v5, vcc
	s_nop 0
	v_mov_b32_dpp v8, v8 row_shr:2 row_mask:0xf bank_mask:0xf
	v_mov_b32_dpp v32, v32 row_shr:2 row_mask:0xf bank_mask:0xf
	v_cndmask_b32_e64 v7, 0, v8, s[8:9]
	v_cndmask_b32_e64 v8, 0, v32, s[8:9]
	v_add_co_u32_e64 v7, s[8:9], v7, v33
	v_addc_co_u32_e64 v8, s[8:9], v8, v9, s[8:9]
	v_cndmask_b32_e32 v5, v8, v5, vcc
	v_cndmask_b32_e32 v4, v7, v4, vcc
	ds_write_b64 v6, v[4:5]
.LBB123_47:
	s_or_b64 exec, exec, s[10:11]
	v_cmp_gt_u32_e32 vcc, 64, v0
	v_cmp_lt_u32_e64 s[8:9], 63, v0
	s_waitcnt lgkmcnt(0)
	s_barrier
	s_waitcnt lgkmcnt(0)
                                        ; implicit-def: $vgpr32_vgpr33
	s_and_saveexec_b64 s[10:11], s[8:9]
	s_cbranch_execz .LBB123_49
; %bb.48:
	v_lshl_add_u32 v1, v1, 3, -8
	ds_read_b64 v[32:33], v1
	s_waitcnt lgkmcnt(0)
	v_add_co_u32_e64 v2, s[8:9], v32, v2
	v_addc_co_u32_e64 v3, s[8:9], v33, v3, s[8:9]
.LBB123_49:
	s_or_b64 exec, exec, s[10:11]
	v_add_u32_e32 v1, -1, v23
	v_and_b32_e32 v4, 64, v23
	v_cmp_lt_i32_e64 s[8:9], v1, v4
	v_cndmask_b32_e64 v1, v1, v23, s[8:9]
	v_lshlrev_b32_e32 v1, 2, v1
	ds_bpermute_b32 v40, v1, v2
	ds_bpermute_b32 v1, v1, v3
	s_and_saveexec_b64 s[12:13], vcc
	s_cbranch_execz .LBB123_72
; %bb.50:
	v_mov_b32_e32 v5, 0
	ds_read_b64 v[2:3], v5 offset:24
	s_and_saveexec_b64 s[8:9], s[6:7]
	s_cbranch_execz .LBB123_52
; %bb.51:
	s_add_i32 s10, s24, 64
	s_mov_b32 s11, 0
	s_lshl_b64 s[10:11], s[10:11], 4
	s_add_u32 s10, s22, s10
	s_addc_u32 s11, s23, s11
	v_mov_b32_e32 v4, 1
	v_pk_mov_b32 v[6:7], s[10:11], s[10:11] op_sel:[0,1]
	s_waitcnt lgkmcnt(0)
	;;#ASMSTART
	global_store_dwordx4 v[6:7], v[2:5] off	
s_waitcnt vmcnt(0)
	;;#ASMEND
.LBB123_52:
	s_or_b64 exec, exec, s[8:9]
	v_xad_u32 v34, v23, -1, s24
	v_add_u32_e32 v4, 64, v34
	v_lshlrev_b64 v[6:7], 4, v[4:5]
	v_mov_b32_e32 v4, s23
	v_add_co_u32_e32 v36, vcc, s22, v6
	v_addc_co_u32_e32 v37, vcc, v4, v7, vcc
	;;#ASMSTART
	global_load_dwordx4 v[6:9], v[36:37] off glc	
s_waitcnt vmcnt(0)
	;;#ASMEND
	v_and_b32_e32 v4, 0xff, v7
	v_and_b32_e32 v9, 0xff00, v7
	v_or3_b32 v4, 0, v4, v9
	v_or3_b32 v6, v6, 0, 0
	v_and_b32_e32 v9, 0xff000000, v7
	v_and_b32_e32 v7, 0xff0000, v7
	v_or3_b32 v7, v4, v7, v9
	v_or3_b32 v6, v6, 0, 0
	v_cmp_eq_u16_sdwa s[10:11], v8, v5 src0_sel:BYTE_0 src1_sel:DWORD
	s_and_saveexec_b64 s[8:9], s[10:11]
	s_cbranch_execz .LBB123_58
; %bb.53:
	s_mov_b32 s25, 1
	s_mov_b64 s[10:11], 0
	v_mov_b32_e32 v4, 0
.LBB123_54:                             ; =>This Loop Header: Depth=1
                                        ;     Child Loop BB123_55 Depth 2
	s_max_u32 s26, s25, 1
.LBB123_55:                             ;   Parent Loop BB123_54 Depth=1
                                        ; =>  This Inner Loop Header: Depth=2
	s_add_i32 s26, s26, -1
	s_cmp_eq_u32 s26, 0
	s_sleep 1
	s_cbranch_scc0 .LBB123_55
; %bb.56:                               ;   in Loop: Header=BB123_54 Depth=1
	s_cmp_lt_u32 s25, 32
	s_cselect_b64 s[26:27], -1, 0
	s_cmp_lg_u64 s[26:27], 0
	s_addc_u32 s25, s25, 0
	;;#ASMSTART
	global_load_dwordx4 v[6:9], v[36:37] off glc	
s_waitcnt vmcnt(0)
	;;#ASMEND
	v_cmp_ne_u16_sdwa s[26:27], v8, v4 src0_sel:BYTE_0 src1_sel:DWORD
	s_or_b64 s[10:11], s[26:27], s[10:11]
	s_andn2_b64 exec, exec, s[10:11]
	s_cbranch_execnz .LBB123_54
; %bb.57:
	s_or_b64 exec, exec, s[10:11]
.LBB123_58:
	s_or_b64 exec, exec, s[8:9]
	v_and_b32_e32 v42, 63, v23
	v_mov_b32_e32 v41, 2
	v_cmp_ne_u32_e32 vcc, 63, v42
	v_cmp_eq_u16_sdwa s[8:9], v8, v41 src0_sel:BYTE_0 src1_sel:DWORD
	v_lshlrev_b64 v[36:37], v23, -1
	v_addc_co_u32_e32 v9, vcc, 0, v23, vcc
	v_and_b32_e32 v4, s9, v37
	v_lshlrev_b32_e32 v43, 2, v9
	v_or_b32_e32 v4, 0x80000000, v4
	ds_bpermute_b32 v9, v43, v6
	v_and_b32_e32 v5, s8, v36
	v_ffbl_b32_e32 v4, v4
	v_add_u32_e32 v4, 32, v4
	v_ffbl_b32_e32 v5, v5
	v_min_u32_e32 v4, v5, v4
	ds_bpermute_b32 v5, v43, v7
	s_waitcnt lgkmcnt(1)
	v_add_co_u32_e32 v9, vcc, v6, v9
	v_addc_co_u32_e32 v38, vcc, 0, v7, vcc
	v_add_co_u32_e32 v39, vcc, 0, v9
	v_cmp_gt_u32_e64 s[8:9], 62, v42
	s_waitcnt lgkmcnt(0)
	v_addc_co_u32_e32 v5, vcc, v5, v38, vcc
	v_cndmask_b32_e64 v38, 0, 1, s[8:9]
	v_cmp_lt_u32_e32 vcc, v42, v4
	v_lshlrev_b32_e32 v38, 1, v38
	v_cndmask_b32_e32 v9, v6, v9, vcc
	v_add_lshl_u32 v44, v38, v23, 2
	v_cndmask_b32_e32 v5, v7, v5, vcc
	ds_bpermute_b32 v38, v44, v9
	ds_bpermute_b32 v46, v44, v5
	v_cndmask_b32_e32 v39, v6, v39, vcc
	v_add_u32_e32 v45, 2, v42
	v_cmp_gt_u32_e64 s[10:11], 60, v42
	s_waitcnt lgkmcnt(1)
	v_add_co_u32_e64 v38, s[8:9], v38, v39
	s_waitcnt lgkmcnt(0)
	v_addc_co_u32_e64 v46, s[8:9], v46, v5, s[8:9]
	v_cmp_gt_u32_e64 s[8:9], v45, v4
	v_cndmask_b32_e64 v5, v46, v5, s[8:9]
	v_cndmask_b32_e64 v46, 0, 1, s[10:11]
	v_lshlrev_b32_e32 v46, 2, v46
	v_cndmask_b32_e64 v9, v38, v9, s[8:9]
	v_add_lshl_u32 v46, v46, v23, 2
	ds_bpermute_b32 v48, v46, v9
	v_cndmask_b32_e64 v38, v38, v39, s[8:9]
	ds_bpermute_b32 v39, v46, v5
	v_add_u32_e32 v47, 4, v42
	v_cmp_gt_u32_e64 s[10:11], 56, v42
	s_waitcnt lgkmcnt(1)
	v_add_co_u32_e64 v49, s[8:9], v48, v38
	s_waitcnt lgkmcnt(0)
	v_addc_co_u32_e64 v39, s[8:9], v39, v5, s[8:9]
	v_cmp_gt_u32_e64 s[8:9], v47, v4
	v_cndmask_b32_e64 v5, v39, v5, s[8:9]
	v_cndmask_b32_e64 v39, 0, 1, s[10:11]
	v_lshlrev_b32_e32 v39, 3, v39
	v_cndmask_b32_e64 v9, v49, v9, s[8:9]
	v_add_lshl_u32 v48, v39, v23, 2
	ds_bpermute_b32 v39, v48, v9
	ds_bpermute_b32 v50, v48, v5
	v_cndmask_b32_e64 v38, v49, v38, s[8:9]
	v_add_u32_e32 v49, 8, v42
	v_cmp_gt_u32_e64 s[10:11], 48, v42
	s_waitcnt lgkmcnt(1)
	v_add_co_u32_e64 v39, s[8:9], v39, v38
	s_waitcnt lgkmcnt(0)
	v_addc_co_u32_e64 v50, s[8:9], v50, v5, s[8:9]
	v_cmp_gt_u32_e64 s[8:9], v49, v4
	v_cndmask_b32_e64 v5, v50, v5, s[8:9]
	v_cndmask_b32_e64 v50, 0, 1, s[10:11]
	v_lshlrev_b32_e32 v50, 4, v50
	v_cndmask_b32_e64 v9, v39, v9, s[8:9]
	v_add_lshl_u32 v50, v50, v23, 2
	ds_bpermute_b32 v52, v50, v9
	v_cndmask_b32_e64 v38, v39, v38, s[8:9]
	ds_bpermute_b32 v39, v50, v5
	v_cmp_gt_u32_e64 s[10:11], 32, v42
	v_add_u32_e32 v51, 16, v42
	s_waitcnt lgkmcnt(1)
	v_add_co_u32_e64 v54, s[8:9], v52, v38
	s_waitcnt lgkmcnt(0)
	v_addc_co_u32_e64 v39, s[8:9], v39, v5, s[8:9]
	v_cndmask_b32_e64 v52, 0, 1, s[10:11]
	v_cmp_gt_u32_e64 s[8:9], v51, v4
	v_lshlrev_b32_e32 v52, 5, v52
	v_cndmask_b32_e64 v9, v54, v9, s[8:9]
	v_add_lshl_u32 v52, v52, v23, 2
	v_cndmask_b32_e64 v5, v39, v5, s[8:9]
	ds_bpermute_b32 v9, v52, v9
	ds_bpermute_b32 v39, v52, v5
	v_add_u32_e32 v53, 32, v42
	v_cndmask_b32_e64 v38, v54, v38, s[8:9]
	v_cmp_le_u32_e64 s[8:9], v53, v4
	s_waitcnt lgkmcnt(1)
	v_cndmask_b32_e64 v9, 0, v9, s[8:9]
	s_waitcnt lgkmcnt(0)
	v_cndmask_b32_e64 v4, 0, v39, s[8:9]
	v_add_co_u32_e64 v9, s[8:9], v9, v38
	v_addc_co_u32_e64 v4, s[8:9], v4, v5, s[8:9]
	v_mov_b32_e32 v35, 0
	v_cndmask_b32_e32 v7, v7, v4, vcc
	v_cndmask_b32_e32 v6, v6, v9, vcc
	s_branch .LBB123_60
.LBB123_59:                             ;   in Loop: Header=BB123_60 Depth=1
	s_or_b64 exec, exec, s[8:9]
	v_cmp_eq_u16_sdwa s[8:9], v8, v41 src0_sel:BYTE_0 src1_sel:DWORD
	v_and_b32_e32 v9, s9, v37
	v_or_b32_e32 v9, 0x80000000, v9
	ds_bpermute_b32 v39, v43, v6
	v_and_b32_e32 v38, s8, v36
	v_ffbl_b32_e32 v9, v9
	v_add_u32_e32 v9, 32, v9
	v_ffbl_b32_e32 v38, v38
	v_min_u32_e32 v9, v38, v9
	ds_bpermute_b32 v38, v43, v7
	s_waitcnt lgkmcnt(1)
	v_add_co_u32_e32 v39, vcc, v6, v39
	v_addc_co_u32_e32 v54, vcc, 0, v7, vcc
	v_add_co_u32_e32 v55, vcc, 0, v39
	s_waitcnt lgkmcnt(0)
	v_addc_co_u32_e32 v38, vcc, v38, v54, vcc
	v_cmp_lt_u32_e32 vcc, v42, v9
	v_cndmask_b32_e32 v39, v6, v39, vcc
	ds_bpermute_b32 v54, v44, v39
	v_cndmask_b32_e32 v38, v7, v38, vcc
	ds_bpermute_b32 v56, v44, v38
	v_cndmask_b32_e32 v55, v6, v55, vcc
	v_subrev_u32_e32 v34, 64, v34
	s_waitcnt lgkmcnt(1)
	v_add_co_u32_e64 v54, s[8:9], v54, v55
	s_waitcnt lgkmcnt(0)
	v_addc_co_u32_e64 v56, s[8:9], v56, v38, s[8:9]
	v_cmp_gt_u32_e64 s[8:9], v45, v9
	v_cndmask_b32_e64 v39, v54, v39, s[8:9]
	ds_bpermute_b32 v57, v46, v39
	v_cndmask_b32_e64 v38, v56, v38, s[8:9]
	ds_bpermute_b32 v56, v46, v38
	v_cndmask_b32_e64 v54, v54, v55, s[8:9]
	s_waitcnt lgkmcnt(1)
	v_add_co_u32_e64 v55, s[8:9], v57, v54
	s_waitcnt lgkmcnt(0)
	v_addc_co_u32_e64 v56, s[8:9], v56, v38, s[8:9]
	v_cmp_gt_u32_e64 s[8:9], v47, v9
	v_cndmask_b32_e64 v39, v55, v39, s[8:9]
	ds_bpermute_b32 v57, v48, v39
	v_cndmask_b32_e64 v38, v56, v38, s[8:9]
	ds_bpermute_b32 v56, v48, v38
	v_cndmask_b32_e64 v54, v55, v54, s[8:9]
	;; [unrolled: 10-line block ×3, first 2 shown]
	s_waitcnt lgkmcnt(1)
	v_add_co_u32_e64 v55, s[8:9], v57, v54
	s_waitcnt lgkmcnt(0)
	v_addc_co_u32_e64 v56, s[8:9], v56, v38, s[8:9]
	v_cmp_gt_u32_e64 s[8:9], v51, v9
	v_cndmask_b32_e64 v39, v55, v39, s[8:9]
	v_cndmask_b32_e64 v38, v56, v38, s[8:9]
	ds_bpermute_b32 v39, v52, v39
	ds_bpermute_b32 v56, v52, v38
	v_cndmask_b32_e64 v54, v55, v54, s[8:9]
	v_cmp_le_u32_e64 s[8:9], v53, v9
	s_waitcnt lgkmcnt(1)
	v_cndmask_b32_e64 v39, 0, v39, s[8:9]
	s_waitcnt lgkmcnt(0)
	v_cndmask_b32_e64 v9, 0, v56, s[8:9]
	v_add_co_u32_e64 v39, s[8:9], v39, v54
	v_addc_co_u32_e64 v9, s[8:9], v9, v38, s[8:9]
	v_cndmask_b32_e32 v6, v6, v39, vcc
	v_cndmask_b32_e32 v7, v7, v9, vcc
	v_add_co_u32_e32 v6, vcc, v6, v4
	v_addc_co_u32_e32 v7, vcc, v7, v5, vcc
.LBB123_60:                             ; =>This Loop Header: Depth=1
                                        ;     Child Loop BB123_63 Depth 2
                                        ;       Child Loop BB123_64 Depth 3
	v_cmp_ne_u16_sdwa s[8:9], v8, v41 src0_sel:BYTE_0 src1_sel:DWORD
	v_cndmask_b32_e64 v4, 0, 1, s[8:9]
	;;#ASMSTART
	;;#ASMEND
	v_cmp_ne_u32_e32 vcc, 0, v4
	s_cmp_lg_u64 vcc, exec
	v_pk_mov_b32 v[4:5], v[6:7], v[6:7] op_sel:[0,1]
	s_cbranch_scc1 .LBB123_67
; %bb.61:                               ;   in Loop: Header=BB123_60 Depth=1
	v_lshlrev_b64 v[6:7], 4, v[34:35]
	v_mov_b32_e32 v8, s23
	v_add_co_u32_e32 v38, vcc, s22, v6
	v_addc_co_u32_e32 v39, vcc, v8, v7, vcc
	;;#ASMSTART
	global_load_dwordx4 v[6:9], v[38:39] off glc	
s_waitcnt vmcnt(0)
	;;#ASMEND
	v_and_b32_e32 v9, 0xff, v7
	v_and_b32_e32 v54, 0xff00, v7
	v_or3_b32 v9, 0, v9, v54
	v_or3_b32 v6, v6, 0, 0
	v_and_b32_e32 v54, 0xff000000, v7
	v_and_b32_e32 v7, 0xff0000, v7
	v_or3_b32 v7, v9, v7, v54
	v_or3_b32 v6, v6, 0, 0
	v_cmp_eq_u16_sdwa s[10:11], v8, v35 src0_sel:BYTE_0 src1_sel:DWORD
	s_and_saveexec_b64 s[8:9], s[10:11]
	s_cbranch_execz .LBB123_59
; %bb.62:                               ;   in Loop: Header=BB123_60 Depth=1
	s_mov_b32 s25, 1
	s_mov_b64 s[10:11], 0
.LBB123_63:                             ;   Parent Loop BB123_60 Depth=1
                                        ; =>  This Loop Header: Depth=2
                                        ;       Child Loop BB123_64 Depth 3
	s_max_u32 s26, s25, 1
.LBB123_64:                             ;   Parent Loop BB123_60 Depth=1
                                        ;     Parent Loop BB123_63 Depth=2
                                        ; =>    This Inner Loop Header: Depth=3
	s_add_i32 s26, s26, -1
	s_cmp_eq_u32 s26, 0
	s_sleep 1
	s_cbranch_scc0 .LBB123_64
; %bb.65:                               ;   in Loop: Header=BB123_63 Depth=2
	s_cmp_lt_u32 s25, 32
	s_cselect_b64 s[26:27], -1, 0
	s_cmp_lg_u64 s[26:27], 0
	s_addc_u32 s25, s25, 0
	;;#ASMSTART
	global_load_dwordx4 v[6:9], v[38:39] off glc	
s_waitcnt vmcnt(0)
	;;#ASMEND
	v_cmp_ne_u16_sdwa s[26:27], v8, v35 src0_sel:BYTE_0 src1_sel:DWORD
	s_or_b64 s[10:11], s[26:27], s[10:11]
	s_andn2_b64 exec, exec, s[10:11]
	s_cbranch_execnz .LBB123_63
; %bb.66:                               ;   in Loop: Header=BB123_60 Depth=1
	s_or_b64 exec, exec, s[10:11]
	s_branch .LBB123_59
.LBB123_67:                             ;   in Loop: Header=BB123_60 Depth=1
                                        ; implicit-def: $vgpr6_vgpr7
                                        ; implicit-def: $vgpr8
	s_cbranch_execz .LBB123_60
; %bb.68:
	s_and_saveexec_b64 s[8:9], s[6:7]
	s_cbranch_execz .LBB123_70
; %bb.69:
	s_add_i32 s10, s24, 64
	s_mov_b32 s11, 0
	s_lshl_b64 s[10:11], s[10:11], 4
	s_add_u32 s10, s22, s10
	v_add_co_u32_e32 v6, vcc, v4, v2
	s_addc_u32 s11, s23, s11
	v_addc_co_u32_e32 v7, vcc, v5, v3, vcc
	v_mov_b32_e32 v8, 2
	v_mov_b32_e32 v9, 0
	v_pk_mov_b32 v[34:35], s[10:11], s[10:11] op_sel:[0,1]
	;;#ASMSTART
	global_store_dwordx4 v[34:35], v[6:9] off	
s_waitcnt vmcnt(0)
	;;#ASMEND
	ds_write_b128 v9, v[2:5] offset:7168
.LBB123_70:
	s_or_b64 exec, exec, s[8:9]
	s_and_b64 exec, exec, s[0:1]
	s_cbranch_execz .LBB123_72
; %bb.71:
	v_mov_b32_e32 v2, 0
	ds_write_b64 v2, v[4:5] offset:24
.LBB123_72:
	s_or_b64 exec, exec, s[12:13]
	v_mov_b32_e32 v5, 0
	s_waitcnt lgkmcnt(0)
	s_barrier
	ds_read_b64 v[2:3], v5 offset:24
	v_cndmask_b32_e64 v4, v40, v32, s[6:7]
	v_cndmask_b32_e64 v1, v1, v33, s[6:7]
	v_cndmask_b32_e64 v4, v4, 0, s[0:1]
	v_cndmask_b32_e64 v1, v1, 0, s[0:1]
	s_waitcnt lgkmcnt(0)
	v_add_co_u32_e32 v40, vcc, v2, v4
	v_addc_co_u32_e32 v41, vcc, v3, v1, vcc
	v_add_co_u32_e32 v38, vcc, v40, v28
	v_addc_co_u32_e32 v39, vcc, 0, v41, vcc
	;; [unrolled: 2-line block ×5, first 2 shown]
	s_barrier
	ds_read_b128 v[4:7], v5 offset:7168
	v_add_co_u32_e32 v2, vcc, v32, v20
	v_addc_co_u32_e32 v3, vcc, 0, v33, vcc
	v_add_co_u32_e32 v8, vcc, v2, v18
	v_addc_co_u32_e32 v9, vcc, 0, v3, vcc
	s_branch .LBB123_85
.LBB123_73:
                                        ; implicit-def: $vgpr6_vgpr7
                                        ; implicit-def: $vgpr8_vgpr9
                                        ; implicit-def: $vgpr2_vgpr3
                                        ; implicit-def: $vgpr32_vgpr33
                                        ; implicit-def: $vgpr34_vgpr35
                                        ; implicit-def: $vgpr36_vgpr37
                                        ; implicit-def: $vgpr38_vgpr39
                                        ; implicit-def: $vgpr40_vgpr41
	s_cbranch_execz .LBB123_85
; %bb.74:
	v_mov_b32_dpp v1, v30 row_shr:1 row_mask:0xf bank_mask:0xf
	v_add_co_u32_e32 v1, vcc, v30, v1
	v_mov_b32_e32 v2, 0
	v_addc_co_u32_e32 v3, vcc, 0, v31, vcc
	s_nop 0
	v_mov_b32_dpp v2, v2 row_shr:1 row_mask:0xf bank_mask:0xf
	s_waitcnt lgkmcnt(0)
	v_add_co_u32_e32 v4, vcc, 0, v1
	v_addc_co_u32_e32 v2, vcc, v2, v3, vcc
	v_cndmask_b32_e64 v1, v1, v30, s[4:5]
	v_cndmask_b32_e64 v3, v2, 0, s[4:5]
	;; [unrolled: 1-line block ×3, first 2 shown]
	v_mov_b32_dpp v5, v1 row_shr:2 row_mask:0xf bank_mask:0xf
	v_cndmask_b32_e64 v2, v2, v31, s[4:5]
	v_mov_b32_dpp v6, v3 row_shr:2 row_mask:0xf bank_mask:0xf
	v_add_co_u32_e32 v5, vcc, v5, v4
	v_addc_co_u32_e32 v6, vcc, v6, v2, vcc
	v_cndmask_b32_e64 v1, v1, v5, s[2:3]
	v_cndmask_b32_e64 v3, v3, v6, s[2:3]
	;; [unrolled: 1-line block ×3, first 2 shown]
	v_mov_b32_dpp v5, v1 row_shr:4 row_mask:0xf bank_mask:0xf
	v_cndmask_b32_e64 v2, v2, v6, s[2:3]
	v_mov_b32_dpp v6, v3 row_shr:4 row_mask:0xf bank_mask:0xf
	v_add_co_u32_e32 v5, vcc, v5, v4
	v_addc_co_u32_e32 v6, vcc, v6, v2, vcc
	v_cmp_lt_u32_e32 vcc, 3, v29
	v_cndmask_b32_e32 v1, v1, v5, vcc
	v_cndmask_b32_e32 v3, v3, v6, vcc
	;; [unrolled: 1-line block ×3, first 2 shown]
	v_mov_b32_dpp v5, v1 row_shr:8 row_mask:0xf bank_mask:0xf
	v_cndmask_b32_e32 v2, v2, v6, vcc
	v_mov_b32_dpp v6, v3 row_shr:8 row_mask:0xf bank_mask:0xf
	v_add_co_u32_e32 v5, vcc, v5, v4
	v_addc_co_u32_e32 v6, vcc, v6, v2, vcc
	v_cmp_lt_u32_e32 vcc, 7, v29
	v_cndmask_b32_e32 v8, v1, v5, vcc
	v_cndmask_b32_e32 v7, v3, v6, vcc
	;; [unrolled: 1-line block ×4, first 2 shown]
	v_mov_b32_dpp v3, v8 row_bcast:15 row_mask:0xf bank_mask:0xf
	v_mov_b32_dpp v4, v7 row_bcast:15 row_mask:0xf bank_mask:0xf
	v_add_co_u32_e32 v3, vcc, v3, v2
	v_addc_co_u32_e32 v5, vcc, v4, v1, vcc
	v_cmp_eq_u32_e64 s[2:3], 0, v27
	v_cndmask_b32_e64 v6, v5, v7, s[2:3]
	v_cndmask_b32_e64 v4, v3, v8, s[2:3]
	v_cmp_eq_u32_e32 vcc, 0, v23
	v_mov_b32_dpp v6, v6 row_bcast:31 row_mask:0xf bank_mask:0xf
	v_mov_b32_dpp v4, v4 row_bcast:31 row_mask:0xf bank_mask:0xf
	v_cmp_ne_u32_e64 s[4:5], 0, v23
	s_and_saveexec_b64 s[6:7], s[4:5]
; %bb.75:
	v_cndmask_b32_e64 v1, v5, v1, s[2:3]
	v_cndmask_b32_e64 v2, v3, v2, s[2:3]
	v_cmp_lt_u32_e64 s[2:3], 31, v23
	v_cndmask_b32_e64 v4, 0, v4, s[2:3]
	v_cndmask_b32_e64 v3, 0, v6, s[2:3]
	v_add_co_u32_e64 v30, s[2:3], v4, v2
	v_addc_co_u32_e64 v31, s[2:3], v3, v1, s[2:3]
; %bb.76:
	s_or_b64 exec, exec, s[6:7]
	v_or_b32_e32 v2, 63, v0
	v_lshrrev_b32_e32 v1, 6, v0
	v_cmp_eq_u32_e64 s[2:3], v2, v0
	s_and_saveexec_b64 s[4:5], s[2:3]
	s_cbranch_execz .LBB123_78
; %bb.77:
	v_lshlrev_b32_e32 v2, 3, v1
	ds_write_b64 v2, v[30:31]
.LBB123_78:
	s_or_b64 exec, exec, s[4:5]
	v_cmp_gt_u32_e64 s[2:3], 4, v0
	s_waitcnt lgkmcnt(0)
	s_barrier
	s_and_saveexec_b64 s[6:7], s[2:3]
	s_cbranch_execz .LBB123_80
; %bb.79:
	v_add_u32_e32 v4, v25, v0
	ds_read_b64 v[2:3], v4
	v_and_b32_e32 v5, 3, v23
	v_cmp_ne_u32_e64 s[4:5], 1, v5
	s_waitcnt lgkmcnt(0)
	v_mov_b32_dpp v6, v2 row_shr:1 row_mask:0xf bank_mask:0xf
	v_add_co_u32_e64 v6, s[2:3], v2, v6
	v_addc_co_u32_e64 v8, s[2:3], 0, v3, s[2:3]
	v_mov_b32_dpp v7, v3 row_shr:1 row_mask:0xf bank_mask:0xf
	v_add_co_u32_e64 v9, s[2:3], 0, v6
	v_addc_co_u32_e64 v7, s[2:3], v7, v8, s[2:3]
	v_cmp_eq_u32_e64 s[2:3], 0, v5
	v_cndmask_b32_e64 v6, v6, v2, s[2:3]
	v_cndmask_b32_e64 v8, v7, v3, s[2:3]
	s_nop 0
	v_mov_b32_dpp v6, v6 row_shr:2 row_mask:0xf bank_mask:0xf
	v_mov_b32_dpp v8, v8 row_shr:2 row_mask:0xf bank_mask:0xf
	v_cndmask_b32_e64 v5, 0, v6, s[4:5]
	v_cndmask_b32_e64 v6, 0, v8, s[4:5]
	v_add_co_u32_e64 v5, s[4:5], v5, v9
	v_addc_co_u32_e64 v6, s[4:5], v6, v7, s[4:5]
	v_cndmask_b32_e64 v3, v6, v3, s[2:3]
	v_cndmask_b32_e64 v2, v5, v2, s[2:3]
	ds_write_b64 v4, v[2:3]
.LBB123_80:
	s_or_b64 exec, exec, s[6:7]
	v_cmp_lt_u32_e64 s[2:3], 63, v0
	v_pk_mov_b32 v[2:3], 0, 0
	s_waitcnt lgkmcnt(0)
	s_barrier
	s_and_saveexec_b64 s[4:5], s[2:3]
	s_cbranch_execz .LBB123_82
; %bb.81:
	v_lshl_add_u32 v1, v1, 3, -8
	ds_read_b64 v[2:3], v1
.LBB123_82:
	s_or_b64 exec, exec, s[4:5]
	s_waitcnt lgkmcnt(0)
	v_add_co_u32_e64 v1, s[2:3], v2, v30
	v_addc_co_u32_e64 v4, s[2:3], v3, v31, s[2:3]
	v_add_u32_e32 v5, -1, v23
	v_and_b32_e32 v6, 64, v23
	v_cmp_lt_i32_e64 s[2:3], v5, v6
	v_cndmask_b32_e64 v5, v5, v23, s[2:3]
	v_lshlrev_b32_e32 v5, 2, v5
	v_mov_b32_e32 v7, 0
	ds_bpermute_b32 v1, v5, v1
	ds_bpermute_b32 v8, v5, v4
	ds_read_b64 v[4:5], v7 offset:24
	s_and_saveexec_b64 s[2:3], s[0:1]
	s_cbranch_execz .LBB123_84
; %bb.83:
	s_add_u32 s4, s22, 0x400
	s_addc_u32 s5, s23, 0
	v_mov_b32_e32 v6, 2
	v_pk_mov_b32 v[30:31], s[4:5], s[4:5] op_sel:[0,1]
	s_waitcnt lgkmcnt(0)
	;;#ASMSTART
	global_store_dwordx4 v[30:31], v[4:7] off	
s_waitcnt vmcnt(0)
	;;#ASMEND
.LBB123_84:
	s_or_b64 exec, exec, s[2:3]
	s_waitcnt lgkmcnt(2)
	v_cndmask_b32_e32 v1, v1, v2, vcc
	s_waitcnt lgkmcnt(1)
	v_cndmask_b32_e32 v2, v8, v3, vcc
	v_cndmask_b32_e64 v40, v1, 0, s[0:1]
	v_cndmask_b32_e64 v41, v2, 0, s[0:1]
	v_add_co_u32_e32 v38, vcc, v40, v28
	v_addc_co_u32_e32 v39, vcc, 0, v41, vcc
	v_add_co_u32_e32 v36, vcc, v38, v26
	v_addc_co_u32_e32 v37, vcc, 0, v39, vcc
	;; [unrolled: 2-line block ×6, first 2 shown]
	s_waitcnt lgkmcnt(0)
	s_barrier
	v_pk_mov_b32 v[6:7], 0, 0
.LBB123_85:
	s_mov_b64 s[2:3], 0x101
	s_waitcnt lgkmcnt(0)
	v_cmp_gt_u64_e32 vcc, s[2:3], v[4:5]
	s_mov_b64 s[2:3], -1
	s_cbranch_vccnz .LBB123_89
; %bb.86:
	s_and_b64 vcc, exec, s[2:3]
	s_cbranch_vccnz .LBB123_111
.LBB123_87:
	s_and_b64 s[0:1], s[0:1], s[18:19]
	s_and_saveexec_b64 s[2:3], s[0:1]
	s_cbranch_execnz .LBB123_130
.LBB123_88:
	s_endpgm
.LBB123_89:
	v_add_co_u32_e32 v30, vcc, v6, v4
	v_addc_co_u32_e32 v31, vcc, v7, v5, vcc
	s_waitcnt vmcnt(0)
	v_lshlrev_b64 v[42:43], 2, v[12:13]
	v_mov_b32_e32 v23, s15
	v_add_co_u32_e32 v1, vcc, s14, v42
	v_addc_co_u32_e32 v23, vcc, v23, v43, vcc
	v_cmp_lt_u64_e32 vcc, v[40:41], v[30:31]
	s_or_b64 s[4:5], s[20:21], vcc
	s_and_saveexec_b64 s[2:3], s[4:5]
	s_cbranch_execz .LBB123_92
; %bb.90:
	v_cmp_eq_u32_e32 vcc, 1, v28
	s_and_b64 exec, exec, vcc
	s_cbranch_execz .LBB123_92
; %bb.91:
	v_lshlrev_b64 v[42:43], 2, v[40:41]
	v_add_co_u32_e32 v42, vcc, v1, v42
	v_addc_co_u32_e32 v43, vcc, v23, v43, vcc
	global_store_dword v[42:43], v16, off
.LBB123_92:
	s_or_b64 exec, exec, s[2:3]
	v_cmp_lt_u64_e32 vcc, v[38:39], v[30:31]
	s_or_b64 s[4:5], s[20:21], vcc
	s_and_saveexec_b64 s[2:3], s[4:5]
	s_cbranch_execz .LBB123_95
; %bb.93:
	v_cmp_eq_u32_e32 vcc, 1, v26
	s_and_b64 exec, exec, vcc
	s_cbranch_execz .LBB123_95
; %bb.94:
	v_lshlrev_b64 v[42:43], 2, v[38:39]
	v_add_co_u32_e32 v42, vcc, v1, v42
	v_addc_co_u32_e32 v43, vcc, v23, v43, vcc
	global_store_dword v[42:43], v17, off
.LBB123_95:
	s_or_b64 exec, exec, s[2:3]
	;; [unrolled: 15-line block ×7, first 2 shown]
	s_branch .LBB123_87
.LBB123_111:
	v_cmp_eq_u32_e32 vcc, 1, v28
	s_and_saveexec_b64 s[2:3], vcc
	s_cbranch_execnz .LBB123_131
; %bb.112:
	s_or_b64 exec, exec, s[2:3]
	v_cmp_eq_u32_e32 vcc, 1, v26
	s_and_saveexec_b64 s[2:3], vcc
	s_cbranch_execnz .LBB123_132
.LBB123_113:
	s_or_b64 exec, exec, s[2:3]
	v_cmp_eq_u32_e32 vcc, 1, v24
	s_and_saveexec_b64 s[2:3], vcc
	s_cbranch_execnz .LBB123_133
.LBB123_114:
	s_or_b64 exec, exec, s[2:3]
	v_cmp_eq_u32_e32 vcc, 1, v22
	s_and_saveexec_b64 s[2:3], vcc
	s_cbranch_execnz .LBB123_134
.LBB123_115:
	s_or_b64 exec, exec, s[2:3]
	v_cmp_eq_u32_e32 vcc, 1, v20
	s_and_saveexec_b64 s[2:3], vcc
	s_cbranch_execnz .LBB123_135
.LBB123_116:
	s_or_b64 exec, exec, s[2:3]
	v_cmp_eq_u32_e32 vcc, 1, v18
	s_and_saveexec_b64 s[2:3], vcc
	s_cbranch_execnz .LBB123_136
.LBB123_117:
	s_or_b64 exec, exec, s[2:3]
	v_cmp_eq_u32_e32 vcc, 1, v21
	s_and_saveexec_b64 s[2:3], vcc
	s_cbranch_execz .LBB123_119
.LBB123_118:
	v_sub_u32_e32 v1, v8, v6
	v_lshlrev_b32_e32 v1, 2, v1
	ds_write_b32 v1, v19
.LBB123_119:
	s_or_b64 exec, exec, s[2:3]
	v_mov_b32_e32 v1, 0
	v_cmp_gt_u64_e32 vcc, v[4:5], v[0:1]
	s_waitcnt lgkmcnt(0)
	s_barrier
	s_and_saveexec_b64 s[8:9], vcc
	s_cbranch_execz .LBB123_129
; %bb.120:
	v_not_b32_e32 v3, v0
	v_not_b32_e32 v2, 0
	v_add_co_u32_e32 v8, vcc, v4, v3
	v_addc_co_u32_e32 v9, vcc, v5, v2, vcc
	s_mov_b64 s[2:3], 0x2f00
	s_mov_b64 s[4:5], 0x2eff
	v_cmp_gt_u64_e64 s[2:3], s[2:3], v[8:9]
	v_cmp_lt_u64_e32 vcc, s[4:5], v[8:9]
	v_pk_mov_b32 v[2:3], v[0:1], v[0:1] op_sel:[0,1]
	s_and_saveexec_b64 s[10:11], vcc
	s_cbranch_execz .LBB123_126
; %bb.121:
	v_alignbit_b32 v2, v9, v8, 8
	s_mov_b32 s4, 0xffffff
	s_mov_b32 s6, -1
	v_lshlrev_b32_e32 v3, 8, v2
	v_cmp_lt_u32_e32 vcc, s4, v2
	v_not_b32_e32 v2, v0
	s_movk_i32 s7, 0xff
	v_cmp_gt_u32_e64 s[4:5], v3, v2
	v_xor_b32_e32 v2, 0xfffffeff, v0
	v_cmp_lt_u64_e64 s[6:7], s[6:7], v[8:9]
	s_or_b64 s[12:13], s[4:5], vcc
	v_cmp_lt_u32_e64 s[4:5], v2, v3
	s_or_b64 s[6:7], vcc, s[6:7]
	s_or_b64 s[4:5], s[6:7], s[4:5]
	s_or_b64 s[6:7], s[12:13], s[4:5]
	s_mov_b64 s[4:5], -1
	s_xor_b64 s[12:13], s[6:7], -1
	v_pk_mov_b32 v[2:3], v[0:1], v[0:1] op_sel:[0,1]
	s_and_saveexec_b64 s[6:7], s[12:13]
	s_cbranch_execz .LBB123_125
; %bb.122:
	v_lshrrev_b64 v[2:3], 8, v[8:9]
	v_add_co_u32_e32 v14, vcc, 1, v2
	v_addc_co_u32_e32 v15, vcc, 0, v3, vcc
	v_lshlrev_b64 v[8:9], 2, v[6:7]
	s_waitcnt vmcnt(0)
	v_lshlrev_b64 v[10:11], 2, v[12:13]
	v_add_co_u32_e32 v8, vcc, v8, v10
	v_addc_co_u32_e32 v9, vcc, v9, v11, vcc
	v_mov_b32_e32 v11, s15
	v_add_co_u32_e32 v8, vcc, s14, v8
	v_lshlrev_b32_e32 v10, 2, v0
	v_addc_co_u32_e32 v9, vcc, v11, v9, vcc
	v_add_co_u32_e32 v8, vcc, v8, v10
	v_addc_co_u32_e32 v9, vcc, 0, v9, vcc
	s_movk_i32 s4, 0x400
	v_or_b32_e32 v2, 0x100, v0
	v_mov_b32_e32 v3, v1
	v_add_co_u32_e32 v18, vcc, s4, v8
	v_and_b32_e32 v16, -2, v14
	v_mov_b32_e32 v17, v15
	v_addc_co_u32_e32 v19, vcc, 0, v9, vcc
	v_pk_mov_b32 v[10:11], v[2:3], v[2:3] op_sel:[0,1]
	s_mov_b64 s[12:13], 0
	v_pk_mov_b32 v[20:21], v[16:17], v[16:17] op_sel:[0,1]
	v_pk_mov_b32 v[8:9], v[0:1], v[0:1] op_sel:[0,1]
.LBB123_123:                            ; =>This Inner Loop Header: Depth=1
	v_lshlrev_b32_e32 v1, 2, v8
	v_lshlrev_b32_e32 v2, 2, v10
	ds_read_b32 v1, v1
	ds_read_b32 v2, v2
	v_add_co_u32_e32 v10, vcc, 0x200, v10
	v_addc_co_u32_e32 v11, vcc, 0, v11, vcc
	v_add_co_u32_e64 v20, s[4:5], -2, v20
	v_add_co_u32_e32 v8, vcc, 0x200, v8
	v_addc_co_u32_e64 v21, s[4:5], -1, v21, s[4:5]
	v_addc_co_u32_e32 v9, vcc, 0, v9, vcc
	v_cmp_eq_u64_e64 s[4:5], 0, v[20:21]
	s_waitcnt lgkmcnt(1)
	global_store_dword v[18:19], v1, off offset:-1024
	s_waitcnt lgkmcnt(0)
	global_store_dword v[18:19], v2, off
	v_add_co_u32_e32 v18, vcc, 0x800, v18
	s_or_b64 s[12:13], s[4:5], s[12:13]
	v_addc_co_u32_e32 v19, vcc, 0, v19, vcc
	s_andn2_b64 exec, exec, s[12:13]
	s_cbranch_execnz .LBB123_123
; %bb.124:
	s_or_b64 exec, exec, s[12:13]
	v_lshlrev_b64 v[2:3], 8, v[16:17]
	v_cmp_ne_u64_e32 vcc, v[14:15], v[16:17]
	v_or_b32_e32 v3, 0, v3
	v_or_b32_e32 v2, v2, v0
	v_lshl_or_b32 v0, v16, 8, v0
	s_orn2_b64 s[4:5], vcc, exec
.LBB123_125:
	s_or_b64 exec, exec, s[6:7]
	s_andn2_b64 s[2:3], s[2:3], exec
	s_and_b64 s[4:5], s[4:5], exec
	s_or_b64 s[2:3], s[2:3], s[4:5]
.LBB123_126:
	s_or_b64 exec, exec, s[10:11]
	s_and_b64 exec, exec, s[2:3]
	s_cbranch_execz .LBB123_129
; %bb.127:
	v_lshlrev_b64 v[8:9], 2, v[6:7]
	v_mov_b32_e32 v1, s15
	v_add_co_u32_e32 v10, vcc, s14, v8
	v_addc_co_u32_e32 v1, vcc, v1, v9, vcc
	s_waitcnt vmcnt(0)
	v_lshlrev_b64 v[8:9], 2, v[12:13]
	v_add_co_u32_e32 v8, vcc, v10, v8
	v_addc_co_u32_e32 v9, vcc, v1, v9, vcc
	v_add_u32_e32 v0, 0x100, v0
	s_mov_b64 s[4:5], 0
	v_mov_b32_e32 v1, 0
.LBB123_128:                            ; =>This Inner Loop Header: Depth=1
	v_lshlrev_b32_e32 v14, 2, v2
	ds_read_b32 v14, v14
	v_lshlrev_b64 v[10:11], 2, v[2:3]
	v_cmp_le_u64_e32 vcc, v[4:5], v[0:1]
	v_add_co_u32_e64 v10, s[2:3], v8, v10
	v_pk_mov_b32 v[2:3], v[0:1], v[0:1] op_sel:[0,1]
	v_add_u32_e32 v0, 0x100, v0
	v_addc_co_u32_e64 v11, s[2:3], v9, v11, s[2:3]
	s_or_b64 s[4:5], vcc, s[4:5]
	s_waitcnt lgkmcnt(0)
	global_store_dword v[10:11], v14, off
	s_andn2_b64 exec, exec, s[4:5]
	s_cbranch_execnz .LBB123_128
.LBB123_129:
	s_or_b64 exec, exec, s[8:9]
	s_and_b64 s[0:1], s[0:1], s[18:19]
	s_and_saveexec_b64 s[2:3], s[0:1]
	s_cbranch_execz .LBB123_88
.LBB123_130:
	v_add_co_u32_e32 v0, vcc, v6, v4
	v_addc_co_u32_e32 v1, vcc, v7, v5, vcc
	s_waitcnt vmcnt(0)
	v_add_co_u32_e32 v0, vcc, v0, v12
	v_mov_b32_e32 v2, 0
	v_addc_co_u32_e32 v1, vcc, v1, v13, vcc
	global_store_dwordx2 v2, v[0:1], s[16:17]
	s_endpgm
.LBB123_131:
	v_sub_u32_e32 v1, v40, v6
	v_lshlrev_b32_e32 v1, 2, v1
	ds_write_b32 v1, v16
	s_or_b64 exec, exec, s[2:3]
	v_cmp_eq_u32_e32 vcc, 1, v26
	s_and_saveexec_b64 s[2:3], vcc
	s_cbranch_execz .LBB123_113
.LBB123_132:
	v_sub_u32_e32 v1, v38, v6
	v_lshlrev_b32_e32 v1, 2, v1
	ds_write_b32 v1, v17
	s_or_b64 exec, exec, s[2:3]
	v_cmp_eq_u32_e32 vcc, 1, v24
	s_and_saveexec_b64 s[2:3], vcc
	s_cbranch_execz .LBB123_114
.LBB123_133:
	v_sub_u32_e32 v1, v36, v6
	v_lshlrev_b32_e32 v1, 2, v1
	ds_write_b32 v1, v14
	s_or_b64 exec, exec, s[2:3]
	v_cmp_eq_u32_e32 vcc, 1, v22
	s_and_saveexec_b64 s[2:3], vcc
	s_cbranch_execz .LBB123_115
.LBB123_134:
	v_sub_u32_e32 v1, v34, v6
	v_lshlrev_b32_e32 v1, 2, v1
	ds_write_b32 v1, v15
	s_or_b64 exec, exec, s[2:3]
	v_cmp_eq_u32_e32 vcc, 1, v20
	s_and_saveexec_b64 s[2:3], vcc
	s_cbranch_execz .LBB123_116
.LBB123_135:
	v_sub_u32_e32 v1, v32, v6
	v_lshlrev_b32_e32 v1, 2, v1
	ds_write_b32 v1, v10
	s_or_b64 exec, exec, s[2:3]
	v_cmp_eq_u32_e32 vcc, 1, v18
	s_and_saveexec_b64 s[2:3], vcc
	s_cbranch_execz .LBB123_117
.LBB123_136:
	v_sub_u32_e32 v1, v2, v6
	v_lshlrev_b32_e32 v1, 2, v1
	ds_write_b32 v1, v11
	s_or_b64 exec, exec, s[2:3]
	v_cmp_eq_u32_e32 vcc, 1, v21
	s_and_saveexec_b64 s[2:3], vcc
	s_cbranch_execnz .LBB123_118
	s_branch .LBB123_119
	.section	.rodata,"a",@progbits
	.p2align	6, 0x0
	.amdhsa_kernel _ZN7rocprim17ROCPRIM_400000_NS6detail17trampoline_kernelINS0_14default_configENS1_25partition_config_selectorILNS1_17partition_subalgoE5EiNS0_10empty_typeEbEEZZNS1_14partition_implILS5_5ELb0ES3_mPiPS6_N6thrust23THRUST_200600_302600_NS18transform_iteratorINSC_6detail9not_fun_tIN6dUtils8isNotOneIiEEEES9_NSC_11use_defaultESK_EENS0_5tupleIJS9_S6_EEENSM_IJSA_SA_EEES6_PlJS6_EEE10hipError_tPvRmT3_T4_T5_T6_T7_T9_mT8_P12ihipStream_tbDpT10_ENKUlT_T0_E_clISt17integral_constantIbLb1EES19_EEDaS14_S15_EUlS14_E_NS1_11comp_targetILNS1_3genE4ELNS1_11target_archE910ELNS1_3gpuE8ELNS1_3repE0EEENS1_30default_config_static_selectorELNS0_4arch9wavefront6targetE1EEEvT1_
		.amdhsa_group_segment_fixed_size 7184
		.amdhsa_private_segment_fixed_size 0
		.amdhsa_kernarg_size 136
		.amdhsa_user_sgpr_count 6
		.amdhsa_user_sgpr_private_segment_buffer 1
		.amdhsa_user_sgpr_dispatch_ptr 0
		.amdhsa_user_sgpr_queue_ptr 0
		.amdhsa_user_sgpr_kernarg_segment_ptr 1
		.amdhsa_user_sgpr_dispatch_id 0
		.amdhsa_user_sgpr_flat_scratch_init 0
		.amdhsa_user_sgpr_kernarg_preload_length 0
		.amdhsa_user_sgpr_kernarg_preload_offset 0
		.amdhsa_user_sgpr_private_segment_size 0
		.amdhsa_uses_dynamic_stack 0
		.amdhsa_system_sgpr_private_segment_wavefront_offset 0
		.amdhsa_system_sgpr_workgroup_id_x 1
		.amdhsa_system_sgpr_workgroup_id_y 0
		.amdhsa_system_sgpr_workgroup_id_z 0
		.amdhsa_system_sgpr_workgroup_info 0
		.amdhsa_system_vgpr_workitem_id 0
		.amdhsa_next_free_vgpr 58
		.amdhsa_next_free_sgpr 28
		.amdhsa_accum_offset 60
		.amdhsa_reserve_vcc 1
		.amdhsa_reserve_flat_scratch 0
		.amdhsa_float_round_mode_32 0
		.amdhsa_float_round_mode_16_64 0
		.amdhsa_float_denorm_mode_32 3
		.amdhsa_float_denorm_mode_16_64 3
		.amdhsa_dx10_clamp 1
		.amdhsa_ieee_mode 1
		.amdhsa_fp16_overflow 0
		.amdhsa_tg_split 0
		.amdhsa_exception_fp_ieee_invalid_op 0
		.amdhsa_exception_fp_denorm_src 0
		.amdhsa_exception_fp_ieee_div_zero 0
		.amdhsa_exception_fp_ieee_overflow 0
		.amdhsa_exception_fp_ieee_underflow 0
		.amdhsa_exception_fp_ieee_inexact 0
		.amdhsa_exception_int_div_zero 0
	.end_amdhsa_kernel
	.section	.text._ZN7rocprim17ROCPRIM_400000_NS6detail17trampoline_kernelINS0_14default_configENS1_25partition_config_selectorILNS1_17partition_subalgoE5EiNS0_10empty_typeEbEEZZNS1_14partition_implILS5_5ELb0ES3_mPiPS6_N6thrust23THRUST_200600_302600_NS18transform_iteratorINSC_6detail9not_fun_tIN6dUtils8isNotOneIiEEEES9_NSC_11use_defaultESK_EENS0_5tupleIJS9_S6_EEENSM_IJSA_SA_EEES6_PlJS6_EEE10hipError_tPvRmT3_T4_T5_T6_T7_T9_mT8_P12ihipStream_tbDpT10_ENKUlT_T0_E_clISt17integral_constantIbLb1EES19_EEDaS14_S15_EUlS14_E_NS1_11comp_targetILNS1_3genE4ELNS1_11target_archE910ELNS1_3gpuE8ELNS1_3repE0EEENS1_30default_config_static_selectorELNS0_4arch9wavefront6targetE1EEEvT1_,"axG",@progbits,_ZN7rocprim17ROCPRIM_400000_NS6detail17trampoline_kernelINS0_14default_configENS1_25partition_config_selectorILNS1_17partition_subalgoE5EiNS0_10empty_typeEbEEZZNS1_14partition_implILS5_5ELb0ES3_mPiPS6_N6thrust23THRUST_200600_302600_NS18transform_iteratorINSC_6detail9not_fun_tIN6dUtils8isNotOneIiEEEES9_NSC_11use_defaultESK_EENS0_5tupleIJS9_S6_EEENSM_IJSA_SA_EEES6_PlJS6_EEE10hipError_tPvRmT3_T4_T5_T6_T7_T9_mT8_P12ihipStream_tbDpT10_ENKUlT_T0_E_clISt17integral_constantIbLb1EES19_EEDaS14_S15_EUlS14_E_NS1_11comp_targetILNS1_3genE4ELNS1_11target_archE910ELNS1_3gpuE8ELNS1_3repE0EEENS1_30default_config_static_selectorELNS0_4arch9wavefront6targetE1EEEvT1_,comdat
.Lfunc_end123:
	.size	_ZN7rocprim17ROCPRIM_400000_NS6detail17trampoline_kernelINS0_14default_configENS1_25partition_config_selectorILNS1_17partition_subalgoE5EiNS0_10empty_typeEbEEZZNS1_14partition_implILS5_5ELb0ES3_mPiPS6_N6thrust23THRUST_200600_302600_NS18transform_iteratorINSC_6detail9not_fun_tIN6dUtils8isNotOneIiEEEES9_NSC_11use_defaultESK_EENS0_5tupleIJS9_S6_EEENSM_IJSA_SA_EEES6_PlJS6_EEE10hipError_tPvRmT3_T4_T5_T6_T7_T9_mT8_P12ihipStream_tbDpT10_ENKUlT_T0_E_clISt17integral_constantIbLb1EES19_EEDaS14_S15_EUlS14_E_NS1_11comp_targetILNS1_3genE4ELNS1_11target_archE910ELNS1_3gpuE8ELNS1_3repE0EEENS1_30default_config_static_selectorELNS0_4arch9wavefront6targetE1EEEvT1_, .Lfunc_end123-_ZN7rocprim17ROCPRIM_400000_NS6detail17trampoline_kernelINS0_14default_configENS1_25partition_config_selectorILNS1_17partition_subalgoE5EiNS0_10empty_typeEbEEZZNS1_14partition_implILS5_5ELb0ES3_mPiPS6_N6thrust23THRUST_200600_302600_NS18transform_iteratorINSC_6detail9not_fun_tIN6dUtils8isNotOneIiEEEES9_NSC_11use_defaultESK_EENS0_5tupleIJS9_S6_EEENSM_IJSA_SA_EEES6_PlJS6_EEE10hipError_tPvRmT3_T4_T5_T6_T7_T9_mT8_P12ihipStream_tbDpT10_ENKUlT_T0_E_clISt17integral_constantIbLb1EES19_EEDaS14_S15_EUlS14_E_NS1_11comp_targetILNS1_3genE4ELNS1_11target_archE910ELNS1_3gpuE8ELNS1_3repE0EEENS1_30default_config_static_selectorELNS0_4arch9wavefront6targetE1EEEvT1_
                                        ; -- End function
	.section	.AMDGPU.csdata,"",@progbits
; Kernel info:
; codeLenInByte = 6820
; NumSgprs: 32
; NumVgprs: 58
; NumAgprs: 0
; TotalNumVgprs: 58
; ScratchSize: 0
; MemoryBound: 0
; FloatMode: 240
; IeeeMode: 1
; LDSByteSize: 7184 bytes/workgroup (compile time only)
; SGPRBlocks: 3
; VGPRBlocks: 7
; NumSGPRsForWavesPerEU: 32
; NumVGPRsForWavesPerEU: 58
; AccumOffset: 60
; Occupancy: 8
; WaveLimiterHint : 1
; COMPUTE_PGM_RSRC2:SCRATCH_EN: 0
; COMPUTE_PGM_RSRC2:USER_SGPR: 6
; COMPUTE_PGM_RSRC2:TRAP_HANDLER: 0
; COMPUTE_PGM_RSRC2:TGID_X_EN: 1
; COMPUTE_PGM_RSRC2:TGID_Y_EN: 0
; COMPUTE_PGM_RSRC2:TGID_Z_EN: 0
; COMPUTE_PGM_RSRC2:TIDIG_COMP_CNT: 0
; COMPUTE_PGM_RSRC3_GFX90A:ACCUM_OFFSET: 14
; COMPUTE_PGM_RSRC3_GFX90A:TG_SPLIT: 0
	.section	.text._ZN7rocprim17ROCPRIM_400000_NS6detail17trampoline_kernelINS0_14default_configENS1_25partition_config_selectorILNS1_17partition_subalgoE5EiNS0_10empty_typeEbEEZZNS1_14partition_implILS5_5ELb0ES3_mPiPS6_N6thrust23THRUST_200600_302600_NS18transform_iteratorINSC_6detail9not_fun_tIN6dUtils8isNotOneIiEEEES9_NSC_11use_defaultESK_EENS0_5tupleIJS9_S6_EEENSM_IJSA_SA_EEES6_PlJS6_EEE10hipError_tPvRmT3_T4_T5_T6_T7_T9_mT8_P12ihipStream_tbDpT10_ENKUlT_T0_E_clISt17integral_constantIbLb1EES19_EEDaS14_S15_EUlS14_E_NS1_11comp_targetILNS1_3genE3ELNS1_11target_archE908ELNS1_3gpuE7ELNS1_3repE0EEENS1_30default_config_static_selectorELNS0_4arch9wavefront6targetE1EEEvT1_,"axG",@progbits,_ZN7rocprim17ROCPRIM_400000_NS6detail17trampoline_kernelINS0_14default_configENS1_25partition_config_selectorILNS1_17partition_subalgoE5EiNS0_10empty_typeEbEEZZNS1_14partition_implILS5_5ELb0ES3_mPiPS6_N6thrust23THRUST_200600_302600_NS18transform_iteratorINSC_6detail9not_fun_tIN6dUtils8isNotOneIiEEEES9_NSC_11use_defaultESK_EENS0_5tupleIJS9_S6_EEENSM_IJSA_SA_EEES6_PlJS6_EEE10hipError_tPvRmT3_T4_T5_T6_T7_T9_mT8_P12ihipStream_tbDpT10_ENKUlT_T0_E_clISt17integral_constantIbLb1EES19_EEDaS14_S15_EUlS14_E_NS1_11comp_targetILNS1_3genE3ELNS1_11target_archE908ELNS1_3gpuE7ELNS1_3repE0EEENS1_30default_config_static_selectorELNS0_4arch9wavefront6targetE1EEEvT1_,comdat
	.protected	_ZN7rocprim17ROCPRIM_400000_NS6detail17trampoline_kernelINS0_14default_configENS1_25partition_config_selectorILNS1_17partition_subalgoE5EiNS0_10empty_typeEbEEZZNS1_14partition_implILS5_5ELb0ES3_mPiPS6_N6thrust23THRUST_200600_302600_NS18transform_iteratorINSC_6detail9not_fun_tIN6dUtils8isNotOneIiEEEES9_NSC_11use_defaultESK_EENS0_5tupleIJS9_S6_EEENSM_IJSA_SA_EEES6_PlJS6_EEE10hipError_tPvRmT3_T4_T5_T6_T7_T9_mT8_P12ihipStream_tbDpT10_ENKUlT_T0_E_clISt17integral_constantIbLb1EES19_EEDaS14_S15_EUlS14_E_NS1_11comp_targetILNS1_3genE3ELNS1_11target_archE908ELNS1_3gpuE7ELNS1_3repE0EEENS1_30default_config_static_selectorELNS0_4arch9wavefront6targetE1EEEvT1_ ; -- Begin function _ZN7rocprim17ROCPRIM_400000_NS6detail17trampoline_kernelINS0_14default_configENS1_25partition_config_selectorILNS1_17partition_subalgoE5EiNS0_10empty_typeEbEEZZNS1_14partition_implILS5_5ELb0ES3_mPiPS6_N6thrust23THRUST_200600_302600_NS18transform_iteratorINSC_6detail9not_fun_tIN6dUtils8isNotOneIiEEEES9_NSC_11use_defaultESK_EENS0_5tupleIJS9_S6_EEENSM_IJSA_SA_EEES6_PlJS6_EEE10hipError_tPvRmT3_T4_T5_T6_T7_T9_mT8_P12ihipStream_tbDpT10_ENKUlT_T0_E_clISt17integral_constantIbLb1EES19_EEDaS14_S15_EUlS14_E_NS1_11comp_targetILNS1_3genE3ELNS1_11target_archE908ELNS1_3gpuE7ELNS1_3repE0EEENS1_30default_config_static_selectorELNS0_4arch9wavefront6targetE1EEEvT1_
	.globl	_ZN7rocprim17ROCPRIM_400000_NS6detail17trampoline_kernelINS0_14default_configENS1_25partition_config_selectorILNS1_17partition_subalgoE5EiNS0_10empty_typeEbEEZZNS1_14partition_implILS5_5ELb0ES3_mPiPS6_N6thrust23THRUST_200600_302600_NS18transform_iteratorINSC_6detail9not_fun_tIN6dUtils8isNotOneIiEEEES9_NSC_11use_defaultESK_EENS0_5tupleIJS9_S6_EEENSM_IJSA_SA_EEES6_PlJS6_EEE10hipError_tPvRmT3_T4_T5_T6_T7_T9_mT8_P12ihipStream_tbDpT10_ENKUlT_T0_E_clISt17integral_constantIbLb1EES19_EEDaS14_S15_EUlS14_E_NS1_11comp_targetILNS1_3genE3ELNS1_11target_archE908ELNS1_3gpuE7ELNS1_3repE0EEENS1_30default_config_static_selectorELNS0_4arch9wavefront6targetE1EEEvT1_
	.p2align	8
	.type	_ZN7rocprim17ROCPRIM_400000_NS6detail17trampoline_kernelINS0_14default_configENS1_25partition_config_selectorILNS1_17partition_subalgoE5EiNS0_10empty_typeEbEEZZNS1_14partition_implILS5_5ELb0ES3_mPiPS6_N6thrust23THRUST_200600_302600_NS18transform_iteratorINSC_6detail9not_fun_tIN6dUtils8isNotOneIiEEEES9_NSC_11use_defaultESK_EENS0_5tupleIJS9_S6_EEENSM_IJSA_SA_EEES6_PlJS6_EEE10hipError_tPvRmT3_T4_T5_T6_T7_T9_mT8_P12ihipStream_tbDpT10_ENKUlT_T0_E_clISt17integral_constantIbLb1EES19_EEDaS14_S15_EUlS14_E_NS1_11comp_targetILNS1_3genE3ELNS1_11target_archE908ELNS1_3gpuE7ELNS1_3repE0EEENS1_30default_config_static_selectorELNS0_4arch9wavefront6targetE1EEEvT1_,@function
_ZN7rocprim17ROCPRIM_400000_NS6detail17trampoline_kernelINS0_14default_configENS1_25partition_config_selectorILNS1_17partition_subalgoE5EiNS0_10empty_typeEbEEZZNS1_14partition_implILS5_5ELb0ES3_mPiPS6_N6thrust23THRUST_200600_302600_NS18transform_iteratorINSC_6detail9not_fun_tIN6dUtils8isNotOneIiEEEES9_NSC_11use_defaultESK_EENS0_5tupleIJS9_S6_EEENSM_IJSA_SA_EEES6_PlJS6_EEE10hipError_tPvRmT3_T4_T5_T6_T7_T9_mT8_P12ihipStream_tbDpT10_ENKUlT_T0_E_clISt17integral_constantIbLb1EES19_EEDaS14_S15_EUlS14_E_NS1_11comp_targetILNS1_3genE3ELNS1_11target_archE908ELNS1_3gpuE7ELNS1_3repE0EEENS1_30default_config_static_selectorELNS0_4arch9wavefront6targetE1EEEvT1_: ; @_ZN7rocprim17ROCPRIM_400000_NS6detail17trampoline_kernelINS0_14default_configENS1_25partition_config_selectorILNS1_17partition_subalgoE5EiNS0_10empty_typeEbEEZZNS1_14partition_implILS5_5ELb0ES3_mPiPS6_N6thrust23THRUST_200600_302600_NS18transform_iteratorINSC_6detail9not_fun_tIN6dUtils8isNotOneIiEEEES9_NSC_11use_defaultESK_EENS0_5tupleIJS9_S6_EEENSM_IJSA_SA_EEES6_PlJS6_EEE10hipError_tPvRmT3_T4_T5_T6_T7_T9_mT8_P12ihipStream_tbDpT10_ENKUlT_T0_E_clISt17integral_constantIbLb1EES19_EEDaS14_S15_EUlS14_E_NS1_11comp_targetILNS1_3genE3ELNS1_11target_archE908ELNS1_3gpuE7ELNS1_3repE0EEENS1_30default_config_static_selectorELNS0_4arch9wavefront6targetE1EEEvT1_
; %bb.0:
	.section	.rodata,"a",@progbits
	.p2align	6, 0x0
	.amdhsa_kernel _ZN7rocprim17ROCPRIM_400000_NS6detail17trampoline_kernelINS0_14default_configENS1_25partition_config_selectorILNS1_17partition_subalgoE5EiNS0_10empty_typeEbEEZZNS1_14partition_implILS5_5ELb0ES3_mPiPS6_N6thrust23THRUST_200600_302600_NS18transform_iteratorINSC_6detail9not_fun_tIN6dUtils8isNotOneIiEEEES9_NSC_11use_defaultESK_EENS0_5tupleIJS9_S6_EEENSM_IJSA_SA_EEES6_PlJS6_EEE10hipError_tPvRmT3_T4_T5_T6_T7_T9_mT8_P12ihipStream_tbDpT10_ENKUlT_T0_E_clISt17integral_constantIbLb1EES19_EEDaS14_S15_EUlS14_E_NS1_11comp_targetILNS1_3genE3ELNS1_11target_archE908ELNS1_3gpuE7ELNS1_3repE0EEENS1_30default_config_static_selectorELNS0_4arch9wavefront6targetE1EEEvT1_
		.amdhsa_group_segment_fixed_size 0
		.amdhsa_private_segment_fixed_size 0
		.amdhsa_kernarg_size 136
		.amdhsa_user_sgpr_count 6
		.amdhsa_user_sgpr_private_segment_buffer 1
		.amdhsa_user_sgpr_dispatch_ptr 0
		.amdhsa_user_sgpr_queue_ptr 0
		.amdhsa_user_sgpr_kernarg_segment_ptr 1
		.amdhsa_user_sgpr_dispatch_id 0
		.amdhsa_user_sgpr_flat_scratch_init 0
		.amdhsa_user_sgpr_kernarg_preload_length 0
		.amdhsa_user_sgpr_kernarg_preload_offset 0
		.amdhsa_user_sgpr_private_segment_size 0
		.amdhsa_uses_dynamic_stack 0
		.amdhsa_system_sgpr_private_segment_wavefront_offset 0
		.amdhsa_system_sgpr_workgroup_id_x 1
		.amdhsa_system_sgpr_workgroup_id_y 0
		.amdhsa_system_sgpr_workgroup_id_z 0
		.amdhsa_system_sgpr_workgroup_info 0
		.amdhsa_system_vgpr_workitem_id 0
		.amdhsa_next_free_vgpr 1
		.amdhsa_next_free_sgpr 0
		.amdhsa_accum_offset 4
		.amdhsa_reserve_vcc 0
		.amdhsa_reserve_flat_scratch 0
		.amdhsa_float_round_mode_32 0
		.amdhsa_float_round_mode_16_64 0
		.amdhsa_float_denorm_mode_32 3
		.amdhsa_float_denorm_mode_16_64 3
		.amdhsa_dx10_clamp 1
		.amdhsa_ieee_mode 1
		.amdhsa_fp16_overflow 0
		.amdhsa_tg_split 0
		.amdhsa_exception_fp_ieee_invalid_op 0
		.amdhsa_exception_fp_denorm_src 0
		.amdhsa_exception_fp_ieee_div_zero 0
		.amdhsa_exception_fp_ieee_overflow 0
		.amdhsa_exception_fp_ieee_underflow 0
		.amdhsa_exception_fp_ieee_inexact 0
		.amdhsa_exception_int_div_zero 0
	.end_amdhsa_kernel
	.section	.text._ZN7rocprim17ROCPRIM_400000_NS6detail17trampoline_kernelINS0_14default_configENS1_25partition_config_selectorILNS1_17partition_subalgoE5EiNS0_10empty_typeEbEEZZNS1_14partition_implILS5_5ELb0ES3_mPiPS6_N6thrust23THRUST_200600_302600_NS18transform_iteratorINSC_6detail9not_fun_tIN6dUtils8isNotOneIiEEEES9_NSC_11use_defaultESK_EENS0_5tupleIJS9_S6_EEENSM_IJSA_SA_EEES6_PlJS6_EEE10hipError_tPvRmT3_T4_T5_T6_T7_T9_mT8_P12ihipStream_tbDpT10_ENKUlT_T0_E_clISt17integral_constantIbLb1EES19_EEDaS14_S15_EUlS14_E_NS1_11comp_targetILNS1_3genE3ELNS1_11target_archE908ELNS1_3gpuE7ELNS1_3repE0EEENS1_30default_config_static_selectorELNS0_4arch9wavefront6targetE1EEEvT1_,"axG",@progbits,_ZN7rocprim17ROCPRIM_400000_NS6detail17trampoline_kernelINS0_14default_configENS1_25partition_config_selectorILNS1_17partition_subalgoE5EiNS0_10empty_typeEbEEZZNS1_14partition_implILS5_5ELb0ES3_mPiPS6_N6thrust23THRUST_200600_302600_NS18transform_iteratorINSC_6detail9not_fun_tIN6dUtils8isNotOneIiEEEES9_NSC_11use_defaultESK_EENS0_5tupleIJS9_S6_EEENSM_IJSA_SA_EEES6_PlJS6_EEE10hipError_tPvRmT3_T4_T5_T6_T7_T9_mT8_P12ihipStream_tbDpT10_ENKUlT_T0_E_clISt17integral_constantIbLb1EES19_EEDaS14_S15_EUlS14_E_NS1_11comp_targetILNS1_3genE3ELNS1_11target_archE908ELNS1_3gpuE7ELNS1_3repE0EEENS1_30default_config_static_selectorELNS0_4arch9wavefront6targetE1EEEvT1_,comdat
.Lfunc_end124:
	.size	_ZN7rocprim17ROCPRIM_400000_NS6detail17trampoline_kernelINS0_14default_configENS1_25partition_config_selectorILNS1_17partition_subalgoE5EiNS0_10empty_typeEbEEZZNS1_14partition_implILS5_5ELb0ES3_mPiPS6_N6thrust23THRUST_200600_302600_NS18transform_iteratorINSC_6detail9not_fun_tIN6dUtils8isNotOneIiEEEES9_NSC_11use_defaultESK_EENS0_5tupleIJS9_S6_EEENSM_IJSA_SA_EEES6_PlJS6_EEE10hipError_tPvRmT3_T4_T5_T6_T7_T9_mT8_P12ihipStream_tbDpT10_ENKUlT_T0_E_clISt17integral_constantIbLb1EES19_EEDaS14_S15_EUlS14_E_NS1_11comp_targetILNS1_3genE3ELNS1_11target_archE908ELNS1_3gpuE7ELNS1_3repE0EEENS1_30default_config_static_selectorELNS0_4arch9wavefront6targetE1EEEvT1_, .Lfunc_end124-_ZN7rocprim17ROCPRIM_400000_NS6detail17trampoline_kernelINS0_14default_configENS1_25partition_config_selectorILNS1_17partition_subalgoE5EiNS0_10empty_typeEbEEZZNS1_14partition_implILS5_5ELb0ES3_mPiPS6_N6thrust23THRUST_200600_302600_NS18transform_iteratorINSC_6detail9not_fun_tIN6dUtils8isNotOneIiEEEES9_NSC_11use_defaultESK_EENS0_5tupleIJS9_S6_EEENSM_IJSA_SA_EEES6_PlJS6_EEE10hipError_tPvRmT3_T4_T5_T6_T7_T9_mT8_P12ihipStream_tbDpT10_ENKUlT_T0_E_clISt17integral_constantIbLb1EES19_EEDaS14_S15_EUlS14_E_NS1_11comp_targetILNS1_3genE3ELNS1_11target_archE908ELNS1_3gpuE7ELNS1_3repE0EEENS1_30default_config_static_selectorELNS0_4arch9wavefront6targetE1EEEvT1_
                                        ; -- End function
	.section	.AMDGPU.csdata,"",@progbits
; Kernel info:
; codeLenInByte = 0
; NumSgprs: 4
; NumVgprs: 0
; NumAgprs: 0
; TotalNumVgprs: 0
; ScratchSize: 0
; MemoryBound: 0
; FloatMode: 240
; IeeeMode: 1
; LDSByteSize: 0 bytes/workgroup (compile time only)
; SGPRBlocks: 0
; VGPRBlocks: 0
; NumSGPRsForWavesPerEU: 4
; NumVGPRsForWavesPerEU: 1
; AccumOffset: 4
; Occupancy: 8
; WaveLimiterHint : 0
; COMPUTE_PGM_RSRC2:SCRATCH_EN: 0
; COMPUTE_PGM_RSRC2:USER_SGPR: 6
; COMPUTE_PGM_RSRC2:TRAP_HANDLER: 0
; COMPUTE_PGM_RSRC2:TGID_X_EN: 1
; COMPUTE_PGM_RSRC2:TGID_Y_EN: 0
; COMPUTE_PGM_RSRC2:TGID_Z_EN: 0
; COMPUTE_PGM_RSRC2:TIDIG_COMP_CNT: 0
; COMPUTE_PGM_RSRC3_GFX90A:ACCUM_OFFSET: 0
; COMPUTE_PGM_RSRC3_GFX90A:TG_SPLIT: 0
	.section	.text._ZN7rocprim17ROCPRIM_400000_NS6detail17trampoline_kernelINS0_14default_configENS1_25partition_config_selectorILNS1_17partition_subalgoE5EiNS0_10empty_typeEbEEZZNS1_14partition_implILS5_5ELb0ES3_mPiPS6_N6thrust23THRUST_200600_302600_NS18transform_iteratorINSC_6detail9not_fun_tIN6dUtils8isNotOneIiEEEES9_NSC_11use_defaultESK_EENS0_5tupleIJS9_S6_EEENSM_IJSA_SA_EEES6_PlJS6_EEE10hipError_tPvRmT3_T4_T5_T6_T7_T9_mT8_P12ihipStream_tbDpT10_ENKUlT_T0_E_clISt17integral_constantIbLb1EES19_EEDaS14_S15_EUlS14_E_NS1_11comp_targetILNS1_3genE2ELNS1_11target_archE906ELNS1_3gpuE6ELNS1_3repE0EEENS1_30default_config_static_selectorELNS0_4arch9wavefront6targetE1EEEvT1_,"axG",@progbits,_ZN7rocprim17ROCPRIM_400000_NS6detail17trampoline_kernelINS0_14default_configENS1_25partition_config_selectorILNS1_17partition_subalgoE5EiNS0_10empty_typeEbEEZZNS1_14partition_implILS5_5ELb0ES3_mPiPS6_N6thrust23THRUST_200600_302600_NS18transform_iteratorINSC_6detail9not_fun_tIN6dUtils8isNotOneIiEEEES9_NSC_11use_defaultESK_EENS0_5tupleIJS9_S6_EEENSM_IJSA_SA_EEES6_PlJS6_EEE10hipError_tPvRmT3_T4_T5_T6_T7_T9_mT8_P12ihipStream_tbDpT10_ENKUlT_T0_E_clISt17integral_constantIbLb1EES19_EEDaS14_S15_EUlS14_E_NS1_11comp_targetILNS1_3genE2ELNS1_11target_archE906ELNS1_3gpuE6ELNS1_3repE0EEENS1_30default_config_static_selectorELNS0_4arch9wavefront6targetE1EEEvT1_,comdat
	.protected	_ZN7rocprim17ROCPRIM_400000_NS6detail17trampoline_kernelINS0_14default_configENS1_25partition_config_selectorILNS1_17partition_subalgoE5EiNS0_10empty_typeEbEEZZNS1_14partition_implILS5_5ELb0ES3_mPiPS6_N6thrust23THRUST_200600_302600_NS18transform_iteratorINSC_6detail9not_fun_tIN6dUtils8isNotOneIiEEEES9_NSC_11use_defaultESK_EENS0_5tupleIJS9_S6_EEENSM_IJSA_SA_EEES6_PlJS6_EEE10hipError_tPvRmT3_T4_T5_T6_T7_T9_mT8_P12ihipStream_tbDpT10_ENKUlT_T0_E_clISt17integral_constantIbLb1EES19_EEDaS14_S15_EUlS14_E_NS1_11comp_targetILNS1_3genE2ELNS1_11target_archE906ELNS1_3gpuE6ELNS1_3repE0EEENS1_30default_config_static_selectorELNS0_4arch9wavefront6targetE1EEEvT1_ ; -- Begin function _ZN7rocprim17ROCPRIM_400000_NS6detail17trampoline_kernelINS0_14default_configENS1_25partition_config_selectorILNS1_17partition_subalgoE5EiNS0_10empty_typeEbEEZZNS1_14partition_implILS5_5ELb0ES3_mPiPS6_N6thrust23THRUST_200600_302600_NS18transform_iteratorINSC_6detail9not_fun_tIN6dUtils8isNotOneIiEEEES9_NSC_11use_defaultESK_EENS0_5tupleIJS9_S6_EEENSM_IJSA_SA_EEES6_PlJS6_EEE10hipError_tPvRmT3_T4_T5_T6_T7_T9_mT8_P12ihipStream_tbDpT10_ENKUlT_T0_E_clISt17integral_constantIbLb1EES19_EEDaS14_S15_EUlS14_E_NS1_11comp_targetILNS1_3genE2ELNS1_11target_archE906ELNS1_3gpuE6ELNS1_3repE0EEENS1_30default_config_static_selectorELNS0_4arch9wavefront6targetE1EEEvT1_
	.globl	_ZN7rocprim17ROCPRIM_400000_NS6detail17trampoline_kernelINS0_14default_configENS1_25partition_config_selectorILNS1_17partition_subalgoE5EiNS0_10empty_typeEbEEZZNS1_14partition_implILS5_5ELb0ES3_mPiPS6_N6thrust23THRUST_200600_302600_NS18transform_iteratorINSC_6detail9not_fun_tIN6dUtils8isNotOneIiEEEES9_NSC_11use_defaultESK_EENS0_5tupleIJS9_S6_EEENSM_IJSA_SA_EEES6_PlJS6_EEE10hipError_tPvRmT3_T4_T5_T6_T7_T9_mT8_P12ihipStream_tbDpT10_ENKUlT_T0_E_clISt17integral_constantIbLb1EES19_EEDaS14_S15_EUlS14_E_NS1_11comp_targetILNS1_3genE2ELNS1_11target_archE906ELNS1_3gpuE6ELNS1_3repE0EEENS1_30default_config_static_selectorELNS0_4arch9wavefront6targetE1EEEvT1_
	.p2align	8
	.type	_ZN7rocprim17ROCPRIM_400000_NS6detail17trampoline_kernelINS0_14default_configENS1_25partition_config_selectorILNS1_17partition_subalgoE5EiNS0_10empty_typeEbEEZZNS1_14partition_implILS5_5ELb0ES3_mPiPS6_N6thrust23THRUST_200600_302600_NS18transform_iteratorINSC_6detail9not_fun_tIN6dUtils8isNotOneIiEEEES9_NSC_11use_defaultESK_EENS0_5tupleIJS9_S6_EEENSM_IJSA_SA_EEES6_PlJS6_EEE10hipError_tPvRmT3_T4_T5_T6_T7_T9_mT8_P12ihipStream_tbDpT10_ENKUlT_T0_E_clISt17integral_constantIbLb1EES19_EEDaS14_S15_EUlS14_E_NS1_11comp_targetILNS1_3genE2ELNS1_11target_archE906ELNS1_3gpuE6ELNS1_3repE0EEENS1_30default_config_static_selectorELNS0_4arch9wavefront6targetE1EEEvT1_,@function
_ZN7rocprim17ROCPRIM_400000_NS6detail17trampoline_kernelINS0_14default_configENS1_25partition_config_selectorILNS1_17partition_subalgoE5EiNS0_10empty_typeEbEEZZNS1_14partition_implILS5_5ELb0ES3_mPiPS6_N6thrust23THRUST_200600_302600_NS18transform_iteratorINSC_6detail9not_fun_tIN6dUtils8isNotOneIiEEEES9_NSC_11use_defaultESK_EENS0_5tupleIJS9_S6_EEENSM_IJSA_SA_EEES6_PlJS6_EEE10hipError_tPvRmT3_T4_T5_T6_T7_T9_mT8_P12ihipStream_tbDpT10_ENKUlT_T0_E_clISt17integral_constantIbLb1EES19_EEDaS14_S15_EUlS14_E_NS1_11comp_targetILNS1_3genE2ELNS1_11target_archE906ELNS1_3gpuE6ELNS1_3repE0EEENS1_30default_config_static_selectorELNS0_4arch9wavefront6targetE1EEEvT1_: ; @_ZN7rocprim17ROCPRIM_400000_NS6detail17trampoline_kernelINS0_14default_configENS1_25partition_config_selectorILNS1_17partition_subalgoE5EiNS0_10empty_typeEbEEZZNS1_14partition_implILS5_5ELb0ES3_mPiPS6_N6thrust23THRUST_200600_302600_NS18transform_iteratorINSC_6detail9not_fun_tIN6dUtils8isNotOneIiEEEES9_NSC_11use_defaultESK_EENS0_5tupleIJS9_S6_EEENSM_IJSA_SA_EEES6_PlJS6_EEE10hipError_tPvRmT3_T4_T5_T6_T7_T9_mT8_P12ihipStream_tbDpT10_ENKUlT_T0_E_clISt17integral_constantIbLb1EES19_EEDaS14_S15_EUlS14_E_NS1_11comp_targetILNS1_3genE2ELNS1_11target_archE906ELNS1_3gpuE6ELNS1_3repE0EEENS1_30default_config_static_selectorELNS0_4arch9wavefront6targetE1EEEvT1_
; %bb.0:
	.section	.rodata,"a",@progbits
	.p2align	6, 0x0
	.amdhsa_kernel _ZN7rocprim17ROCPRIM_400000_NS6detail17trampoline_kernelINS0_14default_configENS1_25partition_config_selectorILNS1_17partition_subalgoE5EiNS0_10empty_typeEbEEZZNS1_14partition_implILS5_5ELb0ES3_mPiPS6_N6thrust23THRUST_200600_302600_NS18transform_iteratorINSC_6detail9not_fun_tIN6dUtils8isNotOneIiEEEES9_NSC_11use_defaultESK_EENS0_5tupleIJS9_S6_EEENSM_IJSA_SA_EEES6_PlJS6_EEE10hipError_tPvRmT3_T4_T5_T6_T7_T9_mT8_P12ihipStream_tbDpT10_ENKUlT_T0_E_clISt17integral_constantIbLb1EES19_EEDaS14_S15_EUlS14_E_NS1_11comp_targetILNS1_3genE2ELNS1_11target_archE906ELNS1_3gpuE6ELNS1_3repE0EEENS1_30default_config_static_selectorELNS0_4arch9wavefront6targetE1EEEvT1_
		.amdhsa_group_segment_fixed_size 0
		.amdhsa_private_segment_fixed_size 0
		.amdhsa_kernarg_size 136
		.amdhsa_user_sgpr_count 6
		.amdhsa_user_sgpr_private_segment_buffer 1
		.amdhsa_user_sgpr_dispatch_ptr 0
		.amdhsa_user_sgpr_queue_ptr 0
		.amdhsa_user_sgpr_kernarg_segment_ptr 1
		.amdhsa_user_sgpr_dispatch_id 0
		.amdhsa_user_sgpr_flat_scratch_init 0
		.amdhsa_user_sgpr_kernarg_preload_length 0
		.amdhsa_user_sgpr_kernarg_preload_offset 0
		.amdhsa_user_sgpr_private_segment_size 0
		.amdhsa_uses_dynamic_stack 0
		.amdhsa_system_sgpr_private_segment_wavefront_offset 0
		.amdhsa_system_sgpr_workgroup_id_x 1
		.amdhsa_system_sgpr_workgroup_id_y 0
		.amdhsa_system_sgpr_workgroup_id_z 0
		.amdhsa_system_sgpr_workgroup_info 0
		.amdhsa_system_vgpr_workitem_id 0
		.amdhsa_next_free_vgpr 1
		.amdhsa_next_free_sgpr 0
		.amdhsa_accum_offset 4
		.amdhsa_reserve_vcc 0
		.amdhsa_reserve_flat_scratch 0
		.amdhsa_float_round_mode_32 0
		.amdhsa_float_round_mode_16_64 0
		.amdhsa_float_denorm_mode_32 3
		.amdhsa_float_denorm_mode_16_64 3
		.amdhsa_dx10_clamp 1
		.amdhsa_ieee_mode 1
		.amdhsa_fp16_overflow 0
		.amdhsa_tg_split 0
		.amdhsa_exception_fp_ieee_invalid_op 0
		.amdhsa_exception_fp_denorm_src 0
		.amdhsa_exception_fp_ieee_div_zero 0
		.amdhsa_exception_fp_ieee_overflow 0
		.amdhsa_exception_fp_ieee_underflow 0
		.amdhsa_exception_fp_ieee_inexact 0
		.amdhsa_exception_int_div_zero 0
	.end_amdhsa_kernel
	.section	.text._ZN7rocprim17ROCPRIM_400000_NS6detail17trampoline_kernelINS0_14default_configENS1_25partition_config_selectorILNS1_17partition_subalgoE5EiNS0_10empty_typeEbEEZZNS1_14partition_implILS5_5ELb0ES3_mPiPS6_N6thrust23THRUST_200600_302600_NS18transform_iteratorINSC_6detail9not_fun_tIN6dUtils8isNotOneIiEEEES9_NSC_11use_defaultESK_EENS0_5tupleIJS9_S6_EEENSM_IJSA_SA_EEES6_PlJS6_EEE10hipError_tPvRmT3_T4_T5_T6_T7_T9_mT8_P12ihipStream_tbDpT10_ENKUlT_T0_E_clISt17integral_constantIbLb1EES19_EEDaS14_S15_EUlS14_E_NS1_11comp_targetILNS1_3genE2ELNS1_11target_archE906ELNS1_3gpuE6ELNS1_3repE0EEENS1_30default_config_static_selectorELNS0_4arch9wavefront6targetE1EEEvT1_,"axG",@progbits,_ZN7rocprim17ROCPRIM_400000_NS6detail17trampoline_kernelINS0_14default_configENS1_25partition_config_selectorILNS1_17partition_subalgoE5EiNS0_10empty_typeEbEEZZNS1_14partition_implILS5_5ELb0ES3_mPiPS6_N6thrust23THRUST_200600_302600_NS18transform_iteratorINSC_6detail9not_fun_tIN6dUtils8isNotOneIiEEEES9_NSC_11use_defaultESK_EENS0_5tupleIJS9_S6_EEENSM_IJSA_SA_EEES6_PlJS6_EEE10hipError_tPvRmT3_T4_T5_T6_T7_T9_mT8_P12ihipStream_tbDpT10_ENKUlT_T0_E_clISt17integral_constantIbLb1EES19_EEDaS14_S15_EUlS14_E_NS1_11comp_targetILNS1_3genE2ELNS1_11target_archE906ELNS1_3gpuE6ELNS1_3repE0EEENS1_30default_config_static_selectorELNS0_4arch9wavefront6targetE1EEEvT1_,comdat
.Lfunc_end125:
	.size	_ZN7rocprim17ROCPRIM_400000_NS6detail17trampoline_kernelINS0_14default_configENS1_25partition_config_selectorILNS1_17partition_subalgoE5EiNS0_10empty_typeEbEEZZNS1_14partition_implILS5_5ELb0ES3_mPiPS6_N6thrust23THRUST_200600_302600_NS18transform_iteratorINSC_6detail9not_fun_tIN6dUtils8isNotOneIiEEEES9_NSC_11use_defaultESK_EENS0_5tupleIJS9_S6_EEENSM_IJSA_SA_EEES6_PlJS6_EEE10hipError_tPvRmT3_T4_T5_T6_T7_T9_mT8_P12ihipStream_tbDpT10_ENKUlT_T0_E_clISt17integral_constantIbLb1EES19_EEDaS14_S15_EUlS14_E_NS1_11comp_targetILNS1_3genE2ELNS1_11target_archE906ELNS1_3gpuE6ELNS1_3repE0EEENS1_30default_config_static_selectorELNS0_4arch9wavefront6targetE1EEEvT1_, .Lfunc_end125-_ZN7rocprim17ROCPRIM_400000_NS6detail17trampoline_kernelINS0_14default_configENS1_25partition_config_selectorILNS1_17partition_subalgoE5EiNS0_10empty_typeEbEEZZNS1_14partition_implILS5_5ELb0ES3_mPiPS6_N6thrust23THRUST_200600_302600_NS18transform_iteratorINSC_6detail9not_fun_tIN6dUtils8isNotOneIiEEEES9_NSC_11use_defaultESK_EENS0_5tupleIJS9_S6_EEENSM_IJSA_SA_EEES6_PlJS6_EEE10hipError_tPvRmT3_T4_T5_T6_T7_T9_mT8_P12ihipStream_tbDpT10_ENKUlT_T0_E_clISt17integral_constantIbLb1EES19_EEDaS14_S15_EUlS14_E_NS1_11comp_targetILNS1_3genE2ELNS1_11target_archE906ELNS1_3gpuE6ELNS1_3repE0EEENS1_30default_config_static_selectorELNS0_4arch9wavefront6targetE1EEEvT1_
                                        ; -- End function
	.section	.AMDGPU.csdata,"",@progbits
; Kernel info:
; codeLenInByte = 0
; NumSgprs: 4
; NumVgprs: 0
; NumAgprs: 0
; TotalNumVgprs: 0
; ScratchSize: 0
; MemoryBound: 0
; FloatMode: 240
; IeeeMode: 1
; LDSByteSize: 0 bytes/workgroup (compile time only)
; SGPRBlocks: 0
; VGPRBlocks: 0
; NumSGPRsForWavesPerEU: 4
; NumVGPRsForWavesPerEU: 1
; AccumOffset: 4
; Occupancy: 8
; WaveLimiterHint : 0
; COMPUTE_PGM_RSRC2:SCRATCH_EN: 0
; COMPUTE_PGM_RSRC2:USER_SGPR: 6
; COMPUTE_PGM_RSRC2:TRAP_HANDLER: 0
; COMPUTE_PGM_RSRC2:TGID_X_EN: 1
; COMPUTE_PGM_RSRC2:TGID_Y_EN: 0
; COMPUTE_PGM_RSRC2:TGID_Z_EN: 0
; COMPUTE_PGM_RSRC2:TIDIG_COMP_CNT: 0
; COMPUTE_PGM_RSRC3_GFX90A:ACCUM_OFFSET: 0
; COMPUTE_PGM_RSRC3_GFX90A:TG_SPLIT: 0
	.section	.text._ZN7rocprim17ROCPRIM_400000_NS6detail17trampoline_kernelINS0_14default_configENS1_25partition_config_selectorILNS1_17partition_subalgoE5EiNS0_10empty_typeEbEEZZNS1_14partition_implILS5_5ELb0ES3_mPiPS6_N6thrust23THRUST_200600_302600_NS18transform_iteratorINSC_6detail9not_fun_tIN6dUtils8isNotOneIiEEEES9_NSC_11use_defaultESK_EENS0_5tupleIJS9_S6_EEENSM_IJSA_SA_EEES6_PlJS6_EEE10hipError_tPvRmT3_T4_T5_T6_T7_T9_mT8_P12ihipStream_tbDpT10_ENKUlT_T0_E_clISt17integral_constantIbLb1EES19_EEDaS14_S15_EUlS14_E_NS1_11comp_targetILNS1_3genE10ELNS1_11target_archE1200ELNS1_3gpuE4ELNS1_3repE0EEENS1_30default_config_static_selectorELNS0_4arch9wavefront6targetE1EEEvT1_,"axG",@progbits,_ZN7rocprim17ROCPRIM_400000_NS6detail17trampoline_kernelINS0_14default_configENS1_25partition_config_selectorILNS1_17partition_subalgoE5EiNS0_10empty_typeEbEEZZNS1_14partition_implILS5_5ELb0ES3_mPiPS6_N6thrust23THRUST_200600_302600_NS18transform_iteratorINSC_6detail9not_fun_tIN6dUtils8isNotOneIiEEEES9_NSC_11use_defaultESK_EENS0_5tupleIJS9_S6_EEENSM_IJSA_SA_EEES6_PlJS6_EEE10hipError_tPvRmT3_T4_T5_T6_T7_T9_mT8_P12ihipStream_tbDpT10_ENKUlT_T0_E_clISt17integral_constantIbLb1EES19_EEDaS14_S15_EUlS14_E_NS1_11comp_targetILNS1_3genE10ELNS1_11target_archE1200ELNS1_3gpuE4ELNS1_3repE0EEENS1_30default_config_static_selectorELNS0_4arch9wavefront6targetE1EEEvT1_,comdat
	.protected	_ZN7rocprim17ROCPRIM_400000_NS6detail17trampoline_kernelINS0_14default_configENS1_25partition_config_selectorILNS1_17partition_subalgoE5EiNS0_10empty_typeEbEEZZNS1_14partition_implILS5_5ELb0ES3_mPiPS6_N6thrust23THRUST_200600_302600_NS18transform_iteratorINSC_6detail9not_fun_tIN6dUtils8isNotOneIiEEEES9_NSC_11use_defaultESK_EENS0_5tupleIJS9_S6_EEENSM_IJSA_SA_EEES6_PlJS6_EEE10hipError_tPvRmT3_T4_T5_T6_T7_T9_mT8_P12ihipStream_tbDpT10_ENKUlT_T0_E_clISt17integral_constantIbLb1EES19_EEDaS14_S15_EUlS14_E_NS1_11comp_targetILNS1_3genE10ELNS1_11target_archE1200ELNS1_3gpuE4ELNS1_3repE0EEENS1_30default_config_static_selectorELNS0_4arch9wavefront6targetE1EEEvT1_ ; -- Begin function _ZN7rocprim17ROCPRIM_400000_NS6detail17trampoline_kernelINS0_14default_configENS1_25partition_config_selectorILNS1_17partition_subalgoE5EiNS0_10empty_typeEbEEZZNS1_14partition_implILS5_5ELb0ES3_mPiPS6_N6thrust23THRUST_200600_302600_NS18transform_iteratorINSC_6detail9not_fun_tIN6dUtils8isNotOneIiEEEES9_NSC_11use_defaultESK_EENS0_5tupleIJS9_S6_EEENSM_IJSA_SA_EEES6_PlJS6_EEE10hipError_tPvRmT3_T4_T5_T6_T7_T9_mT8_P12ihipStream_tbDpT10_ENKUlT_T0_E_clISt17integral_constantIbLb1EES19_EEDaS14_S15_EUlS14_E_NS1_11comp_targetILNS1_3genE10ELNS1_11target_archE1200ELNS1_3gpuE4ELNS1_3repE0EEENS1_30default_config_static_selectorELNS0_4arch9wavefront6targetE1EEEvT1_
	.globl	_ZN7rocprim17ROCPRIM_400000_NS6detail17trampoline_kernelINS0_14default_configENS1_25partition_config_selectorILNS1_17partition_subalgoE5EiNS0_10empty_typeEbEEZZNS1_14partition_implILS5_5ELb0ES3_mPiPS6_N6thrust23THRUST_200600_302600_NS18transform_iteratorINSC_6detail9not_fun_tIN6dUtils8isNotOneIiEEEES9_NSC_11use_defaultESK_EENS0_5tupleIJS9_S6_EEENSM_IJSA_SA_EEES6_PlJS6_EEE10hipError_tPvRmT3_T4_T5_T6_T7_T9_mT8_P12ihipStream_tbDpT10_ENKUlT_T0_E_clISt17integral_constantIbLb1EES19_EEDaS14_S15_EUlS14_E_NS1_11comp_targetILNS1_3genE10ELNS1_11target_archE1200ELNS1_3gpuE4ELNS1_3repE0EEENS1_30default_config_static_selectorELNS0_4arch9wavefront6targetE1EEEvT1_
	.p2align	8
	.type	_ZN7rocprim17ROCPRIM_400000_NS6detail17trampoline_kernelINS0_14default_configENS1_25partition_config_selectorILNS1_17partition_subalgoE5EiNS0_10empty_typeEbEEZZNS1_14partition_implILS5_5ELb0ES3_mPiPS6_N6thrust23THRUST_200600_302600_NS18transform_iteratorINSC_6detail9not_fun_tIN6dUtils8isNotOneIiEEEES9_NSC_11use_defaultESK_EENS0_5tupleIJS9_S6_EEENSM_IJSA_SA_EEES6_PlJS6_EEE10hipError_tPvRmT3_T4_T5_T6_T7_T9_mT8_P12ihipStream_tbDpT10_ENKUlT_T0_E_clISt17integral_constantIbLb1EES19_EEDaS14_S15_EUlS14_E_NS1_11comp_targetILNS1_3genE10ELNS1_11target_archE1200ELNS1_3gpuE4ELNS1_3repE0EEENS1_30default_config_static_selectorELNS0_4arch9wavefront6targetE1EEEvT1_,@function
_ZN7rocprim17ROCPRIM_400000_NS6detail17trampoline_kernelINS0_14default_configENS1_25partition_config_selectorILNS1_17partition_subalgoE5EiNS0_10empty_typeEbEEZZNS1_14partition_implILS5_5ELb0ES3_mPiPS6_N6thrust23THRUST_200600_302600_NS18transform_iteratorINSC_6detail9not_fun_tIN6dUtils8isNotOneIiEEEES9_NSC_11use_defaultESK_EENS0_5tupleIJS9_S6_EEENSM_IJSA_SA_EEES6_PlJS6_EEE10hipError_tPvRmT3_T4_T5_T6_T7_T9_mT8_P12ihipStream_tbDpT10_ENKUlT_T0_E_clISt17integral_constantIbLb1EES19_EEDaS14_S15_EUlS14_E_NS1_11comp_targetILNS1_3genE10ELNS1_11target_archE1200ELNS1_3gpuE4ELNS1_3repE0EEENS1_30default_config_static_selectorELNS0_4arch9wavefront6targetE1EEEvT1_: ; @_ZN7rocprim17ROCPRIM_400000_NS6detail17trampoline_kernelINS0_14default_configENS1_25partition_config_selectorILNS1_17partition_subalgoE5EiNS0_10empty_typeEbEEZZNS1_14partition_implILS5_5ELb0ES3_mPiPS6_N6thrust23THRUST_200600_302600_NS18transform_iteratorINSC_6detail9not_fun_tIN6dUtils8isNotOneIiEEEES9_NSC_11use_defaultESK_EENS0_5tupleIJS9_S6_EEENSM_IJSA_SA_EEES6_PlJS6_EEE10hipError_tPvRmT3_T4_T5_T6_T7_T9_mT8_P12ihipStream_tbDpT10_ENKUlT_T0_E_clISt17integral_constantIbLb1EES19_EEDaS14_S15_EUlS14_E_NS1_11comp_targetILNS1_3genE10ELNS1_11target_archE1200ELNS1_3gpuE4ELNS1_3repE0EEENS1_30default_config_static_selectorELNS0_4arch9wavefront6targetE1EEEvT1_
; %bb.0:
	.section	.rodata,"a",@progbits
	.p2align	6, 0x0
	.amdhsa_kernel _ZN7rocprim17ROCPRIM_400000_NS6detail17trampoline_kernelINS0_14default_configENS1_25partition_config_selectorILNS1_17partition_subalgoE5EiNS0_10empty_typeEbEEZZNS1_14partition_implILS5_5ELb0ES3_mPiPS6_N6thrust23THRUST_200600_302600_NS18transform_iteratorINSC_6detail9not_fun_tIN6dUtils8isNotOneIiEEEES9_NSC_11use_defaultESK_EENS0_5tupleIJS9_S6_EEENSM_IJSA_SA_EEES6_PlJS6_EEE10hipError_tPvRmT3_T4_T5_T6_T7_T9_mT8_P12ihipStream_tbDpT10_ENKUlT_T0_E_clISt17integral_constantIbLb1EES19_EEDaS14_S15_EUlS14_E_NS1_11comp_targetILNS1_3genE10ELNS1_11target_archE1200ELNS1_3gpuE4ELNS1_3repE0EEENS1_30default_config_static_selectorELNS0_4arch9wavefront6targetE1EEEvT1_
		.amdhsa_group_segment_fixed_size 0
		.amdhsa_private_segment_fixed_size 0
		.amdhsa_kernarg_size 136
		.amdhsa_user_sgpr_count 6
		.amdhsa_user_sgpr_private_segment_buffer 1
		.amdhsa_user_sgpr_dispatch_ptr 0
		.amdhsa_user_sgpr_queue_ptr 0
		.amdhsa_user_sgpr_kernarg_segment_ptr 1
		.amdhsa_user_sgpr_dispatch_id 0
		.amdhsa_user_sgpr_flat_scratch_init 0
		.amdhsa_user_sgpr_kernarg_preload_length 0
		.amdhsa_user_sgpr_kernarg_preload_offset 0
		.amdhsa_user_sgpr_private_segment_size 0
		.amdhsa_uses_dynamic_stack 0
		.amdhsa_system_sgpr_private_segment_wavefront_offset 0
		.amdhsa_system_sgpr_workgroup_id_x 1
		.amdhsa_system_sgpr_workgroup_id_y 0
		.amdhsa_system_sgpr_workgroup_id_z 0
		.amdhsa_system_sgpr_workgroup_info 0
		.amdhsa_system_vgpr_workitem_id 0
		.amdhsa_next_free_vgpr 1
		.amdhsa_next_free_sgpr 0
		.amdhsa_accum_offset 4
		.amdhsa_reserve_vcc 0
		.amdhsa_reserve_flat_scratch 0
		.amdhsa_float_round_mode_32 0
		.amdhsa_float_round_mode_16_64 0
		.amdhsa_float_denorm_mode_32 3
		.amdhsa_float_denorm_mode_16_64 3
		.amdhsa_dx10_clamp 1
		.amdhsa_ieee_mode 1
		.amdhsa_fp16_overflow 0
		.amdhsa_tg_split 0
		.amdhsa_exception_fp_ieee_invalid_op 0
		.amdhsa_exception_fp_denorm_src 0
		.amdhsa_exception_fp_ieee_div_zero 0
		.amdhsa_exception_fp_ieee_overflow 0
		.amdhsa_exception_fp_ieee_underflow 0
		.amdhsa_exception_fp_ieee_inexact 0
		.amdhsa_exception_int_div_zero 0
	.end_amdhsa_kernel
	.section	.text._ZN7rocprim17ROCPRIM_400000_NS6detail17trampoline_kernelINS0_14default_configENS1_25partition_config_selectorILNS1_17partition_subalgoE5EiNS0_10empty_typeEbEEZZNS1_14partition_implILS5_5ELb0ES3_mPiPS6_N6thrust23THRUST_200600_302600_NS18transform_iteratorINSC_6detail9not_fun_tIN6dUtils8isNotOneIiEEEES9_NSC_11use_defaultESK_EENS0_5tupleIJS9_S6_EEENSM_IJSA_SA_EEES6_PlJS6_EEE10hipError_tPvRmT3_T4_T5_T6_T7_T9_mT8_P12ihipStream_tbDpT10_ENKUlT_T0_E_clISt17integral_constantIbLb1EES19_EEDaS14_S15_EUlS14_E_NS1_11comp_targetILNS1_3genE10ELNS1_11target_archE1200ELNS1_3gpuE4ELNS1_3repE0EEENS1_30default_config_static_selectorELNS0_4arch9wavefront6targetE1EEEvT1_,"axG",@progbits,_ZN7rocprim17ROCPRIM_400000_NS6detail17trampoline_kernelINS0_14default_configENS1_25partition_config_selectorILNS1_17partition_subalgoE5EiNS0_10empty_typeEbEEZZNS1_14partition_implILS5_5ELb0ES3_mPiPS6_N6thrust23THRUST_200600_302600_NS18transform_iteratorINSC_6detail9not_fun_tIN6dUtils8isNotOneIiEEEES9_NSC_11use_defaultESK_EENS0_5tupleIJS9_S6_EEENSM_IJSA_SA_EEES6_PlJS6_EEE10hipError_tPvRmT3_T4_T5_T6_T7_T9_mT8_P12ihipStream_tbDpT10_ENKUlT_T0_E_clISt17integral_constantIbLb1EES19_EEDaS14_S15_EUlS14_E_NS1_11comp_targetILNS1_3genE10ELNS1_11target_archE1200ELNS1_3gpuE4ELNS1_3repE0EEENS1_30default_config_static_selectorELNS0_4arch9wavefront6targetE1EEEvT1_,comdat
.Lfunc_end126:
	.size	_ZN7rocprim17ROCPRIM_400000_NS6detail17trampoline_kernelINS0_14default_configENS1_25partition_config_selectorILNS1_17partition_subalgoE5EiNS0_10empty_typeEbEEZZNS1_14partition_implILS5_5ELb0ES3_mPiPS6_N6thrust23THRUST_200600_302600_NS18transform_iteratorINSC_6detail9not_fun_tIN6dUtils8isNotOneIiEEEES9_NSC_11use_defaultESK_EENS0_5tupleIJS9_S6_EEENSM_IJSA_SA_EEES6_PlJS6_EEE10hipError_tPvRmT3_T4_T5_T6_T7_T9_mT8_P12ihipStream_tbDpT10_ENKUlT_T0_E_clISt17integral_constantIbLb1EES19_EEDaS14_S15_EUlS14_E_NS1_11comp_targetILNS1_3genE10ELNS1_11target_archE1200ELNS1_3gpuE4ELNS1_3repE0EEENS1_30default_config_static_selectorELNS0_4arch9wavefront6targetE1EEEvT1_, .Lfunc_end126-_ZN7rocprim17ROCPRIM_400000_NS6detail17trampoline_kernelINS0_14default_configENS1_25partition_config_selectorILNS1_17partition_subalgoE5EiNS0_10empty_typeEbEEZZNS1_14partition_implILS5_5ELb0ES3_mPiPS6_N6thrust23THRUST_200600_302600_NS18transform_iteratorINSC_6detail9not_fun_tIN6dUtils8isNotOneIiEEEES9_NSC_11use_defaultESK_EENS0_5tupleIJS9_S6_EEENSM_IJSA_SA_EEES6_PlJS6_EEE10hipError_tPvRmT3_T4_T5_T6_T7_T9_mT8_P12ihipStream_tbDpT10_ENKUlT_T0_E_clISt17integral_constantIbLb1EES19_EEDaS14_S15_EUlS14_E_NS1_11comp_targetILNS1_3genE10ELNS1_11target_archE1200ELNS1_3gpuE4ELNS1_3repE0EEENS1_30default_config_static_selectorELNS0_4arch9wavefront6targetE1EEEvT1_
                                        ; -- End function
	.section	.AMDGPU.csdata,"",@progbits
; Kernel info:
; codeLenInByte = 0
; NumSgprs: 4
; NumVgprs: 0
; NumAgprs: 0
; TotalNumVgprs: 0
; ScratchSize: 0
; MemoryBound: 0
; FloatMode: 240
; IeeeMode: 1
; LDSByteSize: 0 bytes/workgroup (compile time only)
; SGPRBlocks: 0
; VGPRBlocks: 0
; NumSGPRsForWavesPerEU: 4
; NumVGPRsForWavesPerEU: 1
; AccumOffset: 4
; Occupancy: 8
; WaveLimiterHint : 0
; COMPUTE_PGM_RSRC2:SCRATCH_EN: 0
; COMPUTE_PGM_RSRC2:USER_SGPR: 6
; COMPUTE_PGM_RSRC2:TRAP_HANDLER: 0
; COMPUTE_PGM_RSRC2:TGID_X_EN: 1
; COMPUTE_PGM_RSRC2:TGID_Y_EN: 0
; COMPUTE_PGM_RSRC2:TGID_Z_EN: 0
; COMPUTE_PGM_RSRC2:TIDIG_COMP_CNT: 0
; COMPUTE_PGM_RSRC3_GFX90A:ACCUM_OFFSET: 0
; COMPUTE_PGM_RSRC3_GFX90A:TG_SPLIT: 0
	.section	.text._ZN7rocprim17ROCPRIM_400000_NS6detail17trampoline_kernelINS0_14default_configENS1_25partition_config_selectorILNS1_17partition_subalgoE5EiNS0_10empty_typeEbEEZZNS1_14partition_implILS5_5ELb0ES3_mPiPS6_N6thrust23THRUST_200600_302600_NS18transform_iteratorINSC_6detail9not_fun_tIN6dUtils8isNotOneIiEEEES9_NSC_11use_defaultESK_EENS0_5tupleIJS9_S6_EEENSM_IJSA_SA_EEES6_PlJS6_EEE10hipError_tPvRmT3_T4_T5_T6_T7_T9_mT8_P12ihipStream_tbDpT10_ENKUlT_T0_E_clISt17integral_constantIbLb1EES19_EEDaS14_S15_EUlS14_E_NS1_11comp_targetILNS1_3genE9ELNS1_11target_archE1100ELNS1_3gpuE3ELNS1_3repE0EEENS1_30default_config_static_selectorELNS0_4arch9wavefront6targetE1EEEvT1_,"axG",@progbits,_ZN7rocprim17ROCPRIM_400000_NS6detail17trampoline_kernelINS0_14default_configENS1_25partition_config_selectorILNS1_17partition_subalgoE5EiNS0_10empty_typeEbEEZZNS1_14partition_implILS5_5ELb0ES3_mPiPS6_N6thrust23THRUST_200600_302600_NS18transform_iteratorINSC_6detail9not_fun_tIN6dUtils8isNotOneIiEEEES9_NSC_11use_defaultESK_EENS0_5tupleIJS9_S6_EEENSM_IJSA_SA_EEES6_PlJS6_EEE10hipError_tPvRmT3_T4_T5_T6_T7_T9_mT8_P12ihipStream_tbDpT10_ENKUlT_T0_E_clISt17integral_constantIbLb1EES19_EEDaS14_S15_EUlS14_E_NS1_11comp_targetILNS1_3genE9ELNS1_11target_archE1100ELNS1_3gpuE3ELNS1_3repE0EEENS1_30default_config_static_selectorELNS0_4arch9wavefront6targetE1EEEvT1_,comdat
	.protected	_ZN7rocprim17ROCPRIM_400000_NS6detail17trampoline_kernelINS0_14default_configENS1_25partition_config_selectorILNS1_17partition_subalgoE5EiNS0_10empty_typeEbEEZZNS1_14partition_implILS5_5ELb0ES3_mPiPS6_N6thrust23THRUST_200600_302600_NS18transform_iteratorINSC_6detail9not_fun_tIN6dUtils8isNotOneIiEEEES9_NSC_11use_defaultESK_EENS0_5tupleIJS9_S6_EEENSM_IJSA_SA_EEES6_PlJS6_EEE10hipError_tPvRmT3_T4_T5_T6_T7_T9_mT8_P12ihipStream_tbDpT10_ENKUlT_T0_E_clISt17integral_constantIbLb1EES19_EEDaS14_S15_EUlS14_E_NS1_11comp_targetILNS1_3genE9ELNS1_11target_archE1100ELNS1_3gpuE3ELNS1_3repE0EEENS1_30default_config_static_selectorELNS0_4arch9wavefront6targetE1EEEvT1_ ; -- Begin function _ZN7rocprim17ROCPRIM_400000_NS6detail17trampoline_kernelINS0_14default_configENS1_25partition_config_selectorILNS1_17partition_subalgoE5EiNS0_10empty_typeEbEEZZNS1_14partition_implILS5_5ELb0ES3_mPiPS6_N6thrust23THRUST_200600_302600_NS18transform_iteratorINSC_6detail9not_fun_tIN6dUtils8isNotOneIiEEEES9_NSC_11use_defaultESK_EENS0_5tupleIJS9_S6_EEENSM_IJSA_SA_EEES6_PlJS6_EEE10hipError_tPvRmT3_T4_T5_T6_T7_T9_mT8_P12ihipStream_tbDpT10_ENKUlT_T0_E_clISt17integral_constantIbLb1EES19_EEDaS14_S15_EUlS14_E_NS1_11comp_targetILNS1_3genE9ELNS1_11target_archE1100ELNS1_3gpuE3ELNS1_3repE0EEENS1_30default_config_static_selectorELNS0_4arch9wavefront6targetE1EEEvT1_
	.globl	_ZN7rocprim17ROCPRIM_400000_NS6detail17trampoline_kernelINS0_14default_configENS1_25partition_config_selectorILNS1_17partition_subalgoE5EiNS0_10empty_typeEbEEZZNS1_14partition_implILS5_5ELb0ES3_mPiPS6_N6thrust23THRUST_200600_302600_NS18transform_iteratorINSC_6detail9not_fun_tIN6dUtils8isNotOneIiEEEES9_NSC_11use_defaultESK_EENS0_5tupleIJS9_S6_EEENSM_IJSA_SA_EEES6_PlJS6_EEE10hipError_tPvRmT3_T4_T5_T6_T7_T9_mT8_P12ihipStream_tbDpT10_ENKUlT_T0_E_clISt17integral_constantIbLb1EES19_EEDaS14_S15_EUlS14_E_NS1_11comp_targetILNS1_3genE9ELNS1_11target_archE1100ELNS1_3gpuE3ELNS1_3repE0EEENS1_30default_config_static_selectorELNS0_4arch9wavefront6targetE1EEEvT1_
	.p2align	8
	.type	_ZN7rocprim17ROCPRIM_400000_NS6detail17trampoline_kernelINS0_14default_configENS1_25partition_config_selectorILNS1_17partition_subalgoE5EiNS0_10empty_typeEbEEZZNS1_14partition_implILS5_5ELb0ES3_mPiPS6_N6thrust23THRUST_200600_302600_NS18transform_iteratorINSC_6detail9not_fun_tIN6dUtils8isNotOneIiEEEES9_NSC_11use_defaultESK_EENS0_5tupleIJS9_S6_EEENSM_IJSA_SA_EEES6_PlJS6_EEE10hipError_tPvRmT3_T4_T5_T6_T7_T9_mT8_P12ihipStream_tbDpT10_ENKUlT_T0_E_clISt17integral_constantIbLb1EES19_EEDaS14_S15_EUlS14_E_NS1_11comp_targetILNS1_3genE9ELNS1_11target_archE1100ELNS1_3gpuE3ELNS1_3repE0EEENS1_30default_config_static_selectorELNS0_4arch9wavefront6targetE1EEEvT1_,@function
_ZN7rocprim17ROCPRIM_400000_NS6detail17trampoline_kernelINS0_14default_configENS1_25partition_config_selectorILNS1_17partition_subalgoE5EiNS0_10empty_typeEbEEZZNS1_14partition_implILS5_5ELb0ES3_mPiPS6_N6thrust23THRUST_200600_302600_NS18transform_iteratorINSC_6detail9not_fun_tIN6dUtils8isNotOneIiEEEES9_NSC_11use_defaultESK_EENS0_5tupleIJS9_S6_EEENSM_IJSA_SA_EEES6_PlJS6_EEE10hipError_tPvRmT3_T4_T5_T6_T7_T9_mT8_P12ihipStream_tbDpT10_ENKUlT_T0_E_clISt17integral_constantIbLb1EES19_EEDaS14_S15_EUlS14_E_NS1_11comp_targetILNS1_3genE9ELNS1_11target_archE1100ELNS1_3gpuE3ELNS1_3repE0EEENS1_30default_config_static_selectorELNS0_4arch9wavefront6targetE1EEEvT1_: ; @_ZN7rocprim17ROCPRIM_400000_NS6detail17trampoline_kernelINS0_14default_configENS1_25partition_config_selectorILNS1_17partition_subalgoE5EiNS0_10empty_typeEbEEZZNS1_14partition_implILS5_5ELb0ES3_mPiPS6_N6thrust23THRUST_200600_302600_NS18transform_iteratorINSC_6detail9not_fun_tIN6dUtils8isNotOneIiEEEES9_NSC_11use_defaultESK_EENS0_5tupleIJS9_S6_EEENSM_IJSA_SA_EEES6_PlJS6_EEE10hipError_tPvRmT3_T4_T5_T6_T7_T9_mT8_P12ihipStream_tbDpT10_ENKUlT_T0_E_clISt17integral_constantIbLb1EES19_EEDaS14_S15_EUlS14_E_NS1_11comp_targetILNS1_3genE9ELNS1_11target_archE1100ELNS1_3gpuE3ELNS1_3repE0EEENS1_30default_config_static_selectorELNS0_4arch9wavefront6targetE1EEEvT1_
; %bb.0:
	.section	.rodata,"a",@progbits
	.p2align	6, 0x0
	.amdhsa_kernel _ZN7rocprim17ROCPRIM_400000_NS6detail17trampoline_kernelINS0_14default_configENS1_25partition_config_selectorILNS1_17partition_subalgoE5EiNS0_10empty_typeEbEEZZNS1_14partition_implILS5_5ELb0ES3_mPiPS6_N6thrust23THRUST_200600_302600_NS18transform_iteratorINSC_6detail9not_fun_tIN6dUtils8isNotOneIiEEEES9_NSC_11use_defaultESK_EENS0_5tupleIJS9_S6_EEENSM_IJSA_SA_EEES6_PlJS6_EEE10hipError_tPvRmT3_T4_T5_T6_T7_T9_mT8_P12ihipStream_tbDpT10_ENKUlT_T0_E_clISt17integral_constantIbLb1EES19_EEDaS14_S15_EUlS14_E_NS1_11comp_targetILNS1_3genE9ELNS1_11target_archE1100ELNS1_3gpuE3ELNS1_3repE0EEENS1_30default_config_static_selectorELNS0_4arch9wavefront6targetE1EEEvT1_
		.amdhsa_group_segment_fixed_size 0
		.amdhsa_private_segment_fixed_size 0
		.amdhsa_kernarg_size 136
		.amdhsa_user_sgpr_count 6
		.amdhsa_user_sgpr_private_segment_buffer 1
		.amdhsa_user_sgpr_dispatch_ptr 0
		.amdhsa_user_sgpr_queue_ptr 0
		.amdhsa_user_sgpr_kernarg_segment_ptr 1
		.amdhsa_user_sgpr_dispatch_id 0
		.amdhsa_user_sgpr_flat_scratch_init 0
		.amdhsa_user_sgpr_kernarg_preload_length 0
		.amdhsa_user_sgpr_kernarg_preload_offset 0
		.amdhsa_user_sgpr_private_segment_size 0
		.amdhsa_uses_dynamic_stack 0
		.amdhsa_system_sgpr_private_segment_wavefront_offset 0
		.amdhsa_system_sgpr_workgroup_id_x 1
		.amdhsa_system_sgpr_workgroup_id_y 0
		.amdhsa_system_sgpr_workgroup_id_z 0
		.amdhsa_system_sgpr_workgroup_info 0
		.amdhsa_system_vgpr_workitem_id 0
		.amdhsa_next_free_vgpr 1
		.amdhsa_next_free_sgpr 0
		.amdhsa_accum_offset 4
		.amdhsa_reserve_vcc 0
		.amdhsa_reserve_flat_scratch 0
		.amdhsa_float_round_mode_32 0
		.amdhsa_float_round_mode_16_64 0
		.amdhsa_float_denorm_mode_32 3
		.amdhsa_float_denorm_mode_16_64 3
		.amdhsa_dx10_clamp 1
		.amdhsa_ieee_mode 1
		.amdhsa_fp16_overflow 0
		.amdhsa_tg_split 0
		.amdhsa_exception_fp_ieee_invalid_op 0
		.amdhsa_exception_fp_denorm_src 0
		.amdhsa_exception_fp_ieee_div_zero 0
		.amdhsa_exception_fp_ieee_overflow 0
		.amdhsa_exception_fp_ieee_underflow 0
		.amdhsa_exception_fp_ieee_inexact 0
		.amdhsa_exception_int_div_zero 0
	.end_amdhsa_kernel
	.section	.text._ZN7rocprim17ROCPRIM_400000_NS6detail17trampoline_kernelINS0_14default_configENS1_25partition_config_selectorILNS1_17partition_subalgoE5EiNS0_10empty_typeEbEEZZNS1_14partition_implILS5_5ELb0ES3_mPiPS6_N6thrust23THRUST_200600_302600_NS18transform_iteratorINSC_6detail9not_fun_tIN6dUtils8isNotOneIiEEEES9_NSC_11use_defaultESK_EENS0_5tupleIJS9_S6_EEENSM_IJSA_SA_EEES6_PlJS6_EEE10hipError_tPvRmT3_T4_T5_T6_T7_T9_mT8_P12ihipStream_tbDpT10_ENKUlT_T0_E_clISt17integral_constantIbLb1EES19_EEDaS14_S15_EUlS14_E_NS1_11comp_targetILNS1_3genE9ELNS1_11target_archE1100ELNS1_3gpuE3ELNS1_3repE0EEENS1_30default_config_static_selectorELNS0_4arch9wavefront6targetE1EEEvT1_,"axG",@progbits,_ZN7rocprim17ROCPRIM_400000_NS6detail17trampoline_kernelINS0_14default_configENS1_25partition_config_selectorILNS1_17partition_subalgoE5EiNS0_10empty_typeEbEEZZNS1_14partition_implILS5_5ELb0ES3_mPiPS6_N6thrust23THRUST_200600_302600_NS18transform_iteratorINSC_6detail9not_fun_tIN6dUtils8isNotOneIiEEEES9_NSC_11use_defaultESK_EENS0_5tupleIJS9_S6_EEENSM_IJSA_SA_EEES6_PlJS6_EEE10hipError_tPvRmT3_T4_T5_T6_T7_T9_mT8_P12ihipStream_tbDpT10_ENKUlT_T0_E_clISt17integral_constantIbLb1EES19_EEDaS14_S15_EUlS14_E_NS1_11comp_targetILNS1_3genE9ELNS1_11target_archE1100ELNS1_3gpuE3ELNS1_3repE0EEENS1_30default_config_static_selectorELNS0_4arch9wavefront6targetE1EEEvT1_,comdat
.Lfunc_end127:
	.size	_ZN7rocprim17ROCPRIM_400000_NS6detail17trampoline_kernelINS0_14default_configENS1_25partition_config_selectorILNS1_17partition_subalgoE5EiNS0_10empty_typeEbEEZZNS1_14partition_implILS5_5ELb0ES3_mPiPS6_N6thrust23THRUST_200600_302600_NS18transform_iteratorINSC_6detail9not_fun_tIN6dUtils8isNotOneIiEEEES9_NSC_11use_defaultESK_EENS0_5tupleIJS9_S6_EEENSM_IJSA_SA_EEES6_PlJS6_EEE10hipError_tPvRmT3_T4_T5_T6_T7_T9_mT8_P12ihipStream_tbDpT10_ENKUlT_T0_E_clISt17integral_constantIbLb1EES19_EEDaS14_S15_EUlS14_E_NS1_11comp_targetILNS1_3genE9ELNS1_11target_archE1100ELNS1_3gpuE3ELNS1_3repE0EEENS1_30default_config_static_selectorELNS0_4arch9wavefront6targetE1EEEvT1_, .Lfunc_end127-_ZN7rocprim17ROCPRIM_400000_NS6detail17trampoline_kernelINS0_14default_configENS1_25partition_config_selectorILNS1_17partition_subalgoE5EiNS0_10empty_typeEbEEZZNS1_14partition_implILS5_5ELb0ES3_mPiPS6_N6thrust23THRUST_200600_302600_NS18transform_iteratorINSC_6detail9not_fun_tIN6dUtils8isNotOneIiEEEES9_NSC_11use_defaultESK_EENS0_5tupleIJS9_S6_EEENSM_IJSA_SA_EEES6_PlJS6_EEE10hipError_tPvRmT3_T4_T5_T6_T7_T9_mT8_P12ihipStream_tbDpT10_ENKUlT_T0_E_clISt17integral_constantIbLb1EES19_EEDaS14_S15_EUlS14_E_NS1_11comp_targetILNS1_3genE9ELNS1_11target_archE1100ELNS1_3gpuE3ELNS1_3repE0EEENS1_30default_config_static_selectorELNS0_4arch9wavefront6targetE1EEEvT1_
                                        ; -- End function
	.section	.AMDGPU.csdata,"",@progbits
; Kernel info:
; codeLenInByte = 0
; NumSgprs: 4
; NumVgprs: 0
; NumAgprs: 0
; TotalNumVgprs: 0
; ScratchSize: 0
; MemoryBound: 0
; FloatMode: 240
; IeeeMode: 1
; LDSByteSize: 0 bytes/workgroup (compile time only)
; SGPRBlocks: 0
; VGPRBlocks: 0
; NumSGPRsForWavesPerEU: 4
; NumVGPRsForWavesPerEU: 1
; AccumOffset: 4
; Occupancy: 8
; WaveLimiterHint : 0
; COMPUTE_PGM_RSRC2:SCRATCH_EN: 0
; COMPUTE_PGM_RSRC2:USER_SGPR: 6
; COMPUTE_PGM_RSRC2:TRAP_HANDLER: 0
; COMPUTE_PGM_RSRC2:TGID_X_EN: 1
; COMPUTE_PGM_RSRC2:TGID_Y_EN: 0
; COMPUTE_PGM_RSRC2:TGID_Z_EN: 0
; COMPUTE_PGM_RSRC2:TIDIG_COMP_CNT: 0
; COMPUTE_PGM_RSRC3_GFX90A:ACCUM_OFFSET: 0
; COMPUTE_PGM_RSRC3_GFX90A:TG_SPLIT: 0
	.section	.text._ZN7rocprim17ROCPRIM_400000_NS6detail17trampoline_kernelINS0_14default_configENS1_25partition_config_selectorILNS1_17partition_subalgoE5EiNS0_10empty_typeEbEEZZNS1_14partition_implILS5_5ELb0ES3_mPiPS6_N6thrust23THRUST_200600_302600_NS18transform_iteratorINSC_6detail9not_fun_tIN6dUtils8isNotOneIiEEEES9_NSC_11use_defaultESK_EENS0_5tupleIJS9_S6_EEENSM_IJSA_SA_EEES6_PlJS6_EEE10hipError_tPvRmT3_T4_T5_T6_T7_T9_mT8_P12ihipStream_tbDpT10_ENKUlT_T0_E_clISt17integral_constantIbLb1EES19_EEDaS14_S15_EUlS14_E_NS1_11comp_targetILNS1_3genE8ELNS1_11target_archE1030ELNS1_3gpuE2ELNS1_3repE0EEENS1_30default_config_static_selectorELNS0_4arch9wavefront6targetE1EEEvT1_,"axG",@progbits,_ZN7rocprim17ROCPRIM_400000_NS6detail17trampoline_kernelINS0_14default_configENS1_25partition_config_selectorILNS1_17partition_subalgoE5EiNS0_10empty_typeEbEEZZNS1_14partition_implILS5_5ELb0ES3_mPiPS6_N6thrust23THRUST_200600_302600_NS18transform_iteratorINSC_6detail9not_fun_tIN6dUtils8isNotOneIiEEEES9_NSC_11use_defaultESK_EENS0_5tupleIJS9_S6_EEENSM_IJSA_SA_EEES6_PlJS6_EEE10hipError_tPvRmT3_T4_T5_T6_T7_T9_mT8_P12ihipStream_tbDpT10_ENKUlT_T0_E_clISt17integral_constantIbLb1EES19_EEDaS14_S15_EUlS14_E_NS1_11comp_targetILNS1_3genE8ELNS1_11target_archE1030ELNS1_3gpuE2ELNS1_3repE0EEENS1_30default_config_static_selectorELNS0_4arch9wavefront6targetE1EEEvT1_,comdat
	.protected	_ZN7rocprim17ROCPRIM_400000_NS6detail17trampoline_kernelINS0_14default_configENS1_25partition_config_selectorILNS1_17partition_subalgoE5EiNS0_10empty_typeEbEEZZNS1_14partition_implILS5_5ELb0ES3_mPiPS6_N6thrust23THRUST_200600_302600_NS18transform_iteratorINSC_6detail9not_fun_tIN6dUtils8isNotOneIiEEEES9_NSC_11use_defaultESK_EENS0_5tupleIJS9_S6_EEENSM_IJSA_SA_EEES6_PlJS6_EEE10hipError_tPvRmT3_T4_T5_T6_T7_T9_mT8_P12ihipStream_tbDpT10_ENKUlT_T0_E_clISt17integral_constantIbLb1EES19_EEDaS14_S15_EUlS14_E_NS1_11comp_targetILNS1_3genE8ELNS1_11target_archE1030ELNS1_3gpuE2ELNS1_3repE0EEENS1_30default_config_static_selectorELNS0_4arch9wavefront6targetE1EEEvT1_ ; -- Begin function _ZN7rocprim17ROCPRIM_400000_NS6detail17trampoline_kernelINS0_14default_configENS1_25partition_config_selectorILNS1_17partition_subalgoE5EiNS0_10empty_typeEbEEZZNS1_14partition_implILS5_5ELb0ES3_mPiPS6_N6thrust23THRUST_200600_302600_NS18transform_iteratorINSC_6detail9not_fun_tIN6dUtils8isNotOneIiEEEES9_NSC_11use_defaultESK_EENS0_5tupleIJS9_S6_EEENSM_IJSA_SA_EEES6_PlJS6_EEE10hipError_tPvRmT3_T4_T5_T6_T7_T9_mT8_P12ihipStream_tbDpT10_ENKUlT_T0_E_clISt17integral_constantIbLb1EES19_EEDaS14_S15_EUlS14_E_NS1_11comp_targetILNS1_3genE8ELNS1_11target_archE1030ELNS1_3gpuE2ELNS1_3repE0EEENS1_30default_config_static_selectorELNS0_4arch9wavefront6targetE1EEEvT1_
	.globl	_ZN7rocprim17ROCPRIM_400000_NS6detail17trampoline_kernelINS0_14default_configENS1_25partition_config_selectorILNS1_17partition_subalgoE5EiNS0_10empty_typeEbEEZZNS1_14partition_implILS5_5ELb0ES3_mPiPS6_N6thrust23THRUST_200600_302600_NS18transform_iteratorINSC_6detail9not_fun_tIN6dUtils8isNotOneIiEEEES9_NSC_11use_defaultESK_EENS0_5tupleIJS9_S6_EEENSM_IJSA_SA_EEES6_PlJS6_EEE10hipError_tPvRmT3_T4_T5_T6_T7_T9_mT8_P12ihipStream_tbDpT10_ENKUlT_T0_E_clISt17integral_constantIbLb1EES19_EEDaS14_S15_EUlS14_E_NS1_11comp_targetILNS1_3genE8ELNS1_11target_archE1030ELNS1_3gpuE2ELNS1_3repE0EEENS1_30default_config_static_selectorELNS0_4arch9wavefront6targetE1EEEvT1_
	.p2align	8
	.type	_ZN7rocprim17ROCPRIM_400000_NS6detail17trampoline_kernelINS0_14default_configENS1_25partition_config_selectorILNS1_17partition_subalgoE5EiNS0_10empty_typeEbEEZZNS1_14partition_implILS5_5ELb0ES3_mPiPS6_N6thrust23THRUST_200600_302600_NS18transform_iteratorINSC_6detail9not_fun_tIN6dUtils8isNotOneIiEEEES9_NSC_11use_defaultESK_EENS0_5tupleIJS9_S6_EEENSM_IJSA_SA_EEES6_PlJS6_EEE10hipError_tPvRmT3_T4_T5_T6_T7_T9_mT8_P12ihipStream_tbDpT10_ENKUlT_T0_E_clISt17integral_constantIbLb1EES19_EEDaS14_S15_EUlS14_E_NS1_11comp_targetILNS1_3genE8ELNS1_11target_archE1030ELNS1_3gpuE2ELNS1_3repE0EEENS1_30default_config_static_selectorELNS0_4arch9wavefront6targetE1EEEvT1_,@function
_ZN7rocprim17ROCPRIM_400000_NS6detail17trampoline_kernelINS0_14default_configENS1_25partition_config_selectorILNS1_17partition_subalgoE5EiNS0_10empty_typeEbEEZZNS1_14partition_implILS5_5ELb0ES3_mPiPS6_N6thrust23THRUST_200600_302600_NS18transform_iteratorINSC_6detail9not_fun_tIN6dUtils8isNotOneIiEEEES9_NSC_11use_defaultESK_EENS0_5tupleIJS9_S6_EEENSM_IJSA_SA_EEES6_PlJS6_EEE10hipError_tPvRmT3_T4_T5_T6_T7_T9_mT8_P12ihipStream_tbDpT10_ENKUlT_T0_E_clISt17integral_constantIbLb1EES19_EEDaS14_S15_EUlS14_E_NS1_11comp_targetILNS1_3genE8ELNS1_11target_archE1030ELNS1_3gpuE2ELNS1_3repE0EEENS1_30default_config_static_selectorELNS0_4arch9wavefront6targetE1EEEvT1_: ; @_ZN7rocprim17ROCPRIM_400000_NS6detail17trampoline_kernelINS0_14default_configENS1_25partition_config_selectorILNS1_17partition_subalgoE5EiNS0_10empty_typeEbEEZZNS1_14partition_implILS5_5ELb0ES3_mPiPS6_N6thrust23THRUST_200600_302600_NS18transform_iteratorINSC_6detail9not_fun_tIN6dUtils8isNotOneIiEEEES9_NSC_11use_defaultESK_EENS0_5tupleIJS9_S6_EEENSM_IJSA_SA_EEES6_PlJS6_EEE10hipError_tPvRmT3_T4_T5_T6_T7_T9_mT8_P12ihipStream_tbDpT10_ENKUlT_T0_E_clISt17integral_constantIbLb1EES19_EEDaS14_S15_EUlS14_E_NS1_11comp_targetILNS1_3genE8ELNS1_11target_archE1030ELNS1_3gpuE2ELNS1_3repE0EEENS1_30default_config_static_selectorELNS0_4arch9wavefront6targetE1EEEvT1_
; %bb.0:
	.section	.rodata,"a",@progbits
	.p2align	6, 0x0
	.amdhsa_kernel _ZN7rocprim17ROCPRIM_400000_NS6detail17trampoline_kernelINS0_14default_configENS1_25partition_config_selectorILNS1_17partition_subalgoE5EiNS0_10empty_typeEbEEZZNS1_14partition_implILS5_5ELb0ES3_mPiPS6_N6thrust23THRUST_200600_302600_NS18transform_iteratorINSC_6detail9not_fun_tIN6dUtils8isNotOneIiEEEES9_NSC_11use_defaultESK_EENS0_5tupleIJS9_S6_EEENSM_IJSA_SA_EEES6_PlJS6_EEE10hipError_tPvRmT3_T4_T5_T6_T7_T9_mT8_P12ihipStream_tbDpT10_ENKUlT_T0_E_clISt17integral_constantIbLb1EES19_EEDaS14_S15_EUlS14_E_NS1_11comp_targetILNS1_3genE8ELNS1_11target_archE1030ELNS1_3gpuE2ELNS1_3repE0EEENS1_30default_config_static_selectorELNS0_4arch9wavefront6targetE1EEEvT1_
		.amdhsa_group_segment_fixed_size 0
		.amdhsa_private_segment_fixed_size 0
		.amdhsa_kernarg_size 136
		.amdhsa_user_sgpr_count 6
		.amdhsa_user_sgpr_private_segment_buffer 1
		.amdhsa_user_sgpr_dispatch_ptr 0
		.amdhsa_user_sgpr_queue_ptr 0
		.amdhsa_user_sgpr_kernarg_segment_ptr 1
		.amdhsa_user_sgpr_dispatch_id 0
		.amdhsa_user_sgpr_flat_scratch_init 0
		.amdhsa_user_sgpr_kernarg_preload_length 0
		.amdhsa_user_sgpr_kernarg_preload_offset 0
		.amdhsa_user_sgpr_private_segment_size 0
		.amdhsa_uses_dynamic_stack 0
		.amdhsa_system_sgpr_private_segment_wavefront_offset 0
		.amdhsa_system_sgpr_workgroup_id_x 1
		.amdhsa_system_sgpr_workgroup_id_y 0
		.amdhsa_system_sgpr_workgroup_id_z 0
		.amdhsa_system_sgpr_workgroup_info 0
		.amdhsa_system_vgpr_workitem_id 0
		.amdhsa_next_free_vgpr 1
		.amdhsa_next_free_sgpr 0
		.amdhsa_accum_offset 4
		.amdhsa_reserve_vcc 0
		.amdhsa_reserve_flat_scratch 0
		.amdhsa_float_round_mode_32 0
		.amdhsa_float_round_mode_16_64 0
		.amdhsa_float_denorm_mode_32 3
		.amdhsa_float_denorm_mode_16_64 3
		.amdhsa_dx10_clamp 1
		.amdhsa_ieee_mode 1
		.amdhsa_fp16_overflow 0
		.amdhsa_tg_split 0
		.amdhsa_exception_fp_ieee_invalid_op 0
		.amdhsa_exception_fp_denorm_src 0
		.amdhsa_exception_fp_ieee_div_zero 0
		.amdhsa_exception_fp_ieee_overflow 0
		.amdhsa_exception_fp_ieee_underflow 0
		.amdhsa_exception_fp_ieee_inexact 0
		.amdhsa_exception_int_div_zero 0
	.end_amdhsa_kernel
	.section	.text._ZN7rocprim17ROCPRIM_400000_NS6detail17trampoline_kernelINS0_14default_configENS1_25partition_config_selectorILNS1_17partition_subalgoE5EiNS0_10empty_typeEbEEZZNS1_14partition_implILS5_5ELb0ES3_mPiPS6_N6thrust23THRUST_200600_302600_NS18transform_iteratorINSC_6detail9not_fun_tIN6dUtils8isNotOneIiEEEES9_NSC_11use_defaultESK_EENS0_5tupleIJS9_S6_EEENSM_IJSA_SA_EEES6_PlJS6_EEE10hipError_tPvRmT3_T4_T5_T6_T7_T9_mT8_P12ihipStream_tbDpT10_ENKUlT_T0_E_clISt17integral_constantIbLb1EES19_EEDaS14_S15_EUlS14_E_NS1_11comp_targetILNS1_3genE8ELNS1_11target_archE1030ELNS1_3gpuE2ELNS1_3repE0EEENS1_30default_config_static_selectorELNS0_4arch9wavefront6targetE1EEEvT1_,"axG",@progbits,_ZN7rocprim17ROCPRIM_400000_NS6detail17trampoline_kernelINS0_14default_configENS1_25partition_config_selectorILNS1_17partition_subalgoE5EiNS0_10empty_typeEbEEZZNS1_14partition_implILS5_5ELb0ES3_mPiPS6_N6thrust23THRUST_200600_302600_NS18transform_iteratorINSC_6detail9not_fun_tIN6dUtils8isNotOneIiEEEES9_NSC_11use_defaultESK_EENS0_5tupleIJS9_S6_EEENSM_IJSA_SA_EEES6_PlJS6_EEE10hipError_tPvRmT3_T4_T5_T6_T7_T9_mT8_P12ihipStream_tbDpT10_ENKUlT_T0_E_clISt17integral_constantIbLb1EES19_EEDaS14_S15_EUlS14_E_NS1_11comp_targetILNS1_3genE8ELNS1_11target_archE1030ELNS1_3gpuE2ELNS1_3repE0EEENS1_30default_config_static_selectorELNS0_4arch9wavefront6targetE1EEEvT1_,comdat
.Lfunc_end128:
	.size	_ZN7rocprim17ROCPRIM_400000_NS6detail17trampoline_kernelINS0_14default_configENS1_25partition_config_selectorILNS1_17partition_subalgoE5EiNS0_10empty_typeEbEEZZNS1_14partition_implILS5_5ELb0ES3_mPiPS6_N6thrust23THRUST_200600_302600_NS18transform_iteratorINSC_6detail9not_fun_tIN6dUtils8isNotOneIiEEEES9_NSC_11use_defaultESK_EENS0_5tupleIJS9_S6_EEENSM_IJSA_SA_EEES6_PlJS6_EEE10hipError_tPvRmT3_T4_T5_T6_T7_T9_mT8_P12ihipStream_tbDpT10_ENKUlT_T0_E_clISt17integral_constantIbLb1EES19_EEDaS14_S15_EUlS14_E_NS1_11comp_targetILNS1_3genE8ELNS1_11target_archE1030ELNS1_3gpuE2ELNS1_3repE0EEENS1_30default_config_static_selectorELNS0_4arch9wavefront6targetE1EEEvT1_, .Lfunc_end128-_ZN7rocprim17ROCPRIM_400000_NS6detail17trampoline_kernelINS0_14default_configENS1_25partition_config_selectorILNS1_17partition_subalgoE5EiNS0_10empty_typeEbEEZZNS1_14partition_implILS5_5ELb0ES3_mPiPS6_N6thrust23THRUST_200600_302600_NS18transform_iteratorINSC_6detail9not_fun_tIN6dUtils8isNotOneIiEEEES9_NSC_11use_defaultESK_EENS0_5tupleIJS9_S6_EEENSM_IJSA_SA_EEES6_PlJS6_EEE10hipError_tPvRmT3_T4_T5_T6_T7_T9_mT8_P12ihipStream_tbDpT10_ENKUlT_T0_E_clISt17integral_constantIbLb1EES19_EEDaS14_S15_EUlS14_E_NS1_11comp_targetILNS1_3genE8ELNS1_11target_archE1030ELNS1_3gpuE2ELNS1_3repE0EEENS1_30default_config_static_selectorELNS0_4arch9wavefront6targetE1EEEvT1_
                                        ; -- End function
	.section	.AMDGPU.csdata,"",@progbits
; Kernel info:
; codeLenInByte = 0
; NumSgprs: 4
; NumVgprs: 0
; NumAgprs: 0
; TotalNumVgprs: 0
; ScratchSize: 0
; MemoryBound: 0
; FloatMode: 240
; IeeeMode: 1
; LDSByteSize: 0 bytes/workgroup (compile time only)
; SGPRBlocks: 0
; VGPRBlocks: 0
; NumSGPRsForWavesPerEU: 4
; NumVGPRsForWavesPerEU: 1
; AccumOffset: 4
; Occupancy: 8
; WaveLimiterHint : 0
; COMPUTE_PGM_RSRC2:SCRATCH_EN: 0
; COMPUTE_PGM_RSRC2:USER_SGPR: 6
; COMPUTE_PGM_RSRC2:TRAP_HANDLER: 0
; COMPUTE_PGM_RSRC2:TGID_X_EN: 1
; COMPUTE_PGM_RSRC2:TGID_Y_EN: 0
; COMPUTE_PGM_RSRC2:TGID_Z_EN: 0
; COMPUTE_PGM_RSRC2:TIDIG_COMP_CNT: 0
; COMPUTE_PGM_RSRC3_GFX90A:ACCUM_OFFSET: 0
; COMPUTE_PGM_RSRC3_GFX90A:TG_SPLIT: 0
	.section	.text._ZN7rocprim17ROCPRIM_400000_NS6detail31init_lookback_scan_state_kernelINS1_19lookback_scan_stateImLb1ELb1EEENS1_16block_id_wrapperIjLb0EEEEEvT_jT0_jPNS7_10value_typeE,"axG",@progbits,_ZN7rocprim17ROCPRIM_400000_NS6detail31init_lookback_scan_state_kernelINS1_19lookback_scan_stateImLb1ELb1EEENS1_16block_id_wrapperIjLb0EEEEEvT_jT0_jPNS7_10value_typeE,comdat
	.protected	_ZN7rocprim17ROCPRIM_400000_NS6detail31init_lookback_scan_state_kernelINS1_19lookback_scan_stateImLb1ELb1EEENS1_16block_id_wrapperIjLb0EEEEEvT_jT0_jPNS7_10value_typeE ; -- Begin function _ZN7rocprim17ROCPRIM_400000_NS6detail31init_lookback_scan_state_kernelINS1_19lookback_scan_stateImLb1ELb1EEENS1_16block_id_wrapperIjLb0EEEEEvT_jT0_jPNS7_10value_typeE
	.globl	_ZN7rocprim17ROCPRIM_400000_NS6detail31init_lookback_scan_state_kernelINS1_19lookback_scan_stateImLb1ELb1EEENS1_16block_id_wrapperIjLb0EEEEEvT_jT0_jPNS7_10value_typeE
	.p2align	8
	.type	_ZN7rocprim17ROCPRIM_400000_NS6detail31init_lookback_scan_state_kernelINS1_19lookback_scan_stateImLb1ELb1EEENS1_16block_id_wrapperIjLb0EEEEEvT_jT0_jPNS7_10value_typeE,@function
_ZN7rocprim17ROCPRIM_400000_NS6detail31init_lookback_scan_state_kernelINS1_19lookback_scan_stateImLb1ELb1EEENS1_16block_id_wrapperIjLb0EEEEEvT_jT0_jPNS7_10value_typeE: ; @_ZN7rocprim17ROCPRIM_400000_NS6detail31init_lookback_scan_state_kernelINS1_19lookback_scan_stateImLb1ELb1EEENS1_16block_id_wrapperIjLb0EEEEEvT_jT0_jPNS7_10value_typeE
; %bb.0:
	s_load_dword s7, s[4:5], 0x2c
	s_load_dwordx2 s[2:3], s[4:5], 0x18
	s_load_dwordx2 s[0:1], s[4:5], 0x0
	s_load_dword s12, s[4:5], 0x8
	s_waitcnt lgkmcnt(0)
	s_and_b32 s7, s7, 0xffff
	s_mul_i32 s6, s6, s7
	s_cmp_eq_u64 s[2:3], 0
	v_add_u32_e32 v0, s6, v0
	s_cbranch_scc1 .LBB129_10
; %bb.1:
	s_load_dword s6, s[4:5], 0x10
	s_mov_b32 s7, 0
	s_waitcnt lgkmcnt(0)
	s_cmp_lt_u32 s6, s12
	s_cselect_b32 s4, s6, 0
	v_cmp_eq_u32_e32 vcc, s4, v0
	s_and_saveexec_b64 s[4:5], vcc
	s_cbranch_execz .LBB129_9
; %bb.2:
	s_add_i32 s6, s6, 64
	s_lshl_b64 s[6:7], s[6:7], 4
	s_add_u32 s10, s0, s6
	s_addc_u32 s11, s1, s7
	v_pk_mov_b32 v[2:3], s[10:11], s[10:11] op_sel:[0,1]
	;;#ASMSTART
	global_load_dwordx4 v[2:5], v[2:3] off glc	
s_waitcnt vmcnt(0)
	;;#ASMEND
	v_mov_b32_e32 v7, 0
	v_and_b32_e32 v6, 0xff, v4
	s_mov_b64 s[8:9], 0
	v_cmp_eq_u64_e32 vcc, 0, v[6:7]
	s_and_saveexec_b64 s[6:7], vcc
	s_cbranch_execz .LBB129_8
; %bb.3:
	s_mov_b32 s13, 1
	v_pk_mov_b32 v[8:9], s[10:11], s[10:11] op_sel:[0,1]
.LBB129_4:                              ; =>This Loop Header: Depth=1
                                        ;     Child Loop BB129_5 Depth 2
	s_max_u32 s10, s13, 1
.LBB129_5:                              ;   Parent Loop BB129_4 Depth=1
                                        ; =>  This Inner Loop Header: Depth=2
	s_add_i32 s10, s10, -1
	s_cmp_eq_u32 s10, 0
	s_sleep 1
	s_cbranch_scc0 .LBB129_5
; %bb.6:                                ;   in Loop: Header=BB129_4 Depth=1
	s_cmp_lt_u32 s13, 32
	s_cselect_b64 s[10:11], -1, 0
	s_cmp_lg_u64 s[10:11], 0
	;;#ASMSTART
	global_load_dwordx4 v[2:5], v[8:9] off glc	
s_waitcnt vmcnt(0)
	;;#ASMEND
	v_and_b32_e32 v6, 0xff, v4
	s_addc_u32 s13, s13, 0
	v_cmp_ne_u64_e32 vcc, 0, v[6:7]
	s_or_b64 s[8:9], vcc, s[8:9]
	s_andn2_b64 exec, exec, s[8:9]
	s_cbranch_execnz .LBB129_4
; %bb.7:
	s_or_b64 exec, exec, s[8:9]
.LBB129_8:
	s_or_b64 exec, exec, s[6:7]
	v_mov_b32_e32 v1, 0
	global_store_dwordx2 v1, v[2:3], s[2:3]
.LBB129_9:
	s_or_b64 exec, exec, s[4:5]
.LBB129_10:
	v_cmp_gt_u32_e32 vcc, s12, v0
	s_and_saveexec_b64 s[2:3], vcc
	s_cbranch_execnz .LBB129_13
; %bb.11:
	s_or_b64 exec, exec, s[2:3]
	v_cmp_gt_u32_e32 vcc, 64, v0
	s_and_saveexec_b64 s[2:3], vcc
	s_cbranch_execnz .LBB129_14
.LBB129_12:
	s_endpgm
.LBB129_13:
	v_add_u32_e32 v2, 64, v0
	v_mov_b32_e32 v3, 0
	v_lshlrev_b64 v[4:5], 4, v[2:3]
	v_mov_b32_e32 v1, s1
	v_add_co_u32_e32 v6, vcc, s0, v4
	v_addc_co_u32_e32 v7, vcc, v1, v5, vcc
	v_mov_b32_e32 v2, v3
	v_mov_b32_e32 v4, v3
	;; [unrolled: 1-line block ×3, first 2 shown]
	global_store_dwordx4 v[6:7], v[2:5], off
	s_or_b64 exec, exec, s[2:3]
	v_cmp_gt_u32_e32 vcc, 64, v0
	s_and_saveexec_b64 s[2:3], vcc
	s_cbranch_execz .LBB129_12
.LBB129_14:
	v_mov_b32_e32 v1, 0
	v_lshlrev_b64 v[2:3], 4, v[0:1]
	v_mov_b32_e32 v0, s1
	v_add_co_u32_e32 v4, vcc, s0, v2
	v_addc_co_u32_e32 v5, vcc, v0, v3, vcc
	v_mov_b32_e32 v2, 0xff
	v_mov_b32_e32 v0, v1
	;; [unrolled: 1-line block ×3, first 2 shown]
	global_store_dwordx4 v[4:5], v[0:3], off
	s_endpgm
	.section	.rodata,"a",@progbits
	.p2align	6, 0x0
	.amdhsa_kernel _ZN7rocprim17ROCPRIM_400000_NS6detail31init_lookback_scan_state_kernelINS1_19lookback_scan_stateImLb1ELb1EEENS1_16block_id_wrapperIjLb0EEEEEvT_jT0_jPNS7_10value_typeE
		.amdhsa_group_segment_fixed_size 0
		.amdhsa_private_segment_fixed_size 0
		.amdhsa_kernarg_size 288
		.amdhsa_user_sgpr_count 6
		.amdhsa_user_sgpr_private_segment_buffer 1
		.amdhsa_user_sgpr_dispatch_ptr 0
		.amdhsa_user_sgpr_queue_ptr 0
		.amdhsa_user_sgpr_kernarg_segment_ptr 1
		.amdhsa_user_sgpr_dispatch_id 0
		.amdhsa_user_sgpr_flat_scratch_init 0
		.amdhsa_user_sgpr_kernarg_preload_length 0
		.amdhsa_user_sgpr_kernarg_preload_offset 0
		.amdhsa_user_sgpr_private_segment_size 0
		.amdhsa_uses_dynamic_stack 0
		.amdhsa_system_sgpr_private_segment_wavefront_offset 0
		.amdhsa_system_sgpr_workgroup_id_x 1
		.amdhsa_system_sgpr_workgroup_id_y 0
		.amdhsa_system_sgpr_workgroup_id_z 0
		.amdhsa_system_sgpr_workgroup_info 0
		.amdhsa_system_vgpr_workitem_id 0
		.amdhsa_next_free_vgpr 10
		.amdhsa_next_free_sgpr 14
		.amdhsa_accum_offset 12
		.amdhsa_reserve_vcc 1
		.amdhsa_reserve_flat_scratch 0
		.amdhsa_float_round_mode_32 0
		.amdhsa_float_round_mode_16_64 0
		.amdhsa_float_denorm_mode_32 3
		.amdhsa_float_denorm_mode_16_64 3
		.amdhsa_dx10_clamp 1
		.amdhsa_ieee_mode 1
		.amdhsa_fp16_overflow 0
		.amdhsa_tg_split 0
		.amdhsa_exception_fp_ieee_invalid_op 0
		.amdhsa_exception_fp_denorm_src 0
		.amdhsa_exception_fp_ieee_div_zero 0
		.amdhsa_exception_fp_ieee_overflow 0
		.amdhsa_exception_fp_ieee_underflow 0
		.amdhsa_exception_fp_ieee_inexact 0
		.amdhsa_exception_int_div_zero 0
	.end_amdhsa_kernel
	.section	.text._ZN7rocprim17ROCPRIM_400000_NS6detail31init_lookback_scan_state_kernelINS1_19lookback_scan_stateImLb1ELb1EEENS1_16block_id_wrapperIjLb0EEEEEvT_jT0_jPNS7_10value_typeE,"axG",@progbits,_ZN7rocprim17ROCPRIM_400000_NS6detail31init_lookback_scan_state_kernelINS1_19lookback_scan_stateImLb1ELb1EEENS1_16block_id_wrapperIjLb0EEEEEvT_jT0_jPNS7_10value_typeE,comdat
.Lfunc_end129:
	.size	_ZN7rocprim17ROCPRIM_400000_NS6detail31init_lookback_scan_state_kernelINS1_19lookback_scan_stateImLb1ELb1EEENS1_16block_id_wrapperIjLb0EEEEEvT_jT0_jPNS7_10value_typeE, .Lfunc_end129-_ZN7rocprim17ROCPRIM_400000_NS6detail31init_lookback_scan_state_kernelINS1_19lookback_scan_stateImLb1ELb1EEENS1_16block_id_wrapperIjLb0EEEEEvT_jT0_jPNS7_10value_typeE
                                        ; -- End function
	.section	.AMDGPU.csdata,"",@progbits
; Kernel info:
; codeLenInByte = 424
; NumSgprs: 18
; NumVgprs: 10
; NumAgprs: 0
; TotalNumVgprs: 10
; ScratchSize: 0
; MemoryBound: 0
; FloatMode: 240
; IeeeMode: 1
; LDSByteSize: 0 bytes/workgroup (compile time only)
; SGPRBlocks: 2
; VGPRBlocks: 1
; NumSGPRsForWavesPerEU: 18
; NumVGPRsForWavesPerEU: 10
; AccumOffset: 12
; Occupancy: 8
; WaveLimiterHint : 0
; COMPUTE_PGM_RSRC2:SCRATCH_EN: 0
; COMPUTE_PGM_RSRC2:USER_SGPR: 6
; COMPUTE_PGM_RSRC2:TRAP_HANDLER: 0
; COMPUTE_PGM_RSRC2:TGID_X_EN: 1
; COMPUTE_PGM_RSRC2:TGID_Y_EN: 0
; COMPUTE_PGM_RSRC2:TGID_Z_EN: 0
; COMPUTE_PGM_RSRC2:TIDIG_COMP_CNT: 0
; COMPUTE_PGM_RSRC3_GFX90A:ACCUM_OFFSET: 2
; COMPUTE_PGM_RSRC3_GFX90A:TG_SPLIT: 0
	.section	.text._ZN7rocprim17ROCPRIM_400000_NS6detail17trampoline_kernelINS0_14default_configENS1_25partition_config_selectorILNS1_17partition_subalgoE5EiNS0_10empty_typeEbEEZZNS1_14partition_implILS5_5ELb0ES3_mPiPS6_N6thrust23THRUST_200600_302600_NS18transform_iteratorINSC_6detail9not_fun_tIN6dUtils8isNotOneIiEEEES9_NSC_11use_defaultESK_EENS0_5tupleIJS9_S6_EEENSM_IJSA_SA_EEES6_PlJS6_EEE10hipError_tPvRmT3_T4_T5_T6_T7_T9_mT8_P12ihipStream_tbDpT10_ENKUlT_T0_E_clISt17integral_constantIbLb1EES18_IbLb0EEEEDaS14_S15_EUlS14_E_NS1_11comp_targetILNS1_3genE0ELNS1_11target_archE4294967295ELNS1_3gpuE0ELNS1_3repE0EEENS1_30default_config_static_selectorELNS0_4arch9wavefront6targetE1EEEvT1_,"axG",@progbits,_ZN7rocprim17ROCPRIM_400000_NS6detail17trampoline_kernelINS0_14default_configENS1_25partition_config_selectorILNS1_17partition_subalgoE5EiNS0_10empty_typeEbEEZZNS1_14partition_implILS5_5ELb0ES3_mPiPS6_N6thrust23THRUST_200600_302600_NS18transform_iteratorINSC_6detail9not_fun_tIN6dUtils8isNotOneIiEEEES9_NSC_11use_defaultESK_EENS0_5tupleIJS9_S6_EEENSM_IJSA_SA_EEES6_PlJS6_EEE10hipError_tPvRmT3_T4_T5_T6_T7_T9_mT8_P12ihipStream_tbDpT10_ENKUlT_T0_E_clISt17integral_constantIbLb1EES18_IbLb0EEEEDaS14_S15_EUlS14_E_NS1_11comp_targetILNS1_3genE0ELNS1_11target_archE4294967295ELNS1_3gpuE0ELNS1_3repE0EEENS1_30default_config_static_selectorELNS0_4arch9wavefront6targetE1EEEvT1_,comdat
	.protected	_ZN7rocprim17ROCPRIM_400000_NS6detail17trampoline_kernelINS0_14default_configENS1_25partition_config_selectorILNS1_17partition_subalgoE5EiNS0_10empty_typeEbEEZZNS1_14partition_implILS5_5ELb0ES3_mPiPS6_N6thrust23THRUST_200600_302600_NS18transform_iteratorINSC_6detail9not_fun_tIN6dUtils8isNotOneIiEEEES9_NSC_11use_defaultESK_EENS0_5tupleIJS9_S6_EEENSM_IJSA_SA_EEES6_PlJS6_EEE10hipError_tPvRmT3_T4_T5_T6_T7_T9_mT8_P12ihipStream_tbDpT10_ENKUlT_T0_E_clISt17integral_constantIbLb1EES18_IbLb0EEEEDaS14_S15_EUlS14_E_NS1_11comp_targetILNS1_3genE0ELNS1_11target_archE4294967295ELNS1_3gpuE0ELNS1_3repE0EEENS1_30default_config_static_selectorELNS0_4arch9wavefront6targetE1EEEvT1_ ; -- Begin function _ZN7rocprim17ROCPRIM_400000_NS6detail17trampoline_kernelINS0_14default_configENS1_25partition_config_selectorILNS1_17partition_subalgoE5EiNS0_10empty_typeEbEEZZNS1_14partition_implILS5_5ELb0ES3_mPiPS6_N6thrust23THRUST_200600_302600_NS18transform_iteratorINSC_6detail9not_fun_tIN6dUtils8isNotOneIiEEEES9_NSC_11use_defaultESK_EENS0_5tupleIJS9_S6_EEENSM_IJSA_SA_EEES6_PlJS6_EEE10hipError_tPvRmT3_T4_T5_T6_T7_T9_mT8_P12ihipStream_tbDpT10_ENKUlT_T0_E_clISt17integral_constantIbLb1EES18_IbLb0EEEEDaS14_S15_EUlS14_E_NS1_11comp_targetILNS1_3genE0ELNS1_11target_archE4294967295ELNS1_3gpuE0ELNS1_3repE0EEENS1_30default_config_static_selectorELNS0_4arch9wavefront6targetE1EEEvT1_
	.globl	_ZN7rocprim17ROCPRIM_400000_NS6detail17trampoline_kernelINS0_14default_configENS1_25partition_config_selectorILNS1_17partition_subalgoE5EiNS0_10empty_typeEbEEZZNS1_14partition_implILS5_5ELb0ES3_mPiPS6_N6thrust23THRUST_200600_302600_NS18transform_iteratorINSC_6detail9not_fun_tIN6dUtils8isNotOneIiEEEES9_NSC_11use_defaultESK_EENS0_5tupleIJS9_S6_EEENSM_IJSA_SA_EEES6_PlJS6_EEE10hipError_tPvRmT3_T4_T5_T6_T7_T9_mT8_P12ihipStream_tbDpT10_ENKUlT_T0_E_clISt17integral_constantIbLb1EES18_IbLb0EEEEDaS14_S15_EUlS14_E_NS1_11comp_targetILNS1_3genE0ELNS1_11target_archE4294967295ELNS1_3gpuE0ELNS1_3repE0EEENS1_30default_config_static_selectorELNS0_4arch9wavefront6targetE1EEEvT1_
	.p2align	8
	.type	_ZN7rocprim17ROCPRIM_400000_NS6detail17trampoline_kernelINS0_14default_configENS1_25partition_config_selectorILNS1_17partition_subalgoE5EiNS0_10empty_typeEbEEZZNS1_14partition_implILS5_5ELb0ES3_mPiPS6_N6thrust23THRUST_200600_302600_NS18transform_iteratorINSC_6detail9not_fun_tIN6dUtils8isNotOneIiEEEES9_NSC_11use_defaultESK_EENS0_5tupleIJS9_S6_EEENSM_IJSA_SA_EEES6_PlJS6_EEE10hipError_tPvRmT3_T4_T5_T6_T7_T9_mT8_P12ihipStream_tbDpT10_ENKUlT_T0_E_clISt17integral_constantIbLb1EES18_IbLb0EEEEDaS14_S15_EUlS14_E_NS1_11comp_targetILNS1_3genE0ELNS1_11target_archE4294967295ELNS1_3gpuE0ELNS1_3repE0EEENS1_30default_config_static_selectorELNS0_4arch9wavefront6targetE1EEEvT1_,@function
_ZN7rocprim17ROCPRIM_400000_NS6detail17trampoline_kernelINS0_14default_configENS1_25partition_config_selectorILNS1_17partition_subalgoE5EiNS0_10empty_typeEbEEZZNS1_14partition_implILS5_5ELb0ES3_mPiPS6_N6thrust23THRUST_200600_302600_NS18transform_iteratorINSC_6detail9not_fun_tIN6dUtils8isNotOneIiEEEES9_NSC_11use_defaultESK_EENS0_5tupleIJS9_S6_EEENSM_IJSA_SA_EEES6_PlJS6_EEE10hipError_tPvRmT3_T4_T5_T6_T7_T9_mT8_P12ihipStream_tbDpT10_ENKUlT_T0_E_clISt17integral_constantIbLb1EES18_IbLb0EEEEDaS14_S15_EUlS14_E_NS1_11comp_targetILNS1_3genE0ELNS1_11target_archE4294967295ELNS1_3gpuE0ELNS1_3repE0EEENS1_30default_config_static_selectorELNS0_4arch9wavefront6targetE1EEEvT1_: ; @_ZN7rocprim17ROCPRIM_400000_NS6detail17trampoline_kernelINS0_14default_configENS1_25partition_config_selectorILNS1_17partition_subalgoE5EiNS0_10empty_typeEbEEZZNS1_14partition_implILS5_5ELb0ES3_mPiPS6_N6thrust23THRUST_200600_302600_NS18transform_iteratorINSC_6detail9not_fun_tIN6dUtils8isNotOneIiEEEES9_NSC_11use_defaultESK_EENS0_5tupleIJS9_S6_EEENSM_IJSA_SA_EEES6_PlJS6_EEE10hipError_tPvRmT3_T4_T5_T6_T7_T9_mT8_P12ihipStream_tbDpT10_ENKUlT_T0_E_clISt17integral_constantIbLb1EES18_IbLb0EEEEDaS14_S15_EUlS14_E_NS1_11comp_targetILNS1_3genE0ELNS1_11target_archE4294967295ELNS1_3gpuE0ELNS1_3repE0EEENS1_30default_config_static_selectorELNS0_4arch9wavefront6targetE1EEEvT1_
; %bb.0:
	.section	.rodata,"a",@progbits
	.p2align	6, 0x0
	.amdhsa_kernel _ZN7rocprim17ROCPRIM_400000_NS6detail17trampoline_kernelINS0_14default_configENS1_25partition_config_selectorILNS1_17partition_subalgoE5EiNS0_10empty_typeEbEEZZNS1_14partition_implILS5_5ELb0ES3_mPiPS6_N6thrust23THRUST_200600_302600_NS18transform_iteratorINSC_6detail9not_fun_tIN6dUtils8isNotOneIiEEEES9_NSC_11use_defaultESK_EENS0_5tupleIJS9_S6_EEENSM_IJSA_SA_EEES6_PlJS6_EEE10hipError_tPvRmT3_T4_T5_T6_T7_T9_mT8_P12ihipStream_tbDpT10_ENKUlT_T0_E_clISt17integral_constantIbLb1EES18_IbLb0EEEEDaS14_S15_EUlS14_E_NS1_11comp_targetILNS1_3genE0ELNS1_11target_archE4294967295ELNS1_3gpuE0ELNS1_3repE0EEENS1_30default_config_static_selectorELNS0_4arch9wavefront6targetE1EEEvT1_
		.amdhsa_group_segment_fixed_size 0
		.amdhsa_private_segment_fixed_size 0
		.amdhsa_kernarg_size 120
		.amdhsa_user_sgpr_count 6
		.amdhsa_user_sgpr_private_segment_buffer 1
		.amdhsa_user_sgpr_dispatch_ptr 0
		.amdhsa_user_sgpr_queue_ptr 0
		.amdhsa_user_sgpr_kernarg_segment_ptr 1
		.amdhsa_user_sgpr_dispatch_id 0
		.amdhsa_user_sgpr_flat_scratch_init 0
		.amdhsa_user_sgpr_kernarg_preload_length 0
		.amdhsa_user_sgpr_kernarg_preload_offset 0
		.amdhsa_user_sgpr_private_segment_size 0
		.amdhsa_uses_dynamic_stack 0
		.amdhsa_system_sgpr_private_segment_wavefront_offset 0
		.amdhsa_system_sgpr_workgroup_id_x 1
		.amdhsa_system_sgpr_workgroup_id_y 0
		.amdhsa_system_sgpr_workgroup_id_z 0
		.amdhsa_system_sgpr_workgroup_info 0
		.amdhsa_system_vgpr_workitem_id 0
		.amdhsa_next_free_vgpr 1
		.amdhsa_next_free_sgpr 0
		.amdhsa_accum_offset 4
		.amdhsa_reserve_vcc 0
		.amdhsa_reserve_flat_scratch 0
		.amdhsa_float_round_mode_32 0
		.amdhsa_float_round_mode_16_64 0
		.amdhsa_float_denorm_mode_32 3
		.amdhsa_float_denorm_mode_16_64 3
		.amdhsa_dx10_clamp 1
		.amdhsa_ieee_mode 1
		.amdhsa_fp16_overflow 0
		.amdhsa_tg_split 0
		.amdhsa_exception_fp_ieee_invalid_op 0
		.amdhsa_exception_fp_denorm_src 0
		.amdhsa_exception_fp_ieee_div_zero 0
		.amdhsa_exception_fp_ieee_overflow 0
		.amdhsa_exception_fp_ieee_underflow 0
		.amdhsa_exception_fp_ieee_inexact 0
		.amdhsa_exception_int_div_zero 0
	.end_amdhsa_kernel
	.section	.text._ZN7rocprim17ROCPRIM_400000_NS6detail17trampoline_kernelINS0_14default_configENS1_25partition_config_selectorILNS1_17partition_subalgoE5EiNS0_10empty_typeEbEEZZNS1_14partition_implILS5_5ELb0ES3_mPiPS6_N6thrust23THRUST_200600_302600_NS18transform_iteratorINSC_6detail9not_fun_tIN6dUtils8isNotOneIiEEEES9_NSC_11use_defaultESK_EENS0_5tupleIJS9_S6_EEENSM_IJSA_SA_EEES6_PlJS6_EEE10hipError_tPvRmT3_T4_T5_T6_T7_T9_mT8_P12ihipStream_tbDpT10_ENKUlT_T0_E_clISt17integral_constantIbLb1EES18_IbLb0EEEEDaS14_S15_EUlS14_E_NS1_11comp_targetILNS1_3genE0ELNS1_11target_archE4294967295ELNS1_3gpuE0ELNS1_3repE0EEENS1_30default_config_static_selectorELNS0_4arch9wavefront6targetE1EEEvT1_,"axG",@progbits,_ZN7rocprim17ROCPRIM_400000_NS6detail17trampoline_kernelINS0_14default_configENS1_25partition_config_selectorILNS1_17partition_subalgoE5EiNS0_10empty_typeEbEEZZNS1_14partition_implILS5_5ELb0ES3_mPiPS6_N6thrust23THRUST_200600_302600_NS18transform_iteratorINSC_6detail9not_fun_tIN6dUtils8isNotOneIiEEEES9_NSC_11use_defaultESK_EENS0_5tupleIJS9_S6_EEENSM_IJSA_SA_EEES6_PlJS6_EEE10hipError_tPvRmT3_T4_T5_T6_T7_T9_mT8_P12ihipStream_tbDpT10_ENKUlT_T0_E_clISt17integral_constantIbLb1EES18_IbLb0EEEEDaS14_S15_EUlS14_E_NS1_11comp_targetILNS1_3genE0ELNS1_11target_archE4294967295ELNS1_3gpuE0ELNS1_3repE0EEENS1_30default_config_static_selectorELNS0_4arch9wavefront6targetE1EEEvT1_,comdat
.Lfunc_end130:
	.size	_ZN7rocprim17ROCPRIM_400000_NS6detail17trampoline_kernelINS0_14default_configENS1_25partition_config_selectorILNS1_17partition_subalgoE5EiNS0_10empty_typeEbEEZZNS1_14partition_implILS5_5ELb0ES3_mPiPS6_N6thrust23THRUST_200600_302600_NS18transform_iteratorINSC_6detail9not_fun_tIN6dUtils8isNotOneIiEEEES9_NSC_11use_defaultESK_EENS0_5tupleIJS9_S6_EEENSM_IJSA_SA_EEES6_PlJS6_EEE10hipError_tPvRmT3_T4_T5_T6_T7_T9_mT8_P12ihipStream_tbDpT10_ENKUlT_T0_E_clISt17integral_constantIbLb1EES18_IbLb0EEEEDaS14_S15_EUlS14_E_NS1_11comp_targetILNS1_3genE0ELNS1_11target_archE4294967295ELNS1_3gpuE0ELNS1_3repE0EEENS1_30default_config_static_selectorELNS0_4arch9wavefront6targetE1EEEvT1_, .Lfunc_end130-_ZN7rocprim17ROCPRIM_400000_NS6detail17trampoline_kernelINS0_14default_configENS1_25partition_config_selectorILNS1_17partition_subalgoE5EiNS0_10empty_typeEbEEZZNS1_14partition_implILS5_5ELb0ES3_mPiPS6_N6thrust23THRUST_200600_302600_NS18transform_iteratorINSC_6detail9not_fun_tIN6dUtils8isNotOneIiEEEES9_NSC_11use_defaultESK_EENS0_5tupleIJS9_S6_EEENSM_IJSA_SA_EEES6_PlJS6_EEE10hipError_tPvRmT3_T4_T5_T6_T7_T9_mT8_P12ihipStream_tbDpT10_ENKUlT_T0_E_clISt17integral_constantIbLb1EES18_IbLb0EEEEDaS14_S15_EUlS14_E_NS1_11comp_targetILNS1_3genE0ELNS1_11target_archE4294967295ELNS1_3gpuE0ELNS1_3repE0EEENS1_30default_config_static_selectorELNS0_4arch9wavefront6targetE1EEEvT1_
                                        ; -- End function
	.section	.AMDGPU.csdata,"",@progbits
; Kernel info:
; codeLenInByte = 0
; NumSgprs: 4
; NumVgprs: 0
; NumAgprs: 0
; TotalNumVgprs: 0
; ScratchSize: 0
; MemoryBound: 0
; FloatMode: 240
; IeeeMode: 1
; LDSByteSize: 0 bytes/workgroup (compile time only)
; SGPRBlocks: 0
; VGPRBlocks: 0
; NumSGPRsForWavesPerEU: 4
; NumVGPRsForWavesPerEU: 1
; AccumOffset: 4
; Occupancy: 8
; WaveLimiterHint : 0
; COMPUTE_PGM_RSRC2:SCRATCH_EN: 0
; COMPUTE_PGM_RSRC2:USER_SGPR: 6
; COMPUTE_PGM_RSRC2:TRAP_HANDLER: 0
; COMPUTE_PGM_RSRC2:TGID_X_EN: 1
; COMPUTE_PGM_RSRC2:TGID_Y_EN: 0
; COMPUTE_PGM_RSRC2:TGID_Z_EN: 0
; COMPUTE_PGM_RSRC2:TIDIG_COMP_CNT: 0
; COMPUTE_PGM_RSRC3_GFX90A:ACCUM_OFFSET: 0
; COMPUTE_PGM_RSRC3_GFX90A:TG_SPLIT: 0
	.section	.text._ZN7rocprim17ROCPRIM_400000_NS6detail17trampoline_kernelINS0_14default_configENS1_25partition_config_selectorILNS1_17partition_subalgoE5EiNS0_10empty_typeEbEEZZNS1_14partition_implILS5_5ELb0ES3_mPiPS6_N6thrust23THRUST_200600_302600_NS18transform_iteratorINSC_6detail9not_fun_tIN6dUtils8isNotOneIiEEEES9_NSC_11use_defaultESK_EENS0_5tupleIJS9_S6_EEENSM_IJSA_SA_EEES6_PlJS6_EEE10hipError_tPvRmT3_T4_T5_T6_T7_T9_mT8_P12ihipStream_tbDpT10_ENKUlT_T0_E_clISt17integral_constantIbLb1EES18_IbLb0EEEEDaS14_S15_EUlS14_E_NS1_11comp_targetILNS1_3genE5ELNS1_11target_archE942ELNS1_3gpuE9ELNS1_3repE0EEENS1_30default_config_static_selectorELNS0_4arch9wavefront6targetE1EEEvT1_,"axG",@progbits,_ZN7rocprim17ROCPRIM_400000_NS6detail17trampoline_kernelINS0_14default_configENS1_25partition_config_selectorILNS1_17partition_subalgoE5EiNS0_10empty_typeEbEEZZNS1_14partition_implILS5_5ELb0ES3_mPiPS6_N6thrust23THRUST_200600_302600_NS18transform_iteratorINSC_6detail9not_fun_tIN6dUtils8isNotOneIiEEEES9_NSC_11use_defaultESK_EENS0_5tupleIJS9_S6_EEENSM_IJSA_SA_EEES6_PlJS6_EEE10hipError_tPvRmT3_T4_T5_T6_T7_T9_mT8_P12ihipStream_tbDpT10_ENKUlT_T0_E_clISt17integral_constantIbLb1EES18_IbLb0EEEEDaS14_S15_EUlS14_E_NS1_11comp_targetILNS1_3genE5ELNS1_11target_archE942ELNS1_3gpuE9ELNS1_3repE0EEENS1_30default_config_static_selectorELNS0_4arch9wavefront6targetE1EEEvT1_,comdat
	.protected	_ZN7rocprim17ROCPRIM_400000_NS6detail17trampoline_kernelINS0_14default_configENS1_25partition_config_selectorILNS1_17partition_subalgoE5EiNS0_10empty_typeEbEEZZNS1_14partition_implILS5_5ELb0ES3_mPiPS6_N6thrust23THRUST_200600_302600_NS18transform_iteratorINSC_6detail9not_fun_tIN6dUtils8isNotOneIiEEEES9_NSC_11use_defaultESK_EENS0_5tupleIJS9_S6_EEENSM_IJSA_SA_EEES6_PlJS6_EEE10hipError_tPvRmT3_T4_T5_T6_T7_T9_mT8_P12ihipStream_tbDpT10_ENKUlT_T0_E_clISt17integral_constantIbLb1EES18_IbLb0EEEEDaS14_S15_EUlS14_E_NS1_11comp_targetILNS1_3genE5ELNS1_11target_archE942ELNS1_3gpuE9ELNS1_3repE0EEENS1_30default_config_static_selectorELNS0_4arch9wavefront6targetE1EEEvT1_ ; -- Begin function _ZN7rocprim17ROCPRIM_400000_NS6detail17trampoline_kernelINS0_14default_configENS1_25partition_config_selectorILNS1_17partition_subalgoE5EiNS0_10empty_typeEbEEZZNS1_14partition_implILS5_5ELb0ES3_mPiPS6_N6thrust23THRUST_200600_302600_NS18transform_iteratorINSC_6detail9not_fun_tIN6dUtils8isNotOneIiEEEES9_NSC_11use_defaultESK_EENS0_5tupleIJS9_S6_EEENSM_IJSA_SA_EEES6_PlJS6_EEE10hipError_tPvRmT3_T4_T5_T6_T7_T9_mT8_P12ihipStream_tbDpT10_ENKUlT_T0_E_clISt17integral_constantIbLb1EES18_IbLb0EEEEDaS14_S15_EUlS14_E_NS1_11comp_targetILNS1_3genE5ELNS1_11target_archE942ELNS1_3gpuE9ELNS1_3repE0EEENS1_30default_config_static_selectorELNS0_4arch9wavefront6targetE1EEEvT1_
	.globl	_ZN7rocprim17ROCPRIM_400000_NS6detail17trampoline_kernelINS0_14default_configENS1_25partition_config_selectorILNS1_17partition_subalgoE5EiNS0_10empty_typeEbEEZZNS1_14partition_implILS5_5ELb0ES3_mPiPS6_N6thrust23THRUST_200600_302600_NS18transform_iteratorINSC_6detail9not_fun_tIN6dUtils8isNotOneIiEEEES9_NSC_11use_defaultESK_EENS0_5tupleIJS9_S6_EEENSM_IJSA_SA_EEES6_PlJS6_EEE10hipError_tPvRmT3_T4_T5_T6_T7_T9_mT8_P12ihipStream_tbDpT10_ENKUlT_T0_E_clISt17integral_constantIbLb1EES18_IbLb0EEEEDaS14_S15_EUlS14_E_NS1_11comp_targetILNS1_3genE5ELNS1_11target_archE942ELNS1_3gpuE9ELNS1_3repE0EEENS1_30default_config_static_selectorELNS0_4arch9wavefront6targetE1EEEvT1_
	.p2align	8
	.type	_ZN7rocprim17ROCPRIM_400000_NS6detail17trampoline_kernelINS0_14default_configENS1_25partition_config_selectorILNS1_17partition_subalgoE5EiNS0_10empty_typeEbEEZZNS1_14partition_implILS5_5ELb0ES3_mPiPS6_N6thrust23THRUST_200600_302600_NS18transform_iteratorINSC_6detail9not_fun_tIN6dUtils8isNotOneIiEEEES9_NSC_11use_defaultESK_EENS0_5tupleIJS9_S6_EEENSM_IJSA_SA_EEES6_PlJS6_EEE10hipError_tPvRmT3_T4_T5_T6_T7_T9_mT8_P12ihipStream_tbDpT10_ENKUlT_T0_E_clISt17integral_constantIbLb1EES18_IbLb0EEEEDaS14_S15_EUlS14_E_NS1_11comp_targetILNS1_3genE5ELNS1_11target_archE942ELNS1_3gpuE9ELNS1_3repE0EEENS1_30default_config_static_selectorELNS0_4arch9wavefront6targetE1EEEvT1_,@function
_ZN7rocprim17ROCPRIM_400000_NS6detail17trampoline_kernelINS0_14default_configENS1_25partition_config_selectorILNS1_17partition_subalgoE5EiNS0_10empty_typeEbEEZZNS1_14partition_implILS5_5ELb0ES3_mPiPS6_N6thrust23THRUST_200600_302600_NS18transform_iteratorINSC_6detail9not_fun_tIN6dUtils8isNotOneIiEEEES9_NSC_11use_defaultESK_EENS0_5tupleIJS9_S6_EEENSM_IJSA_SA_EEES6_PlJS6_EEE10hipError_tPvRmT3_T4_T5_T6_T7_T9_mT8_P12ihipStream_tbDpT10_ENKUlT_T0_E_clISt17integral_constantIbLb1EES18_IbLb0EEEEDaS14_S15_EUlS14_E_NS1_11comp_targetILNS1_3genE5ELNS1_11target_archE942ELNS1_3gpuE9ELNS1_3repE0EEENS1_30default_config_static_selectorELNS0_4arch9wavefront6targetE1EEEvT1_: ; @_ZN7rocprim17ROCPRIM_400000_NS6detail17trampoline_kernelINS0_14default_configENS1_25partition_config_selectorILNS1_17partition_subalgoE5EiNS0_10empty_typeEbEEZZNS1_14partition_implILS5_5ELb0ES3_mPiPS6_N6thrust23THRUST_200600_302600_NS18transform_iteratorINSC_6detail9not_fun_tIN6dUtils8isNotOneIiEEEES9_NSC_11use_defaultESK_EENS0_5tupleIJS9_S6_EEENSM_IJSA_SA_EEES6_PlJS6_EEE10hipError_tPvRmT3_T4_T5_T6_T7_T9_mT8_P12ihipStream_tbDpT10_ENKUlT_T0_E_clISt17integral_constantIbLb1EES18_IbLb0EEEEDaS14_S15_EUlS14_E_NS1_11comp_targetILNS1_3genE5ELNS1_11target_archE942ELNS1_3gpuE9ELNS1_3repE0EEENS1_30default_config_static_selectorELNS0_4arch9wavefront6targetE1EEEvT1_
; %bb.0:
	.section	.rodata,"a",@progbits
	.p2align	6, 0x0
	.amdhsa_kernel _ZN7rocprim17ROCPRIM_400000_NS6detail17trampoline_kernelINS0_14default_configENS1_25partition_config_selectorILNS1_17partition_subalgoE5EiNS0_10empty_typeEbEEZZNS1_14partition_implILS5_5ELb0ES3_mPiPS6_N6thrust23THRUST_200600_302600_NS18transform_iteratorINSC_6detail9not_fun_tIN6dUtils8isNotOneIiEEEES9_NSC_11use_defaultESK_EENS0_5tupleIJS9_S6_EEENSM_IJSA_SA_EEES6_PlJS6_EEE10hipError_tPvRmT3_T4_T5_T6_T7_T9_mT8_P12ihipStream_tbDpT10_ENKUlT_T0_E_clISt17integral_constantIbLb1EES18_IbLb0EEEEDaS14_S15_EUlS14_E_NS1_11comp_targetILNS1_3genE5ELNS1_11target_archE942ELNS1_3gpuE9ELNS1_3repE0EEENS1_30default_config_static_selectorELNS0_4arch9wavefront6targetE1EEEvT1_
		.amdhsa_group_segment_fixed_size 0
		.amdhsa_private_segment_fixed_size 0
		.amdhsa_kernarg_size 120
		.amdhsa_user_sgpr_count 6
		.amdhsa_user_sgpr_private_segment_buffer 1
		.amdhsa_user_sgpr_dispatch_ptr 0
		.amdhsa_user_sgpr_queue_ptr 0
		.amdhsa_user_sgpr_kernarg_segment_ptr 1
		.amdhsa_user_sgpr_dispatch_id 0
		.amdhsa_user_sgpr_flat_scratch_init 0
		.amdhsa_user_sgpr_kernarg_preload_length 0
		.amdhsa_user_sgpr_kernarg_preload_offset 0
		.amdhsa_user_sgpr_private_segment_size 0
		.amdhsa_uses_dynamic_stack 0
		.amdhsa_system_sgpr_private_segment_wavefront_offset 0
		.amdhsa_system_sgpr_workgroup_id_x 1
		.amdhsa_system_sgpr_workgroup_id_y 0
		.amdhsa_system_sgpr_workgroup_id_z 0
		.amdhsa_system_sgpr_workgroup_info 0
		.amdhsa_system_vgpr_workitem_id 0
		.amdhsa_next_free_vgpr 1
		.amdhsa_next_free_sgpr 0
		.amdhsa_accum_offset 4
		.amdhsa_reserve_vcc 0
		.amdhsa_reserve_flat_scratch 0
		.amdhsa_float_round_mode_32 0
		.amdhsa_float_round_mode_16_64 0
		.amdhsa_float_denorm_mode_32 3
		.amdhsa_float_denorm_mode_16_64 3
		.amdhsa_dx10_clamp 1
		.amdhsa_ieee_mode 1
		.amdhsa_fp16_overflow 0
		.amdhsa_tg_split 0
		.amdhsa_exception_fp_ieee_invalid_op 0
		.amdhsa_exception_fp_denorm_src 0
		.amdhsa_exception_fp_ieee_div_zero 0
		.amdhsa_exception_fp_ieee_overflow 0
		.amdhsa_exception_fp_ieee_underflow 0
		.amdhsa_exception_fp_ieee_inexact 0
		.amdhsa_exception_int_div_zero 0
	.end_amdhsa_kernel
	.section	.text._ZN7rocprim17ROCPRIM_400000_NS6detail17trampoline_kernelINS0_14default_configENS1_25partition_config_selectorILNS1_17partition_subalgoE5EiNS0_10empty_typeEbEEZZNS1_14partition_implILS5_5ELb0ES3_mPiPS6_N6thrust23THRUST_200600_302600_NS18transform_iteratorINSC_6detail9not_fun_tIN6dUtils8isNotOneIiEEEES9_NSC_11use_defaultESK_EENS0_5tupleIJS9_S6_EEENSM_IJSA_SA_EEES6_PlJS6_EEE10hipError_tPvRmT3_T4_T5_T6_T7_T9_mT8_P12ihipStream_tbDpT10_ENKUlT_T0_E_clISt17integral_constantIbLb1EES18_IbLb0EEEEDaS14_S15_EUlS14_E_NS1_11comp_targetILNS1_3genE5ELNS1_11target_archE942ELNS1_3gpuE9ELNS1_3repE0EEENS1_30default_config_static_selectorELNS0_4arch9wavefront6targetE1EEEvT1_,"axG",@progbits,_ZN7rocprim17ROCPRIM_400000_NS6detail17trampoline_kernelINS0_14default_configENS1_25partition_config_selectorILNS1_17partition_subalgoE5EiNS0_10empty_typeEbEEZZNS1_14partition_implILS5_5ELb0ES3_mPiPS6_N6thrust23THRUST_200600_302600_NS18transform_iteratorINSC_6detail9not_fun_tIN6dUtils8isNotOneIiEEEES9_NSC_11use_defaultESK_EENS0_5tupleIJS9_S6_EEENSM_IJSA_SA_EEES6_PlJS6_EEE10hipError_tPvRmT3_T4_T5_T6_T7_T9_mT8_P12ihipStream_tbDpT10_ENKUlT_T0_E_clISt17integral_constantIbLb1EES18_IbLb0EEEEDaS14_S15_EUlS14_E_NS1_11comp_targetILNS1_3genE5ELNS1_11target_archE942ELNS1_3gpuE9ELNS1_3repE0EEENS1_30default_config_static_selectorELNS0_4arch9wavefront6targetE1EEEvT1_,comdat
.Lfunc_end131:
	.size	_ZN7rocprim17ROCPRIM_400000_NS6detail17trampoline_kernelINS0_14default_configENS1_25partition_config_selectorILNS1_17partition_subalgoE5EiNS0_10empty_typeEbEEZZNS1_14partition_implILS5_5ELb0ES3_mPiPS6_N6thrust23THRUST_200600_302600_NS18transform_iteratorINSC_6detail9not_fun_tIN6dUtils8isNotOneIiEEEES9_NSC_11use_defaultESK_EENS0_5tupleIJS9_S6_EEENSM_IJSA_SA_EEES6_PlJS6_EEE10hipError_tPvRmT3_T4_T5_T6_T7_T9_mT8_P12ihipStream_tbDpT10_ENKUlT_T0_E_clISt17integral_constantIbLb1EES18_IbLb0EEEEDaS14_S15_EUlS14_E_NS1_11comp_targetILNS1_3genE5ELNS1_11target_archE942ELNS1_3gpuE9ELNS1_3repE0EEENS1_30default_config_static_selectorELNS0_4arch9wavefront6targetE1EEEvT1_, .Lfunc_end131-_ZN7rocprim17ROCPRIM_400000_NS6detail17trampoline_kernelINS0_14default_configENS1_25partition_config_selectorILNS1_17partition_subalgoE5EiNS0_10empty_typeEbEEZZNS1_14partition_implILS5_5ELb0ES3_mPiPS6_N6thrust23THRUST_200600_302600_NS18transform_iteratorINSC_6detail9not_fun_tIN6dUtils8isNotOneIiEEEES9_NSC_11use_defaultESK_EENS0_5tupleIJS9_S6_EEENSM_IJSA_SA_EEES6_PlJS6_EEE10hipError_tPvRmT3_T4_T5_T6_T7_T9_mT8_P12ihipStream_tbDpT10_ENKUlT_T0_E_clISt17integral_constantIbLb1EES18_IbLb0EEEEDaS14_S15_EUlS14_E_NS1_11comp_targetILNS1_3genE5ELNS1_11target_archE942ELNS1_3gpuE9ELNS1_3repE0EEENS1_30default_config_static_selectorELNS0_4arch9wavefront6targetE1EEEvT1_
                                        ; -- End function
	.section	.AMDGPU.csdata,"",@progbits
; Kernel info:
; codeLenInByte = 0
; NumSgprs: 4
; NumVgprs: 0
; NumAgprs: 0
; TotalNumVgprs: 0
; ScratchSize: 0
; MemoryBound: 0
; FloatMode: 240
; IeeeMode: 1
; LDSByteSize: 0 bytes/workgroup (compile time only)
; SGPRBlocks: 0
; VGPRBlocks: 0
; NumSGPRsForWavesPerEU: 4
; NumVGPRsForWavesPerEU: 1
; AccumOffset: 4
; Occupancy: 8
; WaveLimiterHint : 0
; COMPUTE_PGM_RSRC2:SCRATCH_EN: 0
; COMPUTE_PGM_RSRC2:USER_SGPR: 6
; COMPUTE_PGM_RSRC2:TRAP_HANDLER: 0
; COMPUTE_PGM_RSRC2:TGID_X_EN: 1
; COMPUTE_PGM_RSRC2:TGID_Y_EN: 0
; COMPUTE_PGM_RSRC2:TGID_Z_EN: 0
; COMPUTE_PGM_RSRC2:TIDIG_COMP_CNT: 0
; COMPUTE_PGM_RSRC3_GFX90A:ACCUM_OFFSET: 0
; COMPUTE_PGM_RSRC3_GFX90A:TG_SPLIT: 0
	.section	.text._ZN7rocprim17ROCPRIM_400000_NS6detail17trampoline_kernelINS0_14default_configENS1_25partition_config_selectorILNS1_17partition_subalgoE5EiNS0_10empty_typeEbEEZZNS1_14partition_implILS5_5ELb0ES3_mPiPS6_N6thrust23THRUST_200600_302600_NS18transform_iteratorINSC_6detail9not_fun_tIN6dUtils8isNotOneIiEEEES9_NSC_11use_defaultESK_EENS0_5tupleIJS9_S6_EEENSM_IJSA_SA_EEES6_PlJS6_EEE10hipError_tPvRmT3_T4_T5_T6_T7_T9_mT8_P12ihipStream_tbDpT10_ENKUlT_T0_E_clISt17integral_constantIbLb1EES18_IbLb0EEEEDaS14_S15_EUlS14_E_NS1_11comp_targetILNS1_3genE4ELNS1_11target_archE910ELNS1_3gpuE8ELNS1_3repE0EEENS1_30default_config_static_selectorELNS0_4arch9wavefront6targetE1EEEvT1_,"axG",@progbits,_ZN7rocprim17ROCPRIM_400000_NS6detail17trampoline_kernelINS0_14default_configENS1_25partition_config_selectorILNS1_17partition_subalgoE5EiNS0_10empty_typeEbEEZZNS1_14partition_implILS5_5ELb0ES3_mPiPS6_N6thrust23THRUST_200600_302600_NS18transform_iteratorINSC_6detail9not_fun_tIN6dUtils8isNotOneIiEEEES9_NSC_11use_defaultESK_EENS0_5tupleIJS9_S6_EEENSM_IJSA_SA_EEES6_PlJS6_EEE10hipError_tPvRmT3_T4_T5_T6_T7_T9_mT8_P12ihipStream_tbDpT10_ENKUlT_T0_E_clISt17integral_constantIbLb1EES18_IbLb0EEEEDaS14_S15_EUlS14_E_NS1_11comp_targetILNS1_3genE4ELNS1_11target_archE910ELNS1_3gpuE8ELNS1_3repE0EEENS1_30default_config_static_selectorELNS0_4arch9wavefront6targetE1EEEvT1_,comdat
	.protected	_ZN7rocprim17ROCPRIM_400000_NS6detail17trampoline_kernelINS0_14default_configENS1_25partition_config_selectorILNS1_17partition_subalgoE5EiNS0_10empty_typeEbEEZZNS1_14partition_implILS5_5ELb0ES3_mPiPS6_N6thrust23THRUST_200600_302600_NS18transform_iteratorINSC_6detail9not_fun_tIN6dUtils8isNotOneIiEEEES9_NSC_11use_defaultESK_EENS0_5tupleIJS9_S6_EEENSM_IJSA_SA_EEES6_PlJS6_EEE10hipError_tPvRmT3_T4_T5_T6_T7_T9_mT8_P12ihipStream_tbDpT10_ENKUlT_T0_E_clISt17integral_constantIbLb1EES18_IbLb0EEEEDaS14_S15_EUlS14_E_NS1_11comp_targetILNS1_3genE4ELNS1_11target_archE910ELNS1_3gpuE8ELNS1_3repE0EEENS1_30default_config_static_selectorELNS0_4arch9wavefront6targetE1EEEvT1_ ; -- Begin function _ZN7rocprim17ROCPRIM_400000_NS6detail17trampoline_kernelINS0_14default_configENS1_25partition_config_selectorILNS1_17partition_subalgoE5EiNS0_10empty_typeEbEEZZNS1_14partition_implILS5_5ELb0ES3_mPiPS6_N6thrust23THRUST_200600_302600_NS18transform_iteratorINSC_6detail9not_fun_tIN6dUtils8isNotOneIiEEEES9_NSC_11use_defaultESK_EENS0_5tupleIJS9_S6_EEENSM_IJSA_SA_EEES6_PlJS6_EEE10hipError_tPvRmT3_T4_T5_T6_T7_T9_mT8_P12ihipStream_tbDpT10_ENKUlT_T0_E_clISt17integral_constantIbLb1EES18_IbLb0EEEEDaS14_S15_EUlS14_E_NS1_11comp_targetILNS1_3genE4ELNS1_11target_archE910ELNS1_3gpuE8ELNS1_3repE0EEENS1_30default_config_static_selectorELNS0_4arch9wavefront6targetE1EEEvT1_
	.globl	_ZN7rocprim17ROCPRIM_400000_NS6detail17trampoline_kernelINS0_14default_configENS1_25partition_config_selectorILNS1_17partition_subalgoE5EiNS0_10empty_typeEbEEZZNS1_14partition_implILS5_5ELb0ES3_mPiPS6_N6thrust23THRUST_200600_302600_NS18transform_iteratorINSC_6detail9not_fun_tIN6dUtils8isNotOneIiEEEES9_NSC_11use_defaultESK_EENS0_5tupleIJS9_S6_EEENSM_IJSA_SA_EEES6_PlJS6_EEE10hipError_tPvRmT3_T4_T5_T6_T7_T9_mT8_P12ihipStream_tbDpT10_ENKUlT_T0_E_clISt17integral_constantIbLb1EES18_IbLb0EEEEDaS14_S15_EUlS14_E_NS1_11comp_targetILNS1_3genE4ELNS1_11target_archE910ELNS1_3gpuE8ELNS1_3repE0EEENS1_30default_config_static_selectorELNS0_4arch9wavefront6targetE1EEEvT1_
	.p2align	8
	.type	_ZN7rocprim17ROCPRIM_400000_NS6detail17trampoline_kernelINS0_14default_configENS1_25partition_config_selectorILNS1_17partition_subalgoE5EiNS0_10empty_typeEbEEZZNS1_14partition_implILS5_5ELb0ES3_mPiPS6_N6thrust23THRUST_200600_302600_NS18transform_iteratorINSC_6detail9not_fun_tIN6dUtils8isNotOneIiEEEES9_NSC_11use_defaultESK_EENS0_5tupleIJS9_S6_EEENSM_IJSA_SA_EEES6_PlJS6_EEE10hipError_tPvRmT3_T4_T5_T6_T7_T9_mT8_P12ihipStream_tbDpT10_ENKUlT_T0_E_clISt17integral_constantIbLb1EES18_IbLb0EEEEDaS14_S15_EUlS14_E_NS1_11comp_targetILNS1_3genE4ELNS1_11target_archE910ELNS1_3gpuE8ELNS1_3repE0EEENS1_30default_config_static_selectorELNS0_4arch9wavefront6targetE1EEEvT1_,@function
_ZN7rocprim17ROCPRIM_400000_NS6detail17trampoline_kernelINS0_14default_configENS1_25partition_config_selectorILNS1_17partition_subalgoE5EiNS0_10empty_typeEbEEZZNS1_14partition_implILS5_5ELb0ES3_mPiPS6_N6thrust23THRUST_200600_302600_NS18transform_iteratorINSC_6detail9not_fun_tIN6dUtils8isNotOneIiEEEES9_NSC_11use_defaultESK_EENS0_5tupleIJS9_S6_EEENSM_IJSA_SA_EEES6_PlJS6_EEE10hipError_tPvRmT3_T4_T5_T6_T7_T9_mT8_P12ihipStream_tbDpT10_ENKUlT_T0_E_clISt17integral_constantIbLb1EES18_IbLb0EEEEDaS14_S15_EUlS14_E_NS1_11comp_targetILNS1_3genE4ELNS1_11target_archE910ELNS1_3gpuE8ELNS1_3repE0EEENS1_30default_config_static_selectorELNS0_4arch9wavefront6targetE1EEEvT1_: ; @_ZN7rocprim17ROCPRIM_400000_NS6detail17trampoline_kernelINS0_14default_configENS1_25partition_config_selectorILNS1_17partition_subalgoE5EiNS0_10empty_typeEbEEZZNS1_14partition_implILS5_5ELb0ES3_mPiPS6_N6thrust23THRUST_200600_302600_NS18transform_iteratorINSC_6detail9not_fun_tIN6dUtils8isNotOneIiEEEES9_NSC_11use_defaultESK_EENS0_5tupleIJS9_S6_EEENSM_IJSA_SA_EEES6_PlJS6_EEE10hipError_tPvRmT3_T4_T5_T6_T7_T9_mT8_P12ihipStream_tbDpT10_ENKUlT_T0_E_clISt17integral_constantIbLb1EES18_IbLb0EEEEDaS14_S15_EUlS14_E_NS1_11comp_targetILNS1_3genE4ELNS1_11target_archE910ELNS1_3gpuE8ELNS1_3repE0EEENS1_30default_config_static_selectorELNS0_4arch9wavefront6targetE1EEEvT1_
; %bb.0:
	s_load_dwordx2 s[0:1], s[4:5], 0x58
	s_load_dwordx4 s[12:15], s[4:5], 0x8
	s_load_dwordx2 s[2:3], s[4:5], 0x20
	s_load_dwordx4 s[16:19], s[4:5], 0x48
	s_mul_i32 s10, s6, 0x700
	s_waitcnt lgkmcnt(0)
	v_mov_b32_e32 v3, s1
	s_load_dword s1, s[4:5], 0x70
	s_lshl_b64 s[8:9], s[14:15], 2
	s_add_u32 s24, s12, s8
	s_addc_u32 s25, s13, s9
	v_mov_b32_e32 v2, s0
	s_waitcnt lgkmcnt(0)
	s_add_i32 s12, s1, -1
	s_mulk_i32 s1, 0x700
	s_add_i32 s7, s1, s14
	s_sub_i32 s7, s0, s7
	s_addk_i32 s7, 0x700
	s_add_u32 s0, s14, s1
	s_addc_u32 s1, s15, 0
	s_cmp_eq_u32 s6, s12
	s_load_dwordx2 s[18:19], s[18:19], 0x0
	v_cmp_ge_u64_e32 vcc, s[0:1], v[2:3]
	s_cselect_b64 s[20:21], -1, 0
	s_mov_b32 s11, 0
	s_and_b64 s[12:13], s[20:21], vcc
	s_xor_b64 s[22:23], s[12:13], -1
	s_lshl_b64 s[10:11], s[10:11], 2
	s_add_u32 s12, s24, s10
	s_mov_b64 s[0:1], -1
	s_addc_u32 s13, s25, s11
	s_and_b64 vcc, exec, s[22:23]
	s_cbranch_vccz .LBB132_2
; %bb.1:
	v_lshlrev_b32_e32 v1, 2, v0
	v_mov_b32_e32 v2, s13
	v_add_co_u32_e32 v3, vcc, s12, v1
	v_addc_co_u32_e32 v4, vcc, 0, v2, vcc
	v_add_co_u32_e32 v2, vcc, 0x1000, v3
	v_addc_co_u32_e32 v3, vcc, 0, v4, vcc
	global_load_dword v4, v1, s[12:13]
	global_load_dword v5, v1, s[12:13] offset:1024
	global_load_dword v6, v1, s[12:13] offset:2048
	;; [unrolled: 1-line block ×3, first 2 shown]
	global_load_dword v8, v[2:3], off
	global_load_dword v9, v[2:3], off offset:1024
	global_load_dword v10, v[2:3], off offset:2048
	s_mov_b64 s[0:1], 0
	s_waitcnt vmcnt(5)
	ds_write2st64_b32 v1, v4, v5 offset1:4
	s_waitcnt vmcnt(3)
	ds_write2st64_b32 v1, v6, v7 offset0:8 offset1:12
	s_waitcnt vmcnt(1)
	ds_write2st64_b32 v1, v8, v9 offset0:16 offset1:20
	s_waitcnt vmcnt(0)
	ds_write_b32 v1, v10 offset:6144
	s_waitcnt lgkmcnt(0)
	s_barrier
.LBB132_2:
	s_andn2_b64 vcc, exec, s[0:1]
	v_cmp_gt_u32_e64 s[0:1], s7, v0
	s_cbranch_vccnz .LBB132_18
; %bb.3:
                                        ; implicit-def: $vgpr2_vgpr3_vgpr4_vgpr5_vgpr6_vgpr7_vgpr8
	s_and_saveexec_b64 s[14:15], s[0:1]
	s_cbranch_execz .LBB132_5
; %bb.4:
	v_lshlrev_b32_e32 v1, 2, v0
	global_load_dword v2, v1, s[12:13]
.LBB132_5:
	s_or_b64 exec, exec, s[14:15]
	v_or_b32_e32 v1, 0x100, v0
	v_cmp_gt_u32_e32 vcc, s7, v1
	s_and_saveexec_b64 s[0:1], vcc
	s_cbranch_execz .LBB132_7
; %bb.6:
	v_lshlrev_b32_e32 v1, 2, v0
	global_load_dword v3, v1, s[12:13] offset:1024
.LBB132_7:
	s_or_b64 exec, exec, s[0:1]
	v_or_b32_e32 v1, 0x200, v0
	v_cmp_gt_u32_e32 vcc, s7, v1
	s_and_saveexec_b64 s[0:1], vcc
	s_cbranch_execz .LBB132_9
; %bb.8:
	v_lshlrev_b32_e32 v1, 2, v0
	global_load_dword v4, v1, s[12:13] offset:2048
.LBB132_9:
	s_or_b64 exec, exec, s[0:1]
	v_or_b32_e32 v1, 0x300, v0
	v_cmp_gt_u32_e32 vcc, s7, v1
	s_and_saveexec_b64 s[0:1], vcc
	s_cbranch_execz .LBB132_11
; %bb.10:
	v_lshlrev_b32_e32 v1, 2, v0
	global_load_dword v5, v1, s[12:13] offset:3072
.LBB132_11:
	s_or_b64 exec, exec, s[0:1]
	v_or_b32_e32 v1, 0x400, v0
	v_cmp_gt_u32_e32 vcc, s7, v1
	s_and_saveexec_b64 s[0:1], vcc
	s_cbranch_execz .LBB132_13
; %bb.12:
	v_lshlrev_b32_e32 v1, 2, v1
	global_load_dword v6, v1, s[12:13]
.LBB132_13:
	s_or_b64 exec, exec, s[0:1]
	v_or_b32_e32 v1, 0x500, v0
	v_cmp_gt_u32_e32 vcc, s7, v1
	s_and_saveexec_b64 s[0:1], vcc
	s_cbranch_execz .LBB132_15
; %bb.14:
	v_lshlrev_b32_e32 v1, 2, v1
	global_load_dword v7, v1, s[12:13]
.LBB132_15:
	s_or_b64 exec, exec, s[0:1]
	v_or_b32_e32 v1, 0x600, v0
	v_cmp_gt_u32_e32 vcc, s7, v1
	s_and_saveexec_b64 s[0:1], vcc
	s_cbranch_execz .LBB132_17
; %bb.16:
	v_lshlrev_b32_e32 v1, 2, v1
	global_load_dword v8, v1, s[12:13]
.LBB132_17:
	s_or_b64 exec, exec, s[0:1]
	v_lshlrev_b32_e32 v1, 2, v0
	s_waitcnt vmcnt(0)
	ds_write2st64_b32 v1, v2, v3 offset1:4
	ds_write2st64_b32 v1, v4, v5 offset0:8 offset1:12
	ds_write2st64_b32 v1, v6, v7 offset0:16 offset1:20
	ds_write_b32 v1, v8 offset:6144
	s_waitcnt lgkmcnt(0)
	s_barrier
.LBB132_18:
	v_mul_u32_u24_e32 v1, 7, v0
	v_lshlrev_b32_e32 v1, 2, v1
	s_waitcnt lgkmcnt(0)
	ds_read2_b32 v[14:15], v1 offset1:1
	ds_read2_b32 v[12:13], v1 offset0:2 offset1:3
	ds_read2_b32 v[10:11], v1 offset0:4 offset1:5
	ds_read_b32 v17, v1 offset:24
	s_add_u32 s0, s2, s8
	s_addc_u32 s1, s3, s9
	s_add_u32 s0, s0, s10
	s_addc_u32 s1, s1, s11
	s_mov_b64 s[2:3], -1
	s_and_b64 vcc, exec, s[22:23]
	s_waitcnt lgkmcnt(0)
	s_barrier
	s_cbranch_vccz .LBB132_20
; %bb.19:
	v_lshlrev_b32_e32 v2, 2, v0
	v_mov_b32_e32 v3, s1
	global_load_dword v4, v2, s[0:1]
	global_load_dword v5, v2, s[0:1] offset:1024
	global_load_dword v6, v2, s[0:1] offset:2048
	v_add_co_u32_e32 v7, vcc, s0, v2
	v_addc_co_u32_e32 v3, vcc, 0, v3, vcc
	global_load_dword v8, v2, s[0:1] offset:3072
	s_movk_i32 s2, 0x1000
	v_add_co_u32_e32 v2, vcc, s2, v7
	v_addc_co_u32_e32 v3, vcc, 0, v3, vcc
	global_load_dword v7, v[2:3], off
	global_load_dword v9, v[2:3], off offset:1024
	global_load_dword v16, v[2:3], off offset:2048
	s_mov_b64 s[2:3], 0
	s_waitcnt vmcnt(6)
	v_cmp_eq_u32_e32 vcc, 1, v4
	v_cndmask_b32_e64 v2, 0, 1, vcc
	s_waitcnt vmcnt(5)
	v_cmp_eq_u32_e32 vcc, 1, v5
	v_cndmask_b32_e64 v3, 0, 1, vcc
	;; [unrolled: 3-line block ×4, first 2 shown]
	ds_write_b8 v0, v2
	ds_write_b8 v0, v3 offset:256
	ds_write_b8 v0, v4 offset:512
	;; [unrolled: 1-line block ×3, first 2 shown]
	s_waitcnt vmcnt(2)
	v_cmp_eq_u32_e32 vcc, 1, v7
	v_cndmask_b32_e64 v2, 0, 1, vcc
	s_waitcnt vmcnt(1)
	v_cmp_eq_u32_e32 vcc, 1, v9
	v_cndmask_b32_e64 v3, 0, 1, vcc
	;; [unrolled: 3-line block ×3, first 2 shown]
	ds_write_b8 v0, v2 offset:1024
	ds_write_b8 v0, v3 offset:1280
	ds_write_b8 v0, v4 offset:1536
	s_waitcnt lgkmcnt(0)
	s_barrier
.LBB132_20:
	s_load_dwordx2 s[24:25], s[4:5], 0x68
	s_andn2_b64 vcc, exec, s[2:3]
	s_cbranch_vccnz .LBB132_36
; %bb.21:
	v_cmp_gt_u32_e32 vcc, s7, v0
	v_mov_b32_e32 v2, 0
	v_mov_b32_e32 v3, 0
	s_and_saveexec_b64 s[2:3], vcc
	s_cbranch_execz .LBB132_23
; %bb.22:
	v_lshlrev_b32_e32 v3, 2, v0
	global_load_dword v3, v3, s[0:1]
	s_waitcnt vmcnt(0)
	v_cmp_eq_u32_e32 vcc, 1, v3
	v_cndmask_b32_e64 v3, 0, 1, vcc
.LBB132_23:
	s_or_b64 exec, exec, s[2:3]
	v_or_b32_e32 v4, 0x100, v0
	v_cmp_gt_u32_e32 vcc, s7, v4
	s_and_saveexec_b64 s[2:3], vcc
	s_cbranch_execz .LBB132_25
; %bb.24:
	v_lshlrev_b32_e32 v2, 2, v0
	global_load_dword v2, v2, s[0:1] offset:1024
	s_waitcnt vmcnt(0)
	v_cmp_eq_u32_e32 vcc, 1, v2
	v_cndmask_b32_e64 v2, 0, 1, vcc
.LBB132_25:
	s_or_b64 exec, exec, s[2:3]
	v_or_b32_e32 v4, 0x200, v0
	v_cmp_gt_u32_e32 vcc, s7, v4
	v_mov_b32_e32 v4, 0
	v_mov_b32_e32 v5, 0
	s_and_saveexec_b64 s[2:3], vcc
	s_cbranch_execz .LBB132_27
; %bb.26:
	v_lshlrev_b32_e32 v5, 2, v0
	global_load_dword v5, v5, s[0:1] offset:2048
	s_waitcnt vmcnt(0)
	v_cmp_eq_u32_e32 vcc, 1, v5
	v_cndmask_b32_e64 v5, 0, 1, vcc
.LBB132_27:
	s_or_b64 exec, exec, s[2:3]
	v_or_b32_e32 v6, 0x300, v0
	v_cmp_gt_u32_e32 vcc, s7, v6
	s_and_saveexec_b64 s[2:3], vcc
	s_cbranch_execz .LBB132_29
; %bb.28:
	v_lshlrev_b32_e32 v4, 2, v0
	global_load_dword v4, v4, s[0:1] offset:3072
	s_waitcnt vmcnt(0)
	v_cmp_eq_u32_e32 vcc, 1, v4
	v_cndmask_b32_e64 v4, 0, 1, vcc
.LBB132_29:
	s_or_b64 exec, exec, s[2:3]
	v_or_b32_e32 v8, 0x400, v0
	v_cmp_gt_u32_e32 vcc, s7, v8
	v_mov_b32_e32 v6, 0
	v_mov_b32_e32 v7, 0
	s_and_saveexec_b64 s[2:3], vcc
	s_cbranch_execz .LBB132_31
; %bb.30:
	v_lshlrev_b32_e32 v7, 2, v8
	global_load_dword v7, v7, s[0:1]
	s_waitcnt vmcnt(0)
	v_cmp_eq_u32_e32 vcc, 1, v7
	v_cndmask_b32_e64 v7, 0, 1, vcc
.LBB132_31:
	s_or_b64 exec, exec, s[2:3]
	v_or_b32_e32 v8, 0x500, v0
	v_cmp_gt_u32_e32 vcc, s7, v8
	s_and_saveexec_b64 s[2:3], vcc
	s_cbranch_execz .LBB132_33
; %bb.32:
	v_lshlrev_b32_e32 v6, 2, v8
	global_load_dword v6, v6, s[0:1]
	s_waitcnt vmcnt(0)
	v_cmp_eq_u32_e32 vcc, 1, v6
	v_cndmask_b32_e64 v6, 0, 1, vcc
.LBB132_33:
	s_or_b64 exec, exec, s[2:3]
	v_or_b32_e32 v9, 0x600, v0
	v_cmp_gt_u32_e32 vcc, s7, v9
	v_mov_b32_e32 v8, 0
	s_and_saveexec_b64 s[2:3], vcc
	s_cbranch_execz .LBB132_35
; %bb.34:
	v_lshlrev_b32_e32 v8, 2, v9
	global_load_dword v8, v8, s[0:1]
	s_waitcnt vmcnt(0)
	v_cmp_eq_u32_e32 vcc, 1, v8
	v_cndmask_b32_e64 v8, 0, 1, vcc
.LBB132_35:
	s_or_b64 exec, exec, s[2:3]
	ds_write_b8 v0, v3
	ds_write_b8 v0, v2 offset:256
	ds_write_b8 v0, v5 offset:512
	;; [unrolled: 1-line block ×6, first 2 shown]
	s_waitcnt lgkmcnt(0)
	s_barrier
.LBB132_36:
	s_movk_i32 s0, 0xffeb
	v_mad_i32_i24 v23, v0, s0, v1
	s_waitcnt lgkmcnt(0)
	ds_read_u8 v1, v23
	ds_read_u8 v2, v23 offset:1
	ds_read_u8 v3, v23 offset:2
	;; [unrolled: 1-line block ×6, first 2 shown]
	s_waitcnt lgkmcnt(6)
	v_and_b32_e32 v26, 1, v1
	s_waitcnt lgkmcnt(5)
	v_and_b32_e32 v24, 1, v2
	s_waitcnt lgkmcnt(4)
	v_and_b32_e32 v22, 1, v3
	v_add_co_u32_e32 v2, vcc, v24, v26
	v_addc_co_u32_e64 v3, s[0:1], 0, 0, vcc
	v_add_co_u32_e32 v2, vcc, v2, v22
	s_waitcnt lgkmcnt(3)
	v_and_b32_e32 v20, 1, v4
	v_addc_co_u32_e32 v3, vcc, 0, v3, vcc
	v_add_co_u32_e32 v2, vcc, v2, v20
	s_waitcnt lgkmcnt(2)
	v_and_b32_e32 v18, 1, v5
	v_addc_co_u32_e32 v3, vcc, 0, v3, vcc
	;; [unrolled: 4-line block ×4, first 2 shown]
	v_add_co_u32_e32 v28, vcc, v2, v19
	v_mbcnt_lo_u32_b32 v2, -1, 0
	v_mbcnt_hi_u32_b32 v21, -1, v2
	v_addc_co_u32_e32 v29, vcc, 0, v3, vcc
	v_and_b32_e32 v27, 15, v21
	s_cmp_lg_u32 s6, 0
	v_mov_b32_e32 v1, 0
	v_cmp_eq_u32_e64 s[2:3], 0, v27
	v_cmp_lt_u32_e64 s[0:1], 1, v27
	v_cmp_lt_u32_e64 s[10:11], 3, v27
	;; [unrolled: 1-line block ×3, first 2 shown]
	v_and_b32_e32 v25, 16, v21
	v_cmp_eq_u32_e64 s[12:13], 0, v21
	v_cmp_ne_u32_e32 vcc, 0, v21
	s_barrier
	s_cbranch_scc0 .LBB132_69
; %bb.37:
	v_mov_b32_dpp v2, v28 row_shr:1 row_mask:0xf bank_mask:0xf
	v_add_co_u32_e64 v2, s[14:15], v28, v2
	v_addc_co_u32_e64 v3, s[14:15], 0, v29, s[14:15]
	v_mov_b32_dpp v1, v1 row_shr:1 row_mask:0xf bank_mask:0xf
	v_add_co_u32_e64 v4, s[14:15], 0, v2
	v_addc_co_u32_e64 v1, s[14:15], v1, v3, s[14:15]
	v_cndmask_b32_e64 v2, v2, v28, s[2:3]
	v_cndmask_b32_e64 v3, v1, 0, s[2:3]
	v_cndmask_b32_e64 v4, v4, v28, s[2:3]
	v_mov_b32_dpp v5, v2 row_shr:2 row_mask:0xf bank_mask:0xf
	v_cndmask_b32_e64 v1, v1, v29, s[2:3]
	v_mov_b32_dpp v6, v3 row_shr:2 row_mask:0xf bank_mask:0xf
	v_add_co_u32_e64 v5, s[14:15], v5, v4
	v_addc_co_u32_e64 v6, s[14:15], v6, v1, s[14:15]
	v_cndmask_b32_e64 v2, v2, v5, s[0:1]
	v_cndmask_b32_e64 v3, v3, v6, s[0:1]
	v_cndmask_b32_e64 v4, v4, v5, s[0:1]
	v_mov_b32_dpp v5, v2 row_shr:4 row_mask:0xf bank_mask:0xf
	v_cndmask_b32_e64 v1, v1, v6, s[0:1]
	;; [unrolled: 8-line block ×3, first 2 shown]
	v_mov_b32_dpp v6, v3 row_shr:8 row_mask:0xf bank_mask:0xf
	v_add_co_u32_e64 v5, s[10:11], v5, v4
	v_addc_co_u32_e64 v6, s[10:11], v6, v1, s[10:11]
	v_cndmask_b32_e64 v2, v2, v5, s[8:9]
	v_cndmask_b32_e64 v3, v3, v6, s[8:9]
	;; [unrolled: 1-line block ×3, first 2 shown]
	v_mov_b32_dpp v5, v2 row_bcast:15 row_mask:0xf bank_mask:0xf
	v_cndmask_b32_e64 v1, v1, v6, s[8:9]
	v_mov_b32_dpp v6, v3 row_bcast:15 row_mask:0xf bank_mask:0xf
	v_add_co_u32_e64 v5, s[8:9], v5, v4
	v_addc_co_u32_e64 v7, s[8:9], v6, v1, s[8:9]
	v_cmp_eq_u32_e64 s[8:9], 0, v25
	v_cndmask_b32_e64 v3, v7, v3, s[8:9]
	v_cndmask_b32_e64 v2, v5, v2, s[8:9]
	s_nop 0
	v_mov_b32_dpp v8, v3 row_bcast:31 row_mask:0xf bank_mask:0xf
	v_mov_b32_dpp v6, v2 row_bcast:31 row_mask:0xf bank_mask:0xf
	v_pk_mov_b32 v[2:3], v[28:29], v[28:29] op_sel:[0,1]
	s_and_saveexec_b64 s[10:11], vcc
; %bb.38:
	v_cmp_lt_u32_e32 vcc, 31, v21
	v_cndmask_b32_e64 v2, v5, v4, s[8:9]
	v_cndmask_b32_e32 v4, 0, v6, vcc
	v_cndmask_b32_e64 v1, v7, v1, s[8:9]
	v_cndmask_b32_e32 v3, 0, v8, vcc
	v_add_co_u32_e32 v2, vcc, v4, v2
	v_addc_co_u32_e32 v3, vcc, v3, v1, vcc
; %bb.39:
	s_or_b64 exec, exec, s[10:11]
	v_or_b32_e32 v4, 63, v0
	v_lshrrev_b32_e32 v1, 6, v0
	v_cmp_eq_u32_e32 vcc, v4, v0
	s_and_saveexec_b64 s[8:9], vcc
	s_cbranch_execz .LBB132_41
; %bb.40:
	v_lshlrev_b32_e32 v4, 3, v1
	ds_write_b64 v4, v[2:3]
.LBB132_41:
	s_or_b64 exec, exec, s[8:9]
	v_cmp_gt_u32_e32 vcc, 4, v0
	s_waitcnt lgkmcnt(0)
	s_barrier
	s_and_saveexec_b64 s[10:11], vcc
	s_cbranch_execz .LBB132_43
; %bb.42:
	v_lshlrev_b32_e32 v6, 3, v0
	ds_read_b64 v[4:5], v6
	v_and_b32_e32 v7, 3, v21
	v_cmp_ne_u32_e64 s[8:9], 1, v7
	s_waitcnt lgkmcnt(0)
	v_mov_b32_dpp v8, v4 row_shr:1 row_mask:0xf bank_mask:0xf
	v_add_co_u32_e32 v8, vcc, v4, v8
	v_addc_co_u32_e32 v30, vcc, 0, v5, vcc
	v_mov_b32_dpp v9, v5 row_shr:1 row_mask:0xf bank_mask:0xf
	v_add_co_u32_e32 v31, vcc, 0, v8
	v_addc_co_u32_e32 v9, vcc, v9, v30, vcc
	v_cmp_eq_u32_e32 vcc, 0, v7
	v_cndmask_b32_e32 v8, v8, v4, vcc
	v_cndmask_b32_e32 v30, v9, v5, vcc
	s_nop 0
	v_mov_b32_dpp v8, v8 row_shr:2 row_mask:0xf bank_mask:0xf
	v_mov_b32_dpp v30, v30 row_shr:2 row_mask:0xf bank_mask:0xf
	v_cndmask_b32_e64 v7, 0, v8, s[8:9]
	v_cndmask_b32_e64 v8, 0, v30, s[8:9]
	v_add_co_u32_e64 v7, s[8:9], v7, v31
	v_addc_co_u32_e64 v8, s[8:9], v8, v9, s[8:9]
	v_cndmask_b32_e32 v5, v8, v5, vcc
	v_cndmask_b32_e32 v4, v7, v4, vcc
	ds_write_b64 v6, v[4:5]
.LBB132_43:
	s_or_b64 exec, exec, s[10:11]
	v_cmp_gt_u32_e32 vcc, 64, v0
	v_cmp_lt_u32_e64 s[8:9], 63, v0
	s_waitcnt lgkmcnt(0)
	s_barrier
	s_waitcnt lgkmcnt(0)
                                        ; implicit-def: $vgpr30_vgpr31
	s_and_saveexec_b64 s[10:11], s[8:9]
	s_cbranch_execz .LBB132_45
; %bb.44:
	v_lshl_add_u32 v1, v1, 3, -8
	ds_read_b64 v[30:31], v1
	s_waitcnt lgkmcnt(0)
	v_add_co_u32_e64 v2, s[8:9], v30, v2
	v_addc_co_u32_e64 v3, s[8:9], v31, v3, s[8:9]
.LBB132_45:
	s_or_b64 exec, exec, s[10:11]
	v_add_u32_e32 v1, -1, v21
	v_and_b32_e32 v4, 64, v21
	v_cmp_lt_i32_e64 s[8:9], v1, v4
	v_cndmask_b32_e64 v1, v1, v21, s[8:9]
	v_lshlrev_b32_e32 v4, 2, v1
	ds_bpermute_b32 v1, v4, v2
	ds_bpermute_b32 v38, v4, v3
	s_and_saveexec_b64 s[14:15], vcc
	s_cbranch_execz .LBB132_68
; %bb.46:
	v_mov_b32_e32 v5, 0
	ds_read_b64 v[2:3], v5 offset:24
	s_and_saveexec_b64 s[8:9], s[12:13]
	s_cbranch_execz .LBB132_48
; %bb.47:
	s_add_i32 s10, s6, 64
	s_mov_b32 s11, 0
	s_lshl_b64 s[10:11], s[10:11], 4
	s_add_u32 s10, s24, s10
	s_addc_u32 s11, s25, s11
	v_mov_b32_e32 v4, 1
	v_pk_mov_b32 v[6:7], s[10:11], s[10:11] op_sel:[0,1]
	s_waitcnt lgkmcnt(0)
	;;#ASMSTART
	global_store_dwordx4 v[6:7], v[2:5] off	
s_waitcnt vmcnt(0)
	;;#ASMEND
.LBB132_48:
	s_or_b64 exec, exec, s[8:9]
	v_xad_u32 v32, v21, -1, s6
	v_add_u32_e32 v4, 64, v32
	v_lshlrev_b64 v[6:7], 4, v[4:5]
	v_mov_b32_e32 v4, s25
	v_add_co_u32_e32 v34, vcc, s24, v6
	v_addc_co_u32_e32 v35, vcc, v4, v7, vcc
	;;#ASMSTART
	global_load_dwordx4 v[6:9], v[34:35] off glc	
s_waitcnt vmcnt(0)
	;;#ASMEND
	v_and_b32_e32 v4, 0xff, v7
	v_and_b32_e32 v9, 0xff00, v7
	v_or3_b32 v4, 0, v4, v9
	v_or3_b32 v6, v6, 0, 0
	v_and_b32_e32 v9, 0xff000000, v7
	v_and_b32_e32 v7, 0xff0000, v7
	v_or3_b32 v7, v4, v7, v9
	v_or3_b32 v6, v6, 0, 0
	v_cmp_eq_u16_sdwa s[10:11], v8, v5 src0_sel:BYTE_0 src1_sel:DWORD
	s_and_saveexec_b64 s[8:9], s[10:11]
	s_cbranch_execz .LBB132_54
; %bb.49:
	s_mov_b32 s7, 1
	s_mov_b64 s[10:11], 0
	v_mov_b32_e32 v4, 0
.LBB132_50:                             ; =>This Loop Header: Depth=1
                                        ;     Child Loop BB132_51 Depth 2
	s_max_u32 s26, s7, 1
.LBB132_51:                             ;   Parent Loop BB132_50 Depth=1
                                        ; =>  This Inner Loop Header: Depth=2
	s_add_i32 s26, s26, -1
	s_cmp_eq_u32 s26, 0
	s_sleep 1
	s_cbranch_scc0 .LBB132_51
; %bb.52:                               ;   in Loop: Header=BB132_50 Depth=1
	s_cmp_lt_u32 s7, 32
	s_cselect_b64 s[26:27], -1, 0
	s_cmp_lg_u64 s[26:27], 0
	s_addc_u32 s7, s7, 0
	;;#ASMSTART
	global_load_dwordx4 v[6:9], v[34:35] off glc	
s_waitcnt vmcnt(0)
	;;#ASMEND
	v_cmp_ne_u16_sdwa s[26:27], v8, v4 src0_sel:BYTE_0 src1_sel:DWORD
	s_or_b64 s[10:11], s[26:27], s[10:11]
	s_andn2_b64 exec, exec, s[10:11]
	s_cbranch_execnz .LBB132_50
; %bb.53:
	s_or_b64 exec, exec, s[10:11]
.LBB132_54:
	s_or_b64 exec, exec, s[8:9]
	v_and_b32_e32 v40, 63, v21
	v_mov_b32_e32 v39, 2
	v_cmp_ne_u32_e32 vcc, 63, v40
	v_cmp_eq_u16_sdwa s[8:9], v8, v39 src0_sel:BYTE_0 src1_sel:DWORD
	v_lshlrev_b64 v[34:35], v21, -1
	v_addc_co_u32_e32 v9, vcc, 0, v21, vcc
	v_and_b32_e32 v4, s9, v35
	v_lshlrev_b32_e32 v41, 2, v9
	v_or_b32_e32 v4, 0x80000000, v4
	ds_bpermute_b32 v9, v41, v6
	v_and_b32_e32 v5, s8, v34
	v_ffbl_b32_e32 v4, v4
	v_add_u32_e32 v4, 32, v4
	v_ffbl_b32_e32 v5, v5
	v_min_u32_e32 v4, v5, v4
	ds_bpermute_b32 v5, v41, v7
	s_waitcnt lgkmcnt(1)
	v_add_co_u32_e32 v9, vcc, v6, v9
	v_addc_co_u32_e32 v36, vcc, 0, v7, vcc
	v_add_co_u32_e32 v37, vcc, 0, v9
	v_cmp_gt_u32_e64 s[8:9], 62, v40
	s_waitcnt lgkmcnt(0)
	v_addc_co_u32_e32 v5, vcc, v5, v36, vcc
	v_cndmask_b32_e64 v36, 0, 1, s[8:9]
	v_cmp_lt_u32_e32 vcc, v40, v4
	v_lshlrev_b32_e32 v36, 1, v36
	v_cndmask_b32_e32 v9, v6, v9, vcc
	v_add_lshl_u32 v42, v36, v21, 2
	v_cndmask_b32_e32 v5, v7, v5, vcc
	ds_bpermute_b32 v36, v42, v9
	ds_bpermute_b32 v44, v42, v5
	v_cndmask_b32_e32 v37, v6, v37, vcc
	v_add_u32_e32 v43, 2, v40
	v_cmp_gt_u32_e64 s[10:11], 60, v40
	s_waitcnt lgkmcnt(1)
	v_add_co_u32_e64 v36, s[8:9], v36, v37
	s_waitcnt lgkmcnt(0)
	v_addc_co_u32_e64 v44, s[8:9], v44, v5, s[8:9]
	v_cmp_gt_u32_e64 s[8:9], v43, v4
	v_cndmask_b32_e64 v5, v44, v5, s[8:9]
	v_cndmask_b32_e64 v44, 0, 1, s[10:11]
	v_lshlrev_b32_e32 v44, 2, v44
	v_cndmask_b32_e64 v9, v36, v9, s[8:9]
	v_add_lshl_u32 v44, v44, v21, 2
	ds_bpermute_b32 v46, v44, v9
	v_cndmask_b32_e64 v36, v36, v37, s[8:9]
	ds_bpermute_b32 v37, v44, v5
	v_add_u32_e32 v45, 4, v40
	v_cmp_gt_u32_e64 s[10:11], 56, v40
	s_waitcnt lgkmcnt(1)
	v_add_co_u32_e64 v47, s[8:9], v46, v36
	s_waitcnt lgkmcnt(0)
	v_addc_co_u32_e64 v37, s[8:9], v37, v5, s[8:9]
	v_cmp_gt_u32_e64 s[8:9], v45, v4
	v_cndmask_b32_e64 v5, v37, v5, s[8:9]
	v_cndmask_b32_e64 v37, 0, 1, s[10:11]
	v_lshlrev_b32_e32 v37, 3, v37
	v_cndmask_b32_e64 v9, v47, v9, s[8:9]
	v_add_lshl_u32 v46, v37, v21, 2
	ds_bpermute_b32 v37, v46, v9
	ds_bpermute_b32 v48, v46, v5
	v_cndmask_b32_e64 v36, v47, v36, s[8:9]
	v_add_u32_e32 v47, 8, v40
	v_cmp_gt_u32_e64 s[10:11], 48, v40
	s_waitcnt lgkmcnt(1)
	v_add_co_u32_e64 v37, s[8:9], v37, v36
	s_waitcnt lgkmcnt(0)
	v_addc_co_u32_e64 v48, s[8:9], v48, v5, s[8:9]
	v_cmp_gt_u32_e64 s[8:9], v47, v4
	v_cndmask_b32_e64 v5, v48, v5, s[8:9]
	v_cndmask_b32_e64 v48, 0, 1, s[10:11]
	v_lshlrev_b32_e32 v48, 4, v48
	v_cndmask_b32_e64 v9, v37, v9, s[8:9]
	v_add_lshl_u32 v48, v48, v21, 2
	ds_bpermute_b32 v50, v48, v9
	v_cndmask_b32_e64 v36, v37, v36, s[8:9]
	ds_bpermute_b32 v37, v48, v5
	v_cmp_gt_u32_e64 s[10:11], 32, v40
	v_add_u32_e32 v49, 16, v40
	s_waitcnt lgkmcnt(1)
	v_add_co_u32_e64 v52, s[8:9], v50, v36
	s_waitcnt lgkmcnt(0)
	v_addc_co_u32_e64 v37, s[8:9], v37, v5, s[8:9]
	v_cndmask_b32_e64 v50, 0, 1, s[10:11]
	v_cmp_gt_u32_e64 s[8:9], v49, v4
	v_lshlrev_b32_e32 v50, 5, v50
	v_cndmask_b32_e64 v9, v52, v9, s[8:9]
	v_add_lshl_u32 v50, v50, v21, 2
	v_cndmask_b32_e64 v5, v37, v5, s[8:9]
	ds_bpermute_b32 v9, v50, v9
	ds_bpermute_b32 v37, v50, v5
	v_add_u32_e32 v51, 32, v40
	v_cndmask_b32_e64 v36, v52, v36, s[8:9]
	v_cmp_le_u32_e64 s[8:9], v51, v4
	s_waitcnt lgkmcnt(1)
	v_cndmask_b32_e64 v9, 0, v9, s[8:9]
	s_waitcnt lgkmcnt(0)
	v_cndmask_b32_e64 v4, 0, v37, s[8:9]
	v_add_co_u32_e64 v9, s[8:9], v9, v36
	v_addc_co_u32_e64 v4, s[8:9], v4, v5, s[8:9]
	v_mov_b32_e32 v33, 0
	v_cndmask_b32_e32 v7, v7, v4, vcc
	v_cndmask_b32_e32 v6, v6, v9, vcc
	s_branch .LBB132_56
.LBB132_55:                             ;   in Loop: Header=BB132_56 Depth=1
	s_or_b64 exec, exec, s[8:9]
	v_cmp_eq_u16_sdwa s[8:9], v8, v39 src0_sel:BYTE_0 src1_sel:DWORD
	v_and_b32_e32 v9, s9, v35
	v_or_b32_e32 v9, 0x80000000, v9
	ds_bpermute_b32 v37, v41, v6
	v_and_b32_e32 v36, s8, v34
	v_ffbl_b32_e32 v9, v9
	v_add_u32_e32 v9, 32, v9
	v_ffbl_b32_e32 v36, v36
	v_min_u32_e32 v9, v36, v9
	ds_bpermute_b32 v36, v41, v7
	s_waitcnt lgkmcnt(1)
	v_add_co_u32_e32 v37, vcc, v6, v37
	v_addc_co_u32_e32 v52, vcc, 0, v7, vcc
	v_add_co_u32_e32 v53, vcc, 0, v37
	s_waitcnt lgkmcnt(0)
	v_addc_co_u32_e32 v36, vcc, v36, v52, vcc
	v_cmp_lt_u32_e32 vcc, v40, v9
	v_cndmask_b32_e32 v37, v6, v37, vcc
	ds_bpermute_b32 v52, v42, v37
	v_cndmask_b32_e32 v36, v7, v36, vcc
	ds_bpermute_b32 v54, v42, v36
	v_cndmask_b32_e32 v53, v6, v53, vcc
	v_subrev_u32_e32 v32, 64, v32
	s_waitcnt lgkmcnt(1)
	v_add_co_u32_e64 v52, s[8:9], v52, v53
	s_waitcnt lgkmcnt(0)
	v_addc_co_u32_e64 v54, s[8:9], v54, v36, s[8:9]
	v_cmp_gt_u32_e64 s[8:9], v43, v9
	v_cndmask_b32_e64 v37, v52, v37, s[8:9]
	ds_bpermute_b32 v55, v44, v37
	v_cndmask_b32_e64 v36, v54, v36, s[8:9]
	ds_bpermute_b32 v54, v44, v36
	v_cndmask_b32_e64 v52, v52, v53, s[8:9]
	s_waitcnt lgkmcnt(1)
	v_add_co_u32_e64 v53, s[8:9], v55, v52
	s_waitcnt lgkmcnt(0)
	v_addc_co_u32_e64 v54, s[8:9], v54, v36, s[8:9]
	v_cmp_gt_u32_e64 s[8:9], v45, v9
	v_cndmask_b32_e64 v37, v53, v37, s[8:9]
	ds_bpermute_b32 v55, v46, v37
	v_cndmask_b32_e64 v36, v54, v36, s[8:9]
	ds_bpermute_b32 v54, v46, v36
	v_cndmask_b32_e64 v52, v53, v52, s[8:9]
	;; [unrolled: 10-line block ×3, first 2 shown]
	s_waitcnt lgkmcnt(1)
	v_add_co_u32_e64 v53, s[8:9], v55, v52
	s_waitcnt lgkmcnt(0)
	v_addc_co_u32_e64 v54, s[8:9], v54, v36, s[8:9]
	v_cmp_gt_u32_e64 s[8:9], v49, v9
	v_cndmask_b32_e64 v37, v53, v37, s[8:9]
	v_cndmask_b32_e64 v36, v54, v36, s[8:9]
	ds_bpermute_b32 v37, v50, v37
	ds_bpermute_b32 v54, v50, v36
	v_cndmask_b32_e64 v52, v53, v52, s[8:9]
	v_cmp_le_u32_e64 s[8:9], v51, v9
	s_waitcnt lgkmcnt(1)
	v_cndmask_b32_e64 v37, 0, v37, s[8:9]
	s_waitcnt lgkmcnt(0)
	v_cndmask_b32_e64 v9, 0, v54, s[8:9]
	v_add_co_u32_e64 v37, s[8:9], v37, v52
	v_addc_co_u32_e64 v9, s[8:9], v9, v36, s[8:9]
	v_cndmask_b32_e32 v6, v6, v37, vcc
	v_cndmask_b32_e32 v7, v7, v9, vcc
	v_add_co_u32_e32 v6, vcc, v6, v4
	v_addc_co_u32_e32 v7, vcc, v7, v5, vcc
.LBB132_56:                             ; =>This Loop Header: Depth=1
                                        ;     Child Loop BB132_59 Depth 2
                                        ;       Child Loop BB132_60 Depth 3
	v_cmp_ne_u16_sdwa s[8:9], v8, v39 src0_sel:BYTE_0 src1_sel:DWORD
	v_cndmask_b32_e64 v4, 0, 1, s[8:9]
	;;#ASMSTART
	;;#ASMEND
	v_cmp_ne_u32_e32 vcc, 0, v4
	s_cmp_lg_u64 vcc, exec
	v_pk_mov_b32 v[4:5], v[6:7], v[6:7] op_sel:[0,1]
	s_cbranch_scc1 .LBB132_63
; %bb.57:                               ;   in Loop: Header=BB132_56 Depth=1
	v_lshlrev_b64 v[6:7], 4, v[32:33]
	v_mov_b32_e32 v8, s25
	v_add_co_u32_e32 v36, vcc, s24, v6
	v_addc_co_u32_e32 v37, vcc, v8, v7, vcc
	;;#ASMSTART
	global_load_dwordx4 v[6:9], v[36:37] off glc	
s_waitcnt vmcnt(0)
	;;#ASMEND
	v_and_b32_e32 v9, 0xff, v7
	v_and_b32_e32 v52, 0xff00, v7
	v_or3_b32 v9, 0, v9, v52
	v_or3_b32 v6, v6, 0, 0
	v_and_b32_e32 v52, 0xff000000, v7
	v_and_b32_e32 v7, 0xff0000, v7
	v_or3_b32 v7, v9, v7, v52
	v_or3_b32 v6, v6, 0, 0
	v_cmp_eq_u16_sdwa s[10:11], v8, v33 src0_sel:BYTE_0 src1_sel:DWORD
	s_and_saveexec_b64 s[8:9], s[10:11]
	s_cbranch_execz .LBB132_55
; %bb.58:                               ;   in Loop: Header=BB132_56 Depth=1
	s_mov_b32 s7, 1
	s_mov_b64 s[10:11], 0
.LBB132_59:                             ;   Parent Loop BB132_56 Depth=1
                                        ; =>  This Loop Header: Depth=2
                                        ;       Child Loop BB132_60 Depth 3
	s_max_u32 s26, s7, 1
.LBB132_60:                             ;   Parent Loop BB132_56 Depth=1
                                        ;     Parent Loop BB132_59 Depth=2
                                        ; =>    This Inner Loop Header: Depth=3
	s_add_i32 s26, s26, -1
	s_cmp_eq_u32 s26, 0
	s_sleep 1
	s_cbranch_scc0 .LBB132_60
; %bb.61:                               ;   in Loop: Header=BB132_59 Depth=2
	s_cmp_lt_u32 s7, 32
	s_cselect_b64 s[26:27], -1, 0
	s_cmp_lg_u64 s[26:27], 0
	s_addc_u32 s7, s7, 0
	;;#ASMSTART
	global_load_dwordx4 v[6:9], v[36:37] off glc	
s_waitcnt vmcnt(0)
	;;#ASMEND
	v_cmp_ne_u16_sdwa s[26:27], v8, v33 src0_sel:BYTE_0 src1_sel:DWORD
	s_or_b64 s[10:11], s[26:27], s[10:11]
	s_andn2_b64 exec, exec, s[10:11]
	s_cbranch_execnz .LBB132_59
; %bb.62:                               ;   in Loop: Header=BB132_56 Depth=1
	s_or_b64 exec, exec, s[10:11]
	s_branch .LBB132_55
.LBB132_63:                             ;   in Loop: Header=BB132_56 Depth=1
                                        ; implicit-def: $vgpr6_vgpr7
                                        ; implicit-def: $vgpr8
	s_cbranch_execz .LBB132_56
; %bb.64:
	s_and_saveexec_b64 s[8:9], s[12:13]
	s_cbranch_execz .LBB132_66
; %bb.65:
	s_add_i32 s6, s6, 64
	s_mov_b32 s7, 0
	s_lshl_b64 s[6:7], s[6:7], 4
	s_add_u32 s6, s24, s6
	v_add_co_u32_e32 v6, vcc, v4, v2
	s_addc_u32 s7, s25, s7
	v_addc_co_u32_e32 v7, vcc, v5, v3, vcc
	v_mov_b32_e32 v8, 2
	v_mov_b32_e32 v9, 0
	v_pk_mov_b32 v[32:33], s[6:7], s[6:7] op_sel:[0,1]
	;;#ASMSTART
	global_store_dwordx4 v[32:33], v[6:9] off	
s_waitcnt vmcnt(0)
	;;#ASMEND
	ds_write_b128 v9, v[2:5] offset:7168
.LBB132_66:
	s_or_b64 exec, exec, s[8:9]
	v_cmp_eq_u32_e32 vcc, 0, v0
	s_and_b64 exec, exec, vcc
	s_cbranch_execz .LBB132_68
; %bb.67:
	v_mov_b32_e32 v2, 0
	ds_write_b64 v2, v[4:5] offset:24
.LBB132_68:
	s_or_b64 exec, exec, s[14:15]
	v_mov_b32_e32 v5, 0
	s_waitcnt lgkmcnt(0)
	s_barrier
	ds_read_b64 v[2:3], v5 offset:24
	v_cndmask_b32_e64 v1, v1, v30, s[12:13]
	v_cmp_ne_u32_e32 vcc, 0, v0
	v_cndmask_b32_e64 v4, v38, v31, s[12:13]
	v_cndmask_b32_e32 v1, 0, v1, vcc
	v_cndmask_b32_e32 v4, 0, v4, vcc
	s_waitcnt lgkmcnt(0)
	v_add_co_u32_e32 v38, vcc, v2, v1
	v_addc_co_u32_e32 v39, vcc, v3, v4, vcc
	v_add_co_u32_e32 v36, vcc, v38, v26
	v_addc_co_u32_e32 v37, vcc, 0, v39, vcc
	;; [unrolled: 2-line block ×4, first 2 shown]
	v_add_co_u32_e32 v30, vcc, v32, v20
	s_barrier
	ds_read_b128 v[4:7], v5 offset:7168
	v_addc_co_u32_e32 v31, vcc, 0, v33, vcc
	v_add_co_u32_e32 v2, vcc, v30, v18
	v_addc_co_u32_e32 v3, vcc, 0, v31, vcc
	v_add_co_u32_e32 v8, vcc, v2, v16
	v_addc_co_u32_e32 v9, vcc, 0, v3, vcc
	s_waitcnt lgkmcnt(0)
	v_readfirstlane_b32 s9, v7
	v_readfirstlane_b32 s8, v6
	s_load_dwordx2 s[6:7], s[4:5], 0x30
	s_branch .LBB132_81
.LBB132_69:
                                        ; implicit-def: $sgpr8_sgpr9
                                        ; implicit-def: $vgpr4_vgpr5
                                        ; implicit-def: $vgpr8_vgpr9
                                        ; implicit-def: $vgpr2_vgpr3
                                        ; implicit-def: $vgpr30_vgpr31
                                        ; implicit-def: $vgpr32_vgpr33
                                        ; implicit-def: $vgpr34_vgpr35
                                        ; implicit-def: $vgpr36_vgpr37
                                        ; implicit-def: $vgpr38_vgpr39
	s_load_dwordx2 s[6:7], s[4:5], 0x30
	s_cbranch_execz .LBB132_81
; %bb.70:
	v_mov_b32_dpp v1, v28 row_shr:1 row_mask:0xf bank_mask:0xf
	v_add_co_u32_e32 v1, vcc, v28, v1
	v_mov_b32_e32 v2, 0
	v_addc_co_u32_e32 v3, vcc, 0, v29, vcc
	s_nop 0
	v_mov_b32_dpp v2, v2 row_shr:1 row_mask:0xf bank_mask:0xf
	v_add_co_u32_e32 v4, vcc, 0, v1
	v_addc_co_u32_e32 v2, vcc, v2, v3, vcc
	v_cndmask_b32_e64 v1, v1, v28, s[2:3]
	v_cndmask_b32_e64 v3, v2, 0, s[2:3]
	;; [unrolled: 1-line block ×3, first 2 shown]
	v_mov_b32_dpp v5, v1 row_shr:2 row_mask:0xf bank_mask:0xf
	v_cndmask_b32_e64 v2, v2, v29, s[2:3]
	v_mov_b32_dpp v6, v3 row_shr:2 row_mask:0xf bank_mask:0xf
	v_add_co_u32_e32 v5, vcc, v5, v4
	v_addc_co_u32_e32 v6, vcc, v6, v2, vcc
	v_cndmask_b32_e64 v1, v1, v5, s[0:1]
	v_cndmask_b32_e64 v3, v3, v6, s[0:1]
	;; [unrolled: 1-line block ×3, first 2 shown]
	v_mov_b32_dpp v5, v1 row_shr:4 row_mask:0xf bank_mask:0xf
	v_cndmask_b32_e64 v2, v2, v6, s[0:1]
	v_mov_b32_dpp v6, v3 row_shr:4 row_mask:0xf bank_mask:0xf
	v_add_co_u32_e32 v5, vcc, v5, v4
	v_addc_co_u32_e32 v6, vcc, v6, v2, vcc
	v_cmp_lt_u32_e32 vcc, 3, v27
	v_cndmask_b32_e32 v1, v1, v5, vcc
	v_cndmask_b32_e32 v3, v3, v6, vcc
	;; [unrolled: 1-line block ×3, first 2 shown]
	v_mov_b32_dpp v5, v1 row_shr:8 row_mask:0xf bank_mask:0xf
	v_cndmask_b32_e32 v2, v2, v6, vcc
	v_mov_b32_dpp v6, v3 row_shr:8 row_mask:0xf bank_mask:0xf
	v_add_co_u32_e32 v5, vcc, v5, v4
	v_addc_co_u32_e32 v6, vcc, v6, v2, vcc
	v_cmp_lt_u32_e32 vcc, 7, v27
	v_cndmask_b32_e32 v8, v1, v5, vcc
	v_cndmask_b32_e32 v7, v3, v6, vcc
	;; [unrolled: 1-line block ×4, first 2 shown]
	v_mov_b32_dpp v3, v8 row_bcast:15 row_mask:0xf bank_mask:0xf
	v_mov_b32_dpp v4, v7 row_bcast:15 row_mask:0xf bank_mask:0xf
	v_add_co_u32_e32 v3, vcc, v3, v2
	v_addc_co_u32_e32 v5, vcc, v4, v1, vcc
	v_cmp_eq_u32_e64 s[0:1], 0, v25
	v_cndmask_b32_e64 v6, v5, v7, s[0:1]
	v_cndmask_b32_e64 v4, v3, v8, s[0:1]
	v_cmp_eq_u32_e32 vcc, 0, v21
	v_mov_b32_dpp v6, v6 row_bcast:31 row_mask:0xf bank_mask:0xf
	v_mov_b32_dpp v4, v4 row_bcast:31 row_mask:0xf bank_mask:0xf
	v_cmp_ne_u32_e64 s[2:3], 0, v21
	s_and_saveexec_b64 s[4:5], s[2:3]
; %bb.71:
	v_cndmask_b32_e64 v1, v5, v1, s[0:1]
	v_cndmask_b32_e64 v2, v3, v2, s[0:1]
	v_cmp_lt_u32_e64 s[0:1], 31, v21
	v_cndmask_b32_e64 v4, 0, v4, s[0:1]
	v_cndmask_b32_e64 v3, 0, v6, s[0:1]
	v_add_co_u32_e64 v28, s[0:1], v4, v2
	v_addc_co_u32_e64 v29, s[0:1], v3, v1, s[0:1]
; %bb.72:
	s_or_b64 exec, exec, s[4:5]
	v_or_b32_e32 v2, 63, v0
	v_lshrrev_b32_e32 v1, 6, v0
	v_cmp_eq_u32_e64 s[0:1], v2, v0
	s_and_saveexec_b64 s[2:3], s[0:1]
	s_cbranch_execz .LBB132_74
; %bb.73:
	v_lshlrev_b32_e32 v2, 3, v1
	ds_write_b64 v2, v[28:29]
.LBB132_74:
	s_or_b64 exec, exec, s[2:3]
	v_cmp_gt_u32_e64 s[0:1], 4, v0
	s_waitcnt lgkmcnt(0)
	s_barrier
	s_and_saveexec_b64 s[4:5], s[0:1]
	s_cbranch_execz .LBB132_76
; %bb.75:
	v_add_u32_e32 v4, v23, v0
	ds_read_b64 v[2:3], v4
	v_and_b32_e32 v5, 3, v21
	v_cmp_ne_u32_e64 s[2:3], 1, v5
	s_waitcnt lgkmcnt(0)
	v_mov_b32_dpp v6, v2 row_shr:1 row_mask:0xf bank_mask:0xf
	v_add_co_u32_e64 v6, s[0:1], v2, v6
	v_addc_co_u32_e64 v8, s[0:1], 0, v3, s[0:1]
	v_mov_b32_dpp v7, v3 row_shr:1 row_mask:0xf bank_mask:0xf
	v_add_co_u32_e64 v9, s[0:1], 0, v6
	v_addc_co_u32_e64 v7, s[0:1], v7, v8, s[0:1]
	v_cmp_eq_u32_e64 s[0:1], 0, v5
	v_cndmask_b32_e64 v6, v6, v2, s[0:1]
	v_cndmask_b32_e64 v8, v7, v3, s[0:1]
	s_nop 0
	v_mov_b32_dpp v6, v6 row_shr:2 row_mask:0xf bank_mask:0xf
	v_mov_b32_dpp v8, v8 row_shr:2 row_mask:0xf bank_mask:0xf
	v_cndmask_b32_e64 v5, 0, v6, s[2:3]
	v_cndmask_b32_e64 v6, 0, v8, s[2:3]
	v_add_co_u32_e64 v5, s[2:3], v5, v9
	v_addc_co_u32_e64 v6, s[2:3], v6, v7, s[2:3]
	v_cndmask_b32_e64 v3, v6, v3, s[0:1]
	v_cndmask_b32_e64 v2, v5, v2, s[0:1]
	ds_write_b64 v4, v[2:3]
.LBB132_76:
	s_or_b64 exec, exec, s[4:5]
	v_cmp_lt_u32_e64 s[0:1], 63, v0
	v_pk_mov_b32 v[2:3], 0, 0
	s_waitcnt lgkmcnt(0)
	s_barrier
	s_and_saveexec_b64 s[2:3], s[0:1]
	s_cbranch_execz .LBB132_78
; %bb.77:
	v_lshl_add_u32 v1, v1, 3, -8
	ds_read_b64 v[2:3], v1
.LBB132_78:
	s_or_b64 exec, exec, s[2:3]
	s_waitcnt lgkmcnt(0)
	v_add_co_u32_e64 v1, s[0:1], v2, v28
	v_addc_co_u32_e64 v4, s[0:1], v3, v29, s[0:1]
	v_add_u32_e32 v5, -1, v21
	v_and_b32_e32 v6, 64, v21
	v_cmp_lt_i32_e64 s[0:1], v5, v6
	v_cndmask_b32_e64 v5, v5, v21, s[0:1]
	v_lshlrev_b32_e32 v5, 2, v5
	v_mov_b32_e32 v7, 0
	ds_bpermute_b32 v1, v5, v1
	ds_bpermute_b32 v8, v5, v4
	ds_read_b64 v[4:5], v7 offset:24
	v_cmp_eq_u32_e64 s[0:1], 0, v0
	s_and_saveexec_b64 s[2:3], s[0:1]
	s_cbranch_execz .LBB132_80
; %bb.79:
	s_add_u32 s4, s24, 0x400
	s_addc_u32 s5, s25, 0
	v_mov_b32_e32 v6, 2
	v_pk_mov_b32 v[28:29], s[4:5], s[4:5] op_sel:[0,1]
	s_waitcnt lgkmcnt(0)
	;;#ASMSTART
	global_store_dwordx4 v[28:29], v[4:7] off	
s_waitcnt vmcnt(0)
	;;#ASMEND
.LBB132_80:
	s_or_b64 exec, exec, s[2:3]
	s_waitcnt lgkmcnt(2)
	v_cndmask_b32_e32 v1, v1, v2, vcc
	s_waitcnt lgkmcnt(1)
	v_cndmask_b32_e32 v2, v8, v3, vcc
	v_cndmask_b32_e64 v38, v1, 0, s[0:1]
	v_cndmask_b32_e64 v39, v2, 0, s[0:1]
	v_add_co_u32_e32 v36, vcc, v38, v26
	v_addc_co_u32_e32 v37, vcc, 0, v39, vcc
	v_add_co_u32_e32 v34, vcc, v36, v24
	v_addc_co_u32_e32 v35, vcc, 0, v37, vcc
	v_add_co_u32_e32 v32, vcc, v34, v22
	v_addc_co_u32_e32 v33, vcc, 0, v35, vcc
	v_add_co_u32_e32 v30, vcc, v32, v20
	v_addc_co_u32_e32 v31, vcc, 0, v33, vcc
	v_add_co_u32_e32 v2, vcc, v30, v18
	v_addc_co_u32_e32 v3, vcc, 0, v31, vcc
	v_add_co_u32_e32 v8, vcc, v2, v16
	v_addc_co_u32_e32 v9, vcc, 0, v3, vcc
	s_waitcnt lgkmcnt(0)
	s_barrier
	s_mov_b64 s[8:9], 0
.LBB132_81:
	s_mov_b64 s[0:1], 0x101
	v_cmp_gt_u64_e32 vcc, s[0:1], v[4:5]
	s_mov_b64 s[0:1], -1
	s_cbranch_vccnz .LBB132_85
; %bb.82:
	s_and_b64 vcc, exec, s[0:1]
	s_cbranch_vccnz .LBB132_107
.LBB132_83:
	v_cmp_eq_u32_e32 vcc, 0, v0
	s_and_b64 s[0:1], vcc, s[20:21]
	s_and_saveexec_b64 s[2:3], s[0:1]
	s_cbranch_execnz .LBB132_126
.LBB132_84:
	s_endpgm
.LBB132_85:
	v_mov_b32_e32 v1, s9
	v_add_co_u32_e32 v6, vcc, s8, v4
	v_addc_co_u32_e32 v7, vcc, v1, v5, vcc
	s_lshl_b64 s[0:1], s[18:19], 2
	s_waitcnt lgkmcnt(0)
	s_add_u32 s2, s6, s0
	v_cmp_lt_u64_e32 vcc, v[38:39], v[6:7]
	s_addc_u32 s3, s7, s1
	s_or_b64 s[4:5], s[22:23], vcc
	s_and_saveexec_b64 s[0:1], s[4:5]
	s_cbranch_execz .LBB132_88
; %bb.86:
	v_cmp_eq_u32_e32 vcc, 1, v26
	s_and_b64 exec, exec, vcc
	s_cbranch_execz .LBB132_88
; %bb.87:
	v_lshlrev_b64 v[28:29], 2, v[38:39]
	v_mov_b32_e32 v1, s3
	v_add_co_u32_e32 v28, vcc, s2, v28
	v_addc_co_u32_e32 v29, vcc, v1, v29, vcc
	global_store_dword v[28:29], v14, off
.LBB132_88:
	s_or_b64 exec, exec, s[0:1]
	v_cmp_lt_u64_e32 vcc, v[36:37], v[6:7]
	s_or_b64 s[4:5], s[22:23], vcc
	s_and_saveexec_b64 s[0:1], s[4:5]
	s_cbranch_execz .LBB132_91
; %bb.89:
	v_cmp_eq_u32_e32 vcc, 1, v24
	s_and_b64 exec, exec, vcc
	s_cbranch_execz .LBB132_91
; %bb.90:
	v_lshlrev_b64 v[28:29], 2, v[36:37]
	v_mov_b32_e32 v1, s3
	v_add_co_u32_e32 v28, vcc, s2, v28
	v_addc_co_u32_e32 v29, vcc, v1, v29, vcc
	global_store_dword v[28:29], v15, off
.LBB132_91:
	s_or_b64 exec, exec, s[0:1]
	v_cmp_lt_u64_e32 vcc, v[34:35], v[6:7]
	;; [unrolled: 16-line block ×6, first 2 shown]
	s_or_b64 s[4:5], s[22:23], vcc
	s_and_saveexec_b64 s[0:1], s[4:5]
	s_cbranch_execz .LBB132_106
; %bb.104:
	v_cmp_eq_u32_e32 vcc, 1, v19
	s_and_b64 exec, exec, vcc
	s_cbranch_execz .LBB132_106
; %bb.105:
	v_lshlrev_b64 v[6:7], 2, v[8:9]
	v_mov_b32_e32 v1, s3
	v_add_co_u32_e32 v6, vcc, s2, v6
	v_addc_co_u32_e32 v7, vcc, v1, v7, vcc
	global_store_dword v[6:7], v17, off
.LBB132_106:
	s_or_b64 exec, exec, s[0:1]
	s_branch .LBB132_83
.LBB132_107:
	v_cmp_eq_u32_e32 vcc, 1, v26
	s_and_saveexec_b64 s[0:1], vcc
	s_cbranch_execnz .LBB132_127
; %bb.108:
	s_or_b64 exec, exec, s[0:1]
	v_cmp_eq_u32_e32 vcc, 1, v24
	s_and_saveexec_b64 s[0:1], vcc
	s_cbranch_execnz .LBB132_128
.LBB132_109:
	s_or_b64 exec, exec, s[0:1]
	v_cmp_eq_u32_e32 vcc, 1, v22
	s_and_saveexec_b64 s[0:1], vcc
	s_cbranch_execnz .LBB132_129
.LBB132_110:
	s_or_b64 exec, exec, s[0:1]
	v_cmp_eq_u32_e32 vcc, 1, v20
	s_and_saveexec_b64 s[0:1], vcc
	s_cbranch_execnz .LBB132_130
.LBB132_111:
	s_or_b64 exec, exec, s[0:1]
	v_cmp_eq_u32_e32 vcc, 1, v18
	s_and_saveexec_b64 s[0:1], vcc
	s_cbranch_execnz .LBB132_131
.LBB132_112:
	s_or_b64 exec, exec, s[0:1]
	v_cmp_eq_u32_e32 vcc, 1, v16
	s_and_saveexec_b64 s[0:1], vcc
	s_cbranch_execnz .LBB132_132
.LBB132_113:
	s_or_b64 exec, exec, s[0:1]
	v_cmp_eq_u32_e32 vcc, 1, v19
	s_and_saveexec_b64 s[0:1], vcc
	s_cbranch_execz .LBB132_115
.LBB132_114:
	v_subrev_u32_e32 v1, s8, v8
	v_lshlrev_b32_e32 v1, 2, v1
	ds_write_b32 v1, v17
.LBB132_115:
	s_or_b64 exec, exec, s[0:1]
	v_mov_b32_e32 v1, 0
	v_cmp_gt_u64_e32 vcc, v[4:5], v[0:1]
	s_waitcnt lgkmcnt(0)
	s_barrier
	s_and_saveexec_b64 s[10:11], vcc
	s_cbranch_execz .LBB132_125
; %bb.116:
	v_not_b32_e32 v3, v0
	v_not_b32_e32 v2, 0
	v_add_co_u32_e32 v6, vcc, v4, v3
	v_addc_co_u32_e32 v7, vcc, v5, v2, vcc
	s_mov_b64 s[0:1], 0x2f00
	s_mov_b64 s[2:3], 0x2eff
	v_cmp_gt_u64_e64 s[0:1], s[0:1], v[6:7]
	v_cmp_lt_u64_e32 vcc, s[2:3], v[6:7]
	v_mov_b32_e32 v8, v0
	v_pk_mov_b32 v[2:3], v[0:1], v[0:1] op_sel:[0,1]
	s_and_saveexec_b64 s[12:13], vcc
	s_cbranch_execz .LBB132_122
; %bb.117:
	v_alignbit_b32 v2, v7, v6, 8
	s_mov_b32 s2, 0xffffff
	s_mov_b32 s4, -1
	v_lshlrev_b32_e32 v3, 8, v2
	v_cmp_lt_u32_e32 vcc, s2, v2
	v_not_b32_e32 v2, v0
	s_movk_i32 s5, 0xff
	v_cmp_gt_u32_e64 s[2:3], v3, v2
	v_xor_b32_e32 v2, 0xfffffeff, v0
	v_cmp_lt_u64_e64 s[4:5], s[4:5], v[6:7]
	s_or_b64 s[14:15], s[2:3], vcc
	v_cmp_lt_u32_e64 s[2:3], v2, v3
	s_or_b64 s[4:5], vcc, s[4:5]
	s_or_b64 s[2:3], s[4:5], s[2:3]
	s_or_b64 s[4:5], s[14:15], s[2:3]
	s_mov_b64 s[2:3], -1
	s_xor_b64 s[14:15], s[4:5], -1
	v_mov_b32_e32 v8, v0
	v_pk_mov_b32 v[2:3], v[0:1], v[0:1] op_sel:[0,1]
	s_and_saveexec_b64 s[4:5], s[14:15]
	s_cbranch_execz .LBB132_121
; %bb.118:
	s_lshl_b64 s[2:3], s[8:9], 2
	s_lshl_b64 s[14:15], s[18:19], 2
	s_add_u32 s2, s2, s14
	v_lshrrev_b64 v[2:3], 8, v[6:7]
	s_addc_u32 s3, s3, s15
	v_add_co_u32_e32 v10, vcc, 1, v2
	s_add_u32 s2, s6, s2
	v_addc_co_u32_e32 v11, vcc, 0, v3, vcc
	v_lshlrev_b32_e32 v6, 2, v0
	s_addc_u32 s3, s7, s3
	v_mov_b32_e32 v7, s3
	v_add_co_u32_e32 v6, vcc, s2, v6
	v_addc_co_u32_e32 v7, vcc, 0, v7, vcc
	s_movk_i32 s2, 0x400
	v_or_b32_e32 v2, 0x100, v0
	v_mov_b32_e32 v3, v1
	v_add_co_u32_e32 v14, vcc, s2, v6
	v_and_b32_e32 v12, -2, v10
	v_mov_b32_e32 v13, v11
	v_addc_co_u32_e32 v15, vcc, 0, v7, vcc
	v_pk_mov_b32 v[8:9], v[2:3], v[2:3] op_sel:[0,1]
	s_mov_b64 s[14:15], 0
	v_pk_mov_b32 v[16:17], v[12:13], v[12:13] op_sel:[0,1]
	v_pk_mov_b32 v[6:7], v[0:1], v[0:1] op_sel:[0,1]
.LBB132_119:                            ; =>This Inner Loop Header: Depth=1
	v_lshlrev_b32_e32 v1, 2, v6
	v_lshlrev_b32_e32 v2, 2, v8
	ds_read_b32 v1, v1
	ds_read_b32 v2, v2
	v_add_co_u32_e32 v8, vcc, 0x200, v8
	v_addc_co_u32_e32 v9, vcc, 0, v9, vcc
	v_add_co_u32_e64 v16, s[2:3], -2, v16
	v_add_co_u32_e32 v6, vcc, 0x200, v6
	v_addc_co_u32_e64 v17, s[2:3], -1, v17, s[2:3]
	v_addc_co_u32_e32 v7, vcc, 0, v7, vcc
	v_cmp_eq_u64_e64 s[2:3], 0, v[16:17]
	s_waitcnt lgkmcnt(1)
	global_store_dword v[14:15], v1, off offset:-1024
	s_waitcnt lgkmcnt(0)
	global_store_dword v[14:15], v2, off
	v_add_co_u32_e32 v14, vcc, 0x800, v14
	s_or_b64 s[14:15], s[2:3], s[14:15]
	v_addc_co_u32_e32 v15, vcc, 0, v15, vcc
	s_andn2_b64 exec, exec, s[14:15]
	s_cbranch_execnz .LBB132_119
; %bb.120:
	s_or_b64 exec, exec, s[14:15]
	v_lshlrev_b64 v[2:3], 8, v[12:13]
	v_cmp_ne_u64_e32 vcc, v[10:11], v[12:13]
	v_or_b32_e32 v3, 0, v3
	v_or_b32_e32 v2, v2, v0
	v_lshl_or_b32 v8, v12, 8, v0
	s_orn2_b64 s[2:3], vcc, exec
.LBB132_121:
	s_or_b64 exec, exec, s[4:5]
	s_andn2_b64 s[0:1], s[0:1], exec
	s_and_b64 s[2:3], s[2:3], exec
	s_or_b64 s[0:1], s[0:1], s[2:3]
.LBB132_122:
	s_or_b64 exec, exec, s[12:13]
	s_and_b64 exec, exec, s[0:1]
	s_cbranch_execz .LBB132_125
; %bb.123:
	s_lshl_b64 s[0:1], s[8:9], 2
	s_add_u32 s2, s6, s0
	s_addc_u32 s3, s7, s1
	s_lshl_b64 s[0:1], s[18:19], 2
	s_add_u32 s4, s2, s0
	s_addc_u32 s0, s3, s1
	v_add_u32_e32 v6, 0x100, v8
	s_mov_b64 s[2:3], 0
	v_mov_b32_e32 v1, s0
	v_mov_b32_e32 v7, 0
.LBB132_124:                            ; =>This Inner Loop Header: Depth=1
	v_lshlrev_b32_e32 v10, 2, v2
	ds_read_b32 v10, v10
	v_lshlrev_b64 v[8:9], 2, v[2:3]
	v_cmp_le_u64_e32 vcc, v[4:5], v[6:7]
	v_add_co_u32_e64 v8, s[0:1], s4, v8
	v_pk_mov_b32 v[2:3], v[6:7], v[6:7] op_sel:[0,1]
	v_add_u32_e32 v6, 0x100, v6
	v_addc_co_u32_e64 v9, s[0:1], v1, v9, s[0:1]
	s_or_b64 s[2:3], vcc, s[2:3]
	s_waitcnt lgkmcnt(0)
	global_store_dword v[8:9], v10, off
	s_andn2_b64 exec, exec, s[2:3]
	s_cbranch_execnz .LBB132_124
.LBB132_125:
	s_or_b64 exec, exec, s[10:11]
	v_cmp_eq_u32_e32 vcc, 0, v0
	s_and_b64 s[0:1], vcc, s[20:21]
	s_and_saveexec_b64 s[2:3], s[0:1]
	s_cbranch_execz .LBB132_84
.LBB132_126:
	v_mov_b32_e32 v0, s9
	v_add_co_u32_e32 v1, vcc, s8, v4
	v_addc_co_u32_e32 v3, vcc, v0, v5, vcc
	v_mov_b32_e32 v4, s19
	v_add_co_u32_e32 v0, vcc, s18, v1
	v_mov_b32_e32 v2, 0
	v_addc_co_u32_e32 v1, vcc, v3, v4, vcc
	global_store_dwordx2 v2, v[0:1], s[16:17]
	s_endpgm
.LBB132_127:
	v_subrev_u32_e32 v1, s8, v38
	v_lshlrev_b32_e32 v1, 2, v1
	ds_write_b32 v1, v14
	s_or_b64 exec, exec, s[0:1]
	v_cmp_eq_u32_e32 vcc, 1, v24
	s_and_saveexec_b64 s[0:1], vcc
	s_cbranch_execz .LBB132_109
.LBB132_128:
	v_subrev_u32_e32 v1, s8, v36
	v_lshlrev_b32_e32 v1, 2, v1
	ds_write_b32 v1, v15
	s_or_b64 exec, exec, s[0:1]
	v_cmp_eq_u32_e32 vcc, 1, v22
	s_and_saveexec_b64 s[0:1], vcc
	s_cbranch_execz .LBB132_110
.LBB132_129:
	v_subrev_u32_e32 v1, s8, v34
	v_lshlrev_b32_e32 v1, 2, v1
	ds_write_b32 v1, v12
	s_or_b64 exec, exec, s[0:1]
	v_cmp_eq_u32_e32 vcc, 1, v20
	s_and_saveexec_b64 s[0:1], vcc
	s_cbranch_execz .LBB132_111
.LBB132_130:
	v_subrev_u32_e32 v1, s8, v32
	v_lshlrev_b32_e32 v1, 2, v1
	ds_write_b32 v1, v13
	s_or_b64 exec, exec, s[0:1]
	v_cmp_eq_u32_e32 vcc, 1, v18
	s_and_saveexec_b64 s[0:1], vcc
	s_cbranch_execz .LBB132_112
.LBB132_131:
	v_subrev_u32_e32 v1, s8, v30
	v_lshlrev_b32_e32 v1, 2, v1
	ds_write_b32 v1, v10
	s_or_b64 exec, exec, s[0:1]
	v_cmp_eq_u32_e32 vcc, 1, v16
	s_and_saveexec_b64 s[0:1], vcc
	s_cbranch_execz .LBB132_113
.LBB132_132:
	v_subrev_u32_e32 v1, s8, v2
	v_lshlrev_b32_e32 v1, 2, v1
	ds_write_b32 v1, v11
	s_or_b64 exec, exec, s[0:1]
	v_cmp_eq_u32_e32 vcc, 1, v19
	s_and_saveexec_b64 s[0:1], vcc
	s_cbranch_execnz .LBB132_114
	s_branch .LBB132_115
	.section	.rodata,"a",@progbits
	.p2align	6, 0x0
	.amdhsa_kernel _ZN7rocprim17ROCPRIM_400000_NS6detail17trampoline_kernelINS0_14default_configENS1_25partition_config_selectorILNS1_17partition_subalgoE5EiNS0_10empty_typeEbEEZZNS1_14partition_implILS5_5ELb0ES3_mPiPS6_N6thrust23THRUST_200600_302600_NS18transform_iteratorINSC_6detail9not_fun_tIN6dUtils8isNotOneIiEEEES9_NSC_11use_defaultESK_EENS0_5tupleIJS9_S6_EEENSM_IJSA_SA_EEES6_PlJS6_EEE10hipError_tPvRmT3_T4_T5_T6_T7_T9_mT8_P12ihipStream_tbDpT10_ENKUlT_T0_E_clISt17integral_constantIbLb1EES18_IbLb0EEEEDaS14_S15_EUlS14_E_NS1_11comp_targetILNS1_3genE4ELNS1_11target_archE910ELNS1_3gpuE8ELNS1_3repE0EEENS1_30default_config_static_selectorELNS0_4arch9wavefront6targetE1EEEvT1_
		.amdhsa_group_segment_fixed_size 7184
		.amdhsa_private_segment_fixed_size 0
		.amdhsa_kernarg_size 120
		.amdhsa_user_sgpr_count 6
		.amdhsa_user_sgpr_private_segment_buffer 1
		.amdhsa_user_sgpr_dispatch_ptr 0
		.amdhsa_user_sgpr_queue_ptr 0
		.amdhsa_user_sgpr_kernarg_segment_ptr 1
		.amdhsa_user_sgpr_dispatch_id 0
		.amdhsa_user_sgpr_flat_scratch_init 0
		.amdhsa_user_sgpr_kernarg_preload_length 0
		.amdhsa_user_sgpr_kernarg_preload_offset 0
		.amdhsa_user_sgpr_private_segment_size 0
		.amdhsa_uses_dynamic_stack 0
		.amdhsa_system_sgpr_private_segment_wavefront_offset 0
		.amdhsa_system_sgpr_workgroup_id_x 1
		.amdhsa_system_sgpr_workgroup_id_y 0
		.amdhsa_system_sgpr_workgroup_id_z 0
		.amdhsa_system_sgpr_workgroup_info 0
		.amdhsa_system_vgpr_workitem_id 0
		.amdhsa_next_free_vgpr 56
		.amdhsa_next_free_sgpr 28
		.amdhsa_accum_offset 56
		.amdhsa_reserve_vcc 1
		.amdhsa_reserve_flat_scratch 0
		.amdhsa_float_round_mode_32 0
		.amdhsa_float_round_mode_16_64 0
		.amdhsa_float_denorm_mode_32 3
		.amdhsa_float_denorm_mode_16_64 3
		.amdhsa_dx10_clamp 1
		.amdhsa_ieee_mode 1
		.amdhsa_fp16_overflow 0
		.amdhsa_tg_split 0
		.amdhsa_exception_fp_ieee_invalid_op 0
		.amdhsa_exception_fp_denorm_src 0
		.amdhsa_exception_fp_ieee_div_zero 0
		.amdhsa_exception_fp_ieee_overflow 0
		.amdhsa_exception_fp_ieee_underflow 0
		.amdhsa_exception_fp_ieee_inexact 0
		.amdhsa_exception_int_div_zero 0
	.end_amdhsa_kernel
	.section	.text._ZN7rocprim17ROCPRIM_400000_NS6detail17trampoline_kernelINS0_14default_configENS1_25partition_config_selectorILNS1_17partition_subalgoE5EiNS0_10empty_typeEbEEZZNS1_14partition_implILS5_5ELb0ES3_mPiPS6_N6thrust23THRUST_200600_302600_NS18transform_iteratorINSC_6detail9not_fun_tIN6dUtils8isNotOneIiEEEES9_NSC_11use_defaultESK_EENS0_5tupleIJS9_S6_EEENSM_IJSA_SA_EEES6_PlJS6_EEE10hipError_tPvRmT3_T4_T5_T6_T7_T9_mT8_P12ihipStream_tbDpT10_ENKUlT_T0_E_clISt17integral_constantIbLb1EES18_IbLb0EEEEDaS14_S15_EUlS14_E_NS1_11comp_targetILNS1_3genE4ELNS1_11target_archE910ELNS1_3gpuE8ELNS1_3repE0EEENS1_30default_config_static_selectorELNS0_4arch9wavefront6targetE1EEEvT1_,"axG",@progbits,_ZN7rocprim17ROCPRIM_400000_NS6detail17trampoline_kernelINS0_14default_configENS1_25partition_config_selectorILNS1_17partition_subalgoE5EiNS0_10empty_typeEbEEZZNS1_14partition_implILS5_5ELb0ES3_mPiPS6_N6thrust23THRUST_200600_302600_NS18transform_iteratorINSC_6detail9not_fun_tIN6dUtils8isNotOneIiEEEES9_NSC_11use_defaultESK_EENS0_5tupleIJS9_S6_EEENSM_IJSA_SA_EEES6_PlJS6_EEE10hipError_tPvRmT3_T4_T5_T6_T7_T9_mT8_P12ihipStream_tbDpT10_ENKUlT_T0_E_clISt17integral_constantIbLb1EES18_IbLb0EEEEDaS14_S15_EUlS14_E_NS1_11comp_targetILNS1_3genE4ELNS1_11target_archE910ELNS1_3gpuE8ELNS1_3repE0EEENS1_30default_config_static_selectorELNS0_4arch9wavefront6targetE1EEEvT1_,comdat
.Lfunc_end132:
	.size	_ZN7rocprim17ROCPRIM_400000_NS6detail17trampoline_kernelINS0_14default_configENS1_25partition_config_selectorILNS1_17partition_subalgoE5EiNS0_10empty_typeEbEEZZNS1_14partition_implILS5_5ELb0ES3_mPiPS6_N6thrust23THRUST_200600_302600_NS18transform_iteratorINSC_6detail9not_fun_tIN6dUtils8isNotOneIiEEEES9_NSC_11use_defaultESK_EENS0_5tupleIJS9_S6_EEENSM_IJSA_SA_EEES6_PlJS6_EEE10hipError_tPvRmT3_T4_T5_T6_T7_T9_mT8_P12ihipStream_tbDpT10_ENKUlT_T0_E_clISt17integral_constantIbLb1EES18_IbLb0EEEEDaS14_S15_EUlS14_E_NS1_11comp_targetILNS1_3genE4ELNS1_11target_archE910ELNS1_3gpuE8ELNS1_3repE0EEENS1_30default_config_static_selectorELNS0_4arch9wavefront6targetE1EEEvT1_, .Lfunc_end132-_ZN7rocprim17ROCPRIM_400000_NS6detail17trampoline_kernelINS0_14default_configENS1_25partition_config_selectorILNS1_17partition_subalgoE5EiNS0_10empty_typeEbEEZZNS1_14partition_implILS5_5ELb0ES3_mPiPS6_N6thrust23THRUST_200600_302600_NS18transform_iteratorINSC_6detail9not_fun_tIN6dUtils8isNotOneIiEEEES9_NSC_11use_defaultESK_EENS0_5tupleIJS9_S6_EEENSM_IJSA_SA_EEES6_PlJS6_EEE10hipError_tPvRmT3_T4_T5_T6_T7_T9_mT8_P12ihipStream_tbDpT10_ENKUlT_T0_E_clISt17integral_constantIbLb1EES18_IbLb0EEEEDaS14_S15_EUlS14_E_NS1_11comp_targetILNS1_3genE4ELNS1_11target_archE910ELNS1_3gpuE8ELNS1_3repE0EEENS1_30default_config_static_selectorELNS0_4arch9wavefront6targetE1EEEvT1_
                                        ; -- End function
	.section	.AMDGPU.csdata,"",@progbits
; Kernel info:
; codeLenInByte = 6724
; NumSgprs: 32
; NumVgprs: 56
; NumAgprs: 0
; TotalNumVgprs: 56
; ScratchSize: 0
; MemoryBound: 0
; FloatMode: 240
; IeeeMode: 1
; LDSByteSize: 7184 bytes/workgroup (compile time only)
; SGPRBlocks: 3
; VGPRBlocks: 6
; NumSGPRsForWavesPerEU: 32
; NumVGPRsForWavesPerEU: 56
; AccumOffset: 56
; Occupancy: 8
; WaveLimiterHint : 1
; COMPUTE_PGM_RSRC2:SCRATCH_EN: 0
; COMPUTE_PGM_RSRC2:USER_SGPR: 6
; COMPUTE_PGM_RSRC2:TRAP_HANDLER: 0
; COMPUTE_PGM_RSRC2:TGID_X_EN: 1
; COMPUTE_PGM_RSRC2:TGID_Y_EN: 0
; COMPUTE_PGM_RSRC2:TGID_Z_EN: 0
; COMPUTE_PGM_RSRC2:TIDIG_COMP_CNT: 0
; COMPUTE_PGM_RSRC3_GFX90A:ACCUM_OFFSET: 13
; COMPUTE_PGM_RSRC3_GFX90A:TG_SPLIT: 0
	.section	.text._ZN7rocprim17ROCPRIM_400000_NS6detail17trampoline_kernelINS0_14default_configENS1_25partition_config_selectorILNS1_17partition_subalgoE5EiNS0_10empty_typeEbEEZZNS1_14partition_implILS5_5ELb0ES3_mPiPS6_N6thrust23THRUST_200600_302600_NS18transform_iteratorINSC_6detail9not_fun_tIN6dUtils8isNotOneIiEEEES9_NSC_11use_defaultESK_EENS0_5tupleIJS9_S6_EEENSM_IJSA_SA_EEES6_PlJS6_EEE10hipError_tPvRmT3_T4_T5_T6_T7_T9_mT8_P12ihipStream_tbDpT10_ENKUlT_T0_E_clISt17integral_constantIbLb1EES18_IbLb0EEEEDaS14_S15_EUlS14_E_NS1_11comp_targetILNS1_3genE3ELNS1_11target_archE908ELNS1_3gpuE7ELNS1_3repE0EEENS1_30default_config_static_selectorELNS0_4arch9wavefront6targetE1EEEvT1_,"axG",@progbits,_ZN7rocprim17ROCPRIM_400000_NS6detail17trampoline_kernelINS0_14default_configENS1_25partition_config_selectorILNS1_17partition_subalgoE5EiNS0_10empty_typeEbEEZZNS1_14partition_implILS5_5ELb0ES3_mPiPS6_N6thrust23THRUST_200600_302600_NS18transform_iteratorINSC_6detail9not_fun_tIN6dUtils8isNotOneIiEEEES9_NSC_11use_defaultESK_EENS0_5tupleIJS9_S6_EEENSM_IJSA_SA_EEES6_PlJS6_EEE10hipError_tPvRmT3_T4_T5_T6_T7_T9_mT8_P12ihipStream_tbDpT10_ENKUlT_T0_E_clISt17integral_constantIbLb1EES18_IbLb0EEEEDaS14_S15_EUlS14_E_NS1_11comp_targetILNS1_3genE3ELNS1_11target_archE908ELNS1_3gpuE7ELNS1_3repE0EEENS1_30default_config_static_selectorELNS0_4arch9wavefront6targetE1EEEvT1_,comdat
	.protected	_ZN7rocprim17ROCPRIM_400000_NS6detail17trampoline_kernelINS0_14default_configENS1_25partition_config_selectorILNS1_17partition_subalgoE5EiNS0_10empty_typeEbEEZZNS1_14partition_implILS5_5ELb0ES3_mPiPS6_N6thrust23THRUST_200600_302600_NS18transform_iteratorINSC_6detail9not_fun_tIN6dUtils8isNotOneIiEEEES9_NSC_11use_defaultESK_EENS0_5tupleIJS9_S6_EEENSM_IJSA_SA_EEES6_PlJS6_EEE10hipError_tPvRmT3_T4_T5_T6_T7_T9_mT8_P12ihipStream_tbDpT10_ENKUlT_T0_E_clISt17integral_constantIbLb1EES18_IbLb0EEEEDaS14_S15_EUlS14_E_NS1_11comp_targetILNS1_3genE3ELNS1_11target_archE908ELNS1_3gpuE7ELNS1_3repE0EEENS1_30default_config_static_selectorELNS0_4arch9wavefront6targetE1EEEvT1_ ; -- Begin function _ZN7rocprim17ROCPRIM_400000_NS6detail17trampoline_kernelINS0_14default_configENS1_25partition_config_selectorILNS1_17partition_subalgoE5EiNS0_10empty_typeEbEEZZNS1_14partition_implILS5_5ELb0ES3_mPiPS6_N6thrust23THRUST_200600_302600_NS18transform_iteratorINSC_6detail9not_fun_tIN6dUtils8isNotOneIiEEEES9_NSC_11use_defaultESK_EENS0_5tupleIJS9_S6_EEENSM_IJSA_SA_EEES6_PlJS6_EEE10hipError_tPvRmT3_T4_T5_T6_T7_T9_mT8_P12ihipStream_tbDpT10_ENKUlT_T0_E_clISt17integral_constantIbLb1EES18_IbLb0EEEEDaS14_S15_EUlS14_E_NS1_11comp_targetILNS1_3genE3ELNS1_11target_archE908ELNS1_3gpuE7ELNS1_3repE0EEENS1_30default_config_static_selectorELNS0_4arch9wavefront6targetE1EEEvT1_
	.globl	_ZN7rocprim17ROCPRIM_400000_NS6detail17trampoline_kernelINS0_14default_configENS1_25partition_config_selectorILNS1_17partition_subalgoE5EiNS0_10empty_typeEbEEZZNS1_14partition_implILS5_5ELb0ES3_mPiPS6_N6thrust23THRUST_200600_302600_NS18transform_iteratorINSC_6detail9not_fun_tIN6dUtils8isNotOneIiEEEES9_NSC_11use_defaultESK_EENS0_5tupleIJS9_S6_EEENSM_IJSA_SA_EEES6_PlJS6_EEE10hipError_tPvRmT3_T4_T5_T6_T7_T9_mT8_P12ihipStream_tbDpT10_ENKUlT_T0_E_clISt17integral_constantIbLb1EES18_IbLb0EEEEDaS14_S15_EUlS14_E_NS1_11comp_targetILNS1_3genE3ELNS1_11target_archE908ELNS1_3gpuE7ELNS1_3repE0EEENS1_30default_config_static_selectorELNS0_4arch9wavefront6targetE1EEEvT1_
	.p2align	8
	.type	_ZN7rocprim17ROCPRIM_400000_NS6detail17trampoline_kernelINS0_14default_configENS1_25partition_config_selectorILNS1_17partition_subalgoE5EiNS0_10empty_typeEbEEZZNS1_14partition_implILS5_5ELb0ES3_mPiPS6_N6thrust23THRUST_200600_302600_NS18transform_iteratorINSC_6detail9not_fun_tIN6dUtils8isNotOneIiEEEES9_NSC_11use_defaultESK_EENS0_5tupleIJS9_S6_EEENSM_IJSA_SA_EEES6_PlJS6_EEE10hipError_tPvRmT3_T4_T5_T6_T7_T9_mT8_P12ihipStream_tbDpT10_ENKUlT_T0_E_clISt17integral_constantIbLb1EES18_IbLb0EEEEDaS14_S15_EUlS14_E_NS1_11comp_targetILNS1_3genE3ELNS1_11target_archE908ELNS1_3gpuE7ELNS1_3repE0EEENS1_30default_config_static_selectorELNS0_4arch9wavefront6targetE1EEEvT1_,@function
_ZN7rocprim17ROCPRIM_400000_NS6detail17trampoline_kernelINS0_14default_configENS1_25partition_config_selectorILNS1_17partition_subalgoE5EiNS0_10empty_typeEbEEZZNS1_14partition_implILS5_5ELb0ES3_mPiPS6_N6thrust23THRUST_200600_302600_NS18transform_iteratorINSC_6detail9not_fun_tIN6dUtils8isNotOneIiEEEES9_NSC_11use_defaultESK_EENS0_5tupleIJS9_S6_EEENSM_IJSA_SA_EEES6_PlJS6_EEE10hipError_tPvRmT3_T4_T5_T6_T7_T9_mT8_P12ihipStream_tbDpT10_ENKUlT_T0_E_clISt17integral_constantIbLb1EES18_IbLb0EEEEDaS14_S15_EUlS14_E_NS1_11comp_targetILNS1_3genE3ELNS1_11target_archE908ELNS1_3gpuE7ELNS1_3repE0EEENS1_30default_config_static_selectorELNS0_4arch9wavefront6targetE1EEEvT1_: ; @_ZN7rocprim17ROCPRIM_400000_NS6detail17trampoline_kernelINS0_14default_configENS1_25partition_config_selectorILNS1_17partition_subalgoE5EiNS0_10empty_typeEbEEZZNS1_14partition_implILS5_5ELb0ES3_mPiPS6_N6thrust23THRUST_200600_302600_NS18transform_iteratorINSC_6detail9not_fun_tIN6dUtils8isNotOneIiEEEES9_NSC_11use_defaultESK_EENS0_5tupleIJS9_S6_EEENSM_IJSA_SA_EEES6_PlJS6_EEE10hipError_tPvRmT3_T4_T5_T6_T7_T9_mT8_P12ihipStream_tbDpT10_ENKUlT_T0_E_clISt17integral_constantIbLb1EES18_IbLb0EEEEDaS14_S15_EUlS14_E_NS1_11comp_targetILNS1_3genE3ELNS1_11target_archE908ELNS1_3gpuE7ELNS1_3repE0EEENS1_30default_config_static_selectorELNS0_4arch9wavefront6targetE1EEEvT1_
; %bb.0:
	.section	.rodata,"a",@progbits
	.p2align	6, 0x0
	.amdhsa_kernel _ZN7rocprim17ROCPRIM_400000_NS6detail17trampoline_kernelINS0_14default_configENS1_25partition_config_selectorILNS1_17partition_subalgoE5EiNS0_10empty_typeEbEEZZNS1_14partition_implILS5_5ELb0ES3_mPiPS6_N6thrust23THRUST_200600_302600_NS18transform_iteratorINSC_6detail9not_fun_tIN6dUtils8isNotOneIiEEEES9_NSC_11use_defaultESK_EENS0_5tupleIJS9_S6_EEENSM_IJSA_SA_EEES6_PlJS6_EEE10hipError_tPvRmT3_T4_T5_T6_T7_T9_mT8_P12ihipStream_tbDpT10_ENKUlT_T0_E_clISt17integral_constantIbLb1EES18_IbLb0EEEEDaS14_S15_EUlS14_E_NS1_11comp_targetILNS1_3genE3ELNS1_11target_archE908ELNS1_3gpuE7ELNS1_3repE0EEENS1_30default_config_static_selectorELNS0_4arch9wavefront6targetE1EEEvT1_
		.amdhsa_group_segment_fixed_size 0
		.amdhsa_private_segment_fixed_size 0
		.amdhsa_kernarg_size 120
		.amdhsa_user_sgpr_count 6
		.amdhsa_user_sgpr_private_segment_buffer 1
		.amdhsa_user_sgpr_dispatch_ptr 0
		.amdhsa_user_sgpr_queue_ptr 0
		.amdhsa_user_sgpr_kernarg_segment_ptr 1
		.amdhsa_user_sgpr_dispatch_id 0
		.amdhsa_user_sgpr_flat_scratch_init 0
		.amdhsa_user_sgpr_kernarg_preload_length 0
		.amdhsa_user_sgpr_kernarg_preload_offset 0
		.amdhsa_user_sgpr_private_segment_size 0
		.amdhsa_uses_dynamic_stack 0
		.amdhsa_system_sgpr_private_segment_wavefront_offset 0
		.amdhsa_system_sgpr_workgroup_id_x 1
		.amdhsa_system_sgpr_workgroup_id_y 0
		.amdhsa_system_sgpr_workgroup_id_z 0
		.amdhsa_system_sgpr_workgroup_info 0
		.amdhsa_system_vgpr_workitem_id 0
		.amdhsa_next_free_vgpr 1
		.amdhsa_next_free_sgpr 0
		.amdhsa_accum_offset 4
		.amdhsa_reserve_vcc 0
		.amdhsa_reserve_flat_scratch 0
		.amdhsa_float_round_mode_32 0
		.amdhsa_float_round_mode_16_64 0
		.amdhsa_float_denorm_mode_32 3
		.amdhsa_float_denorm_mode_16_64 3
		.amdhsa_dx10_clamp 1
		.amdhsa_ieee_mode 1
		.amdhsa_fp16_overflow 0
		.amdhsa_tg_split 0
		.amdhsa_exception_fp_ieee_invalid_op 0
		.amdhsa_exception_fp_denorm_src 0
		.amdhsa_exception_fp_ieee_div_zero 0
		.amdhsa_exception_fp_ieee_overflow 0
		.amdhsa_exception_fp_ieee_underflow 0
		.amdhsa_exception_fp_ieee_inexact 0
		.amdhsa_exception_int_div_zero 0
	.end_amdhsa_kernel
	.section	.text._ZN7rocprim17ROCPRIM_400000_NS6detail17trampoline_kernelINS0_14default_configENS1_25partition_config_selectorILNS1_17partition_subalgoE5EiNS0_10empty_typeEbEEZZNS1_14partition_implILS5_5ELb0ES3_mPiPS6_N6thrust23THRUST_200600_302600_NS18transform_iteratorINSC_6detail9not_fun_tIN6dUtils8isNotOneIiEEEES9_NSC_11use_defaultESK_EENS0_5tupleIJS9_S6_EEENSM_IJSA_SA_EEES6_PlJS6_EEE10hipError_tPvRmT3_T4_T5_T6_T7_T9_mT8_P12ihipStream_tbDpT10_ENKUlT_T0_E_clISt17integral_constantIbLb1EES18_IbLb0EEEEDaS14_S15_EUlS14_E_NS1_11comp_targetILNS1_3genE3ELNS1_11target_archE908ELNS1_3gpuE7ELNS1_3repE0EEENS1_30default_config_static_selectorELNS0_4arch9wavefront6targetE1EEEvT1_,"axG",@progbits,_ZN7rocprim17ROCPRIM_400000_NS6detail17trampoline_kernelINS0_14default_configENS1_25partition_config_selectorILNS1_17partition_subalgoE5EiNS0_10empty_typeEbEEZZNS1_14partition_implILS5_5ELb0ES3_mPiPS6_N6thrust23THRUST_200600_302600_NS18transform_iteratorINSC_6detail9not_fun_tIN6dUtils8isNotOneIiEEEES9_NSC_11use_defaultESK_EENS0_5tupleIJS9_S6_EEENSM_IJSA_SA_EEES6_PlJS6_EEE10hipError_tPvRmT3_T4_T5_T6_T7_T9_mT8_P12ihipStream_tbDpT10_ENKUlT_T0_E_clISt17integral_constantIbLb1EES18_IbLb0EEEEDaS14_S15_EUlS14_E_NS1_11comp_targetILNS1_3genE3ELNS1_11target_archE908ELNS1_3gpuE7ELNS1_3repE0EEENS1_30default_config_static_selectorELNS0_4arch9wavefront6targetE1EEEvT1_,comdat
.Lfunc_end133:
	.size	_ZN7rocprim17ROCPRIM_400000_NS6detail17trampoline_kernelINS0_14default_configENS1_25partition_config_selectorILNS1_17partition_subalgoE5EiNS0_10empty_typeEbEEZZNS1_14partition_implILS5_5ELb0ES3_mPiPS6_N6thrust23THRUST_200600_302600_NS18transform_iteratorINSC_6detail9not_fun_tIN6dUtils8isNotOneIiEEEES9_NSC_11use_defaultESK_EENS0_5tupleIJS9_S6_EEENSM_IJSA_SA_EEES6_PlJS6_EEE10hipError_tPvRmT3_T4_T5_T6_T7_T9_mT8_P12ihipStream_tbDpT10_ENKUlT_T0_E_clISt17integral_constantIbLb1EES18_IbLb0EEEEDaS14_S15_EUlS14_E_NS1_11comp_targetILNS1_3genE3ELNS1_11target_archE908ELNS1_3gpuE7ELNS1_3repE0EEENS1_30default_config_static_selectorELNS0_4arch9wavefront6targetE1EEEvT1_, .Lfunc_end133-_ZN7rocprim17ROCPRIM_400000_NS6detail17trampoline_kernelINS0_14default_configENS1_25partition_config_selectorILNS1_17partition_subalgoE5EiNS0_10empty_typeEbEEZZNS1_14partition_implILS5_5ELb0ES3_mPiPS6_N6thrust23THRUST_200600_302600_NS18transform_iteratorINSC_6detail9not_fun_tIN6dUtils8isNotOneIiEEEES9_NSC_11use_defaultESK_EENS0_5tupleIJS9_S6_EEENSM_IJSA_SA_EEES6_PlJS6_EEE10hipError_tPvRmT3_T4_T5_T6_T7_T9_mT8_P12ihipStream_tbDpT10_ENKUlT_T0_E_clISt17integral_constantIbLb1EES18_IbLb0EEEEDaS14_S15_EUlS14_E_NS1_11comp_targetILNS1_3genE3ELNS1_11target_archE908ELNS1_3gpuE7ELNS1_3repE0EEENS1_30default_config_static_selectorELNS0_4arch9wavefront6targetE1EEEvT1_
                                        ; -- End function
	.section	.AMDGPU.csdata,"",@progbits
; Kernel info:
; codeLenInByte = 0
; NumSgprs: 4
; NumVgprs: 0
; NumAgprs: 0
; TotalNumVgprs: 0
; ScratchSize: 0
; MemoryBound: 0
; FloatMode: 240
; IeeeMode: 1
; LDSByteSize: 0 bytes/workgroup (compile time only)
; SGPRBlocks: 0
; VGPRBlocks: 0
; NumSGPRsForWavesPerEU: 4
; NumVGPRsForWavesPerEU: 1
; AccumOffset: 4
; Occupancy: 8
; WaveLimiterHint : 0
; COMPUTE_PGM_RSRC2:SCRATCH_EN: 0
; COMPUTE_PGM_RSRC2:USER_SGPR: 6
; COMPUTE_PGM_RSRC2:TRAP_HANDLER: 0
; COMPUTE_PGM_RSRC2:TGID_X_EN: 1
; COMPUTE_PGM_RSRC2:TGID_Y_EN: 0
; COMPUTE_PGM_RSRC2:TGID_Z_EN: 0
; COMPUTE_PGM_RSRC2:TIDIG_COMP_CNT: 0
; COMPUTE_PGM_RSRC3_GFX90A:ACCUM_OFFSET: 0
; COMPUTE_PGM_RSRC3_GFX90A:TG_SPLIT: 0
	.section	.text._ZN7rocprim17ROCPRIM_400000_NS6detail17trampoline_kernelINS0_14default_configENS1_25partition_config_selectorILNS1_17partition_subalgoE5EiNS0_10empty_typeEbEEZZNS1_14partition_implILS5_5ELb0ES3_mPiPS6_N6thrust23THRUST_200600_302600_NS18transform_iteratorINSC_6detail9not_fun_tIN6dUtils8isNotOneIiEEEES9_NSC_11use_defaultESK_EENS0_5tupleIJS9_S6_EEENSM_IJSA_SA_EEES6_PlJS6_EEE10hipError_tPvRmT3_T4_T5_T6_T7_T9_mT8_P12ihipStream_tbDpT10_ENKUlT_T0_E_clISt17integral_constantIbLb1EES18_IbLb0EEEEDaS14_S15_EUlS14_E_NS1_11comp_targetILNS1_3genE2ELNS1_11target_archE906ELNS1_3gpuE6ELNS1_3repE0EEENS1_30default_config_static_selectorELNS0_4arch9wavefront6targetE1EEEvT1_,"axG",@progbits,_ZN7rocprim17ROCPRIM_400000_NS6detail17trampoline_kernelINS0_14default_configENS1_25partition_config_selectorILNS1_17partition_subalgoE5EiNS0_10empty_typeEbEEZZNS1_14partition_implILS5_5ELb0ES3_mPiPS6_N6thrust23THRUST_200600_302600_NS18transform_iteratorINSC_6detail9not_fun_tIN6dUtils8isNotOneIiEEEES9_NSC_11use_defaultESK_EENS0_5tupleIJS9_S6_EEENSM_IJSA_SA_EEES6_PlJS6_EEE10hipError_tPvRmT3_T4_T5_T6_T7_T9_mT8_P12ihipStream_tbDpT10_ENKUlT_T0_E_clISt17integral_constantIbLb1EES18_IbLb0EEEEDaS14_S15_EUlS14_E_NS1_11comp_targetILNS1_3genE2ELNS1_11target_archE906ELNS1_3gpuE6ELNS1_3repE0EEENS1_30default_config_static_selectorELNS0_4arch9wavefront6targetE1EEEvT1_,comdat
	.protected	_ZN7rocprim17ROCPRIM_400000_NS6detail17trampoline_kernelINS0_14default_configENS1_25partition_config_selectorILNS1_17partition_subalgoE5EiNS0_10empty_typeEbEEZZNS1_14partition_implILS5_5ELb0ES3_mPiPS6_N6thrust23THRUST_200600_302600_NS18transform_iteratorINSC_6detail9not_fun_tIN6dUtils8isNotOneIiEEEES9_NSC_11use_defaultESK_EENS0_5tupleIJS9_S6_EEENSM_IJSA_SA_EEES6_PlJS6_EEE10hipError_tPvRmT3_T4_T5_T6_T7_T9_mT8_P12ihipStream_tbDpT10_ENKUlT_T0_E_clISt17integral_constantIbLb1EES18_IbLb0EEEEDaS14_S15_EUlS14_E_NS1_11comp_targetILNS1_3genE2ELNS1_11target_archE906ELNS1_3gpuE6ELNS1_3repE0EEENS1_30default_config_static_selectorELNS0_4arch9wavefront6targetE1EEEvT1_ ; -- Begin function _ZN7rocprim17ROCPRIM_400000_NS6detail17trampoline_kernelINS0_14default_configENS1_25partition_config_selectorILNS1_17partition_subalgoE5EiNS0_10empty_typeEbEEZZNS1_14partition_implILS5_5ELb0ES3_mPiPS6_N6thrust23THRUST_200600_302600_NS18transform_iteratorINSC_6detail9not_fun_tIN6dUtils8isNotOneIiEEEES9_NSC_11use_defaultESK_EENS0_5tupleIJS9_S6_EEENSM_IJSA_SA_EEES6_PlJS6_EEE10hipError_tPvRmT3_T4_T5_T6_T7_T9_mT8_P12ihipStream_tbDpT10_ENKUlT_T0_E_clISt17integral_constantIbLb1EES18_IbLb0EEEEDaS14_S15_EUlS14_E_NS1_11comp_targetILNS1_3genE2ELNS1_11target_archE906ELNS1_3gpuE6ELNS1_3repE0EEENS1_30default_config_static_selectorELNS0_4arch9wavefront6targetE1EEEvT1_
	.globl	_ZN7rocprim17ROCPRIM_400000_NS6detail17trampoline_kernelINS0_14default_configENS1_25partition_config_selectorILNS1_17partition_subalgoE5EiNS0_10empty_typeEbEEZZNS1_14partition_implILS5_5ELb0ES3_mPiPS6_N6thrust23THRUST_200600_302600_NS18transform_iteratorINSC_6detail9not_fun_tIN6dUtils8isNotOneIiEEEES9_NSC_11use_defaultESK_EENS0_5tupleIJS9_S6_EEENSM_IJSA_SA_EEES6_PlJS6_EEE10hipError_tPvRmT3_T4_T5_T6_T7_T9_mT8_P12ihipStream_tbDpT10_ENKUlT_T0_E_clISt17integral_constantIbLb1EES18_IbLb0EEEEDaS14_S15_EUlS14_E_NS1_11comp_targetILNS1_3genE2ELNS1_11target_archE906ELNS1_3gpuE6ELNS1_3repE0EEENS1_30default_config_static_selectorELNS0_4arch9wavefront6targetE1EEEvT1_
	.p2align	8
	.type	_ZN7rocprim17ROCPRIM_400000_NS6detail17trampoline_kernelINS0_14default_configENS1_25partition_config_selectorILNS1_17partition_subalgoE5EiNS0_10empty_typeEbEEZZNS1_14partition_implILS5_5ELb0ES3_mPiPS6_N6thrust23THRUST_200600_302600_NS18transform_iteratorINSC_6detail9not_fun_tIN6dUtils8isNotOneIiEEEES9_NSC_11use_defaultESK_EENS0_5tupleIJS9_S6_EEENSM_IJSA_SA_EEES6_PlJS6_EEE10hipError_tPvRmT3_T4_T5_T6_T7_T9_mT8_P12ihipStream_tbDpT10_ENKUlT_T0_E_clISt17integral_constantIbLb1EES18_IbLb0EEEEDaS14_S15_EUlS14_E_NS1_11comp_targetILNS1_3genE2ELNS1_11target_archE906ELNS1_3gpuE6ELNS1_3repE0EEENS1_30default_config_static_selectorELNS0_4arch9wavefront6targetE1EEEvT1_,@function
_ZN7rocprim17ROCPRIM_400000_NS6detail17trampoline_kernelINS0_14default_configENS1_25partition_config_selectorILNS1_17partition_subalgoE5EiNS0_10empty_typeEbEEZZNS1_14partition_implILS5_5ELb0ES3_mPiPS6_N6thrust23THRUST_200600_302600_NS18transform_iteratorINSC_6detail9not_fun_tIN6dUtils8isNotOneIiEEEES9_NSC_11use_defaultESK_EENS0_5tupleIJS9_S6_EEENSM_IJSA_SA_EEES6_PlJS6_EEE10hipError_tPvRmT3_T4_T5_T6_T7_T9_mT8_P12ihipStream_tbDpT10_ENKUlT_T0_E_clISt17integral_constantIbLb1EES18_IbLb0EEEEDaS14_S15_EUlS14_E_NS1_11comp_targetILNS1_3genE2ELNS1_11target_archE906ELNS1_3gpuE6ELNS1_3repE0EEENS1_30default_config_static_selectorELNS0_4arch9wavefront6targetE1EEEvT1_: ; @_ZN7rocprim17ROCPRIM_400000_NS6detail17trampoline_kernelINS0_14default_configENS1_25partition_config_selectorILNS1_17partition_subalgoE5EiNS0_10empty_typeEbEEZZNS1_14partition_implILS5_5ELb0ES3_mPiPS6_N6thrust23THRUST_200600_302600_NS18transform_iteratorINSC_6detail9not_fun_tIN6dUtils8isNotOneIiEEEES9_NSC_11use_defaultESK_EENS0_5tupleIJS9_S6_EEENSM_IJSA_SA_EEES6_PlJS6_EEE10hipError_tPvRmT3_T4_T5_T6_T7_T9_mT8_P12ihipStream_tbDpT10_ENKUlT_T0_E_clISt17integral_constantIbLb1EES18_IbLb0EEEEDaS14_S15_EUlS14_E_NS1_11comp_targetILNS1_3genE2ELNS1_11target_archE906ELNS1_3gpuE6ELNS1_3repE0EEENS1_30default_config_static_selectorELNS0_4arch9wavefront6targetE1EEEvT1_
; %bb.0:
	.section	.rodata,"a",@progbits
	.p2align	6, 0x0
	.amdhsa_kernel _ZN7rocprim17ROCPRIM_400000_NS6detail17trampoline_kernelINS0_14default_configENS1_25partition_config_selectorILNS1_17partition_subalgoE5EiNS0_10empty_typeEbEEZZNS1_14partition_implILS5_5ELb0ES3_mPiPS6_N6thrust23THRUST_200600_302600_NS18transform_iteratorINSC_6detail9not_fun_tIN6dUtils8isNotOneIiEEEES9_NSC_11use_defaultESK_EENS0_5tupleIJS9_S6_EEENSM_IJSA_SA_EEES6_PlJS6_EEE10hipError_tPvRmT3_T4_T5_T6_T7_T9_mT8_P12ihipStream_tbDpT10_ENKUlT_T0_E_clISt17integral_constantIbLb1EES18_IbLb0EEEEDaS14_S15_EUlS14_E_NS1_11comp_targetILNS1_3genE2ELNS1_11target_archE906ELNS1_3gpuE6ELNS1_3repE0EEENS1_30default_config_static_selectorELNS0_4arch9wavefront6targetE1EEEvT1_
		.amdhsa_group_segment_fixed_size 0
		.amdhsa_private_segment_fixed_size 0
		.amdhsa_kernarg_size 120
		.amdhsa_user_sgpr_count 6
		.amdhsa_user_sgpr_private_segment_buffer 1
		.amdhsa_user_sgpr_dispatch_ptr 0
		.amdhsa_user_sgpr_queue_ptr 0
		.amdhsa_user_sgpr_kernarg_segment_ptr 1
		.amdhsa_user_sgpr_dispatch_id 0
		.amdhsa_user_sgpr_flat_scratch_init 0
		.amdhsa_user_sgpr_kernarg_preload_length 0
		.amdhsa_user_sgpr_kernarg_preload_offset 0
		.amdhsa_user_sgpr_private_segment_size 0
		.amdhsa_uses_dynamic_stack 0
		.amdhsa_system_sgpr_private_segment_wavefront_offset 0
		.amdhsa_system_sgpr_workgroup_id_x 1
		.amdhsa_system_sgpr_workgroup_id_y 0
		.amdhsa_system_sgpr_workgroup_id_z 0
		.amdhsa_system_sgpr_workgroup_info 0
		.amdhsa_system_vgpr_workitem_id 0
		.amdhsa_next_free_vgpr 1
		.amdhsa_next_free_sgpr 0
		.amdhsa_accum_offset 4
		.amdhsa_reserve_vcc 0
		.amdhsa_reserve_flat_scratch 0
		.amdhsa_float_round_mode_32 0
		.amdhsa_float_round_mode_16_64 0
		.amdhsa_float_denorm_mode_32 3
		.amdhsa_float_denorm_mode_16_64 3
		.amdhsa_dx10_clamp 1
		.amdhsa_ieee_mode 1
		.amdhsa_fp16_overflow 0
		.amdhsa_tg_split 0
		.amdhsa_exception_fp_ieee_invalid_op 0
		.amdhsa_exception_fp_denorm_src 0
		.amdhsa_exception_fp_ieee_div_zero 0
		.amdhsa_exception_fp_ieee_overflow 0
		.amdhsa_exception_fp_ieee_underflow 0
		.amdhsa_exception_fp_ieee_inexact 0
		.amdhsa_exception_int_div_zero 0
	.end_amdhsa_kernel
	.section	.text._ZN7rocprim17ROCPRIM_400000_NS6detail17trampoline_kernelINS0_14default_configENS1_25partition_config_selectorILNS1_17partition_subalgoE5EiNS0_10empty_typeEbEEZZNS1_14partition_implILS5_5ELb0ES3_mPiPS6_N6thrust23THRUST_200600_302600_NS18transform_iteratorINSC_6detail9not_fun_tIN6dUtils8isNotOneIiEEEES9_NSC_11use_defaultESK_EENS0_5tupleIJS9_S6_EEENSM_IJSA_SA_EEES6_PlJS6_EEE10hipError_tPvRmT3_T4_T5_T6_T7_T9_mT8_P12ihipStream_tbDpT10_ENKUlT_T0_E_clISt17integral_constantIbLb1EES18_IbLb0EEEEDaS14_S15_EUlS14_E_NS1_11comp_targetILNS1_3genE2ELNS1_11target_archE906ELNS1_3gpuE6ELNS1_3repE0EEENS1_30default_config_static_selectorELNS0_4arch9wavefront6targetE1EEEvT1_,"axG",@progbits,_ZN7rocprim17ROCPRIM_400000_NS6detail17trampoline_kernelINS0_14default_configENS1_25partition_config_selectorILNS1_17partition_subalgoE5EiNS0_10empty_typeEbEEZZNS1_14partition_implILS5_5ELb0ES3_mPiPS6_N6thrust23THRUST_200600_302600_NS18transform_iteratorINSC_6detail9not_fun_tIN6dUtils8isNotOneIiEEEES9_NSC_11use_defaultESK_EENS0_5tupleIJS9_S6_EEENSM_IJSA_SA_EEES6_PlJS6_EEE10hipError_tPvRmT3_T4_T5_T6_T7_T9_mT8_P12ihipStream_tbDpT10_ENKUlT_T0_E_clISt17integral_constantIbLb1EES18_IbLb0EEEEDaS14_S15_EUlS14_E_NS1_11comp_targetILNS1_3genE2ELNS1_11target_archE906ELNS1_3gpuE6ELNS1_3repE0EEENS1_30default_config_static_selectorELNS0_4arch9wavefront6targetE1EEEvT1_,comdat
.Lfunc_end134:
	.size	_ZN7rocprim17ROCPRIM_400000_NS6detail17trampoline_kernelINS0_14default_configENS1_25partition_config_selectorILNS1_17partition_subalgoE5EiNS0_10empty_typeEbEEZZNS1_14partition_implILS5_5ELb0ES3_mPiPS6_N6thrust23THRUST_200600_302600_NS18transform_iteratorINSC_6detail9not_fun_tIN6dUtils8isNotOneIiEEEES9_NSC_11use_defaultESK_EENS0_5tupleIJS9_S6_EEENSM_IJSA_SA_EEES6_PlJS6_EEE10hipError_tPvRmT3_T4_T5_T6_T7_T9_mT8_P12ihipStream_tbDpT10_ENKUlT_T0_E_clISt17integral_constantIbLb1EES18_IbLb0EEEEDaS14_S15_EUlS14_E_NS1_11comp_targetILNS1_3genE2ELNS1_11target_archE906ELNS1_3gpuE6ELNS1_3repE0EEENS1_30default_config_static_selectorELNS0_4arch9wavefront6targetE1EEEvT1_, .Lfunc_end134-_ZN7rocprim17ROCPRIM_400000_NS6detail17trampoline_kernelINS0_14default_configENS1_25partition_config_selectorILNS1_17partition_subalgoE5EiNS0_10empty_typeEbEEZZNS1_14partition_implILS5_5ELb0ES3_mPiPS6_N6thrust23THRUST_200600_302600_NS18transform_iteratorINSC_6detail9not_fun_tIN6dUtils8isNotOneIiEEEES9_NSC_11use_defaultESK_EENS0_5tupleIJS9_S6_EEENSM_IJSA_SA_EEES6_PlJS6_EEE10hipError_tPvRmT3_T4_T5_T6_T7_T9_mT8_P12ihipStream_tbDpT10_ENKUlT_T0_E_clISt17integral_constantIbLb1EES18_IbLb0EEEEDaS14_S15_EUlS14_E_NS1_11comp_targetILNS1_3genE2ELNS1_11target_archE906ELNS1_3gpuE6ELNS1_3repE0EEENS1_30default_config_static_selectorELNS0_4arch9wavefront6targetE1EEEvT1_
                                        ; -- End function
	.section	.AMDGPU.csdata,"",@progbits
; Kernel info:
; codeLenInByte = 0
; NumSgprs: 4
; NumVgprs: 0
; NumAgprs: 0
; TotalNumVgprs: 0
; ScratchSize: 0
; MemoryBound: 0
; FloatMode: 240
; IeeeMode: 1
; LDSByteSize: 0 bytes/workgroup (compile time only)
; SGPRBlocks: 0
; VGPRBlocks: 0
; NumSGPRsForWavesPerEU: 4
; NumVGPRsForWavesPerEU: 1
; AccumOffset: 4
; Occupancy: 8
; WaveLimiterHint : 0
; COMPUTE_PGM_RSRC2:SCRATCH_EN: 0
; COMPUTE_PGM_RSRC2:USER_SGPR: 6
; COMPUTE_PGM_RSRC2:TRAP_HANDLER: 0
; COMPUTE_PGM_RSRC2:TGID_X_EN: 1
; COMPUTE_PGM_RSRC2:TGID_Y_EN: 0
; COMPUTE_PGM_RSRC2:TGID_Z_EN: 0
; COMPUTE_PGM_RSRC2:TIDIG_COMP_CNT: 0
; COMPUTE_PGM_RSRC3_GFX90A:ACCUM_OFFSET: 0
; COMPUTE_PGM_RSRC3_GFX90A:TG_SPLIT: 0
	.section	.text._ZN7rocprim17ROCPRIM_400000_NS6detail17trampoline_kernelINS0_14default_configENS1_25partition_config_selectorILNS1_17partition_subalgoE5EiNS0_10empty_typeEbEEZZNS1_14partition_implILS5_5ELb0ES3_mPiPS6_N6thrust23THRUST_200600_302600_NS18transform_iteratorINSC_6detail9not_fun_tIN6dUtils8isNotOneIiEEEES9_NSC_11use_defaultESK_EENS0_5tupleIJS9_S6_EEENSM_IJSA_SA_EEES6_PlJS6_EEE10hipError_tPvRmT3_T4_T5_T6_T7_T9_mT8_P12ihipStream_tbDpT10_ENKUlT_T0_E_clISt17integral_constantIbLb1EES18_IbLb0EEEEDaS14_S15_EUlS14_E_NS1_11comp_targetILNS1_3genE10ELNS1_11target_archE1200ELNS1_3gpuE4ELNS1_3repE0EEENS1_30default_config_static_selectorELNS0_4arch9wavefront6targetE1EEEvT1_,"axG",@progbits,_ZN7rocprim17ROCPRIM_400000_NS6detail17trampoline_kernelINS0_14default_configENS1_25partition_config_selectorILNS1_17partition_subalgoE5EiNS0_10empty_typeEbEEZZNS1_14partition_implILS5_5ELb0ES3_mPiPS6_N6thrust23THRUST_200600_302600_NS18transform_iteratorINSC_6detail9not_fun_tIN6dUtils8isNotOneIiEEEES9_NSC_11use_defaultESK_EENS0_5tupleIJS9_S6_EEENSM_IJSA_SA_EEES6_PlJS6_EEE10hipError_tPvRmT3_T4_T5_T6_T7_T9_mT8_P12ihipStream_tbDpT10_ENKUlT_T0_E_clISt17integral_constantIbLb1EES18_IbLb0EEEEDaS14_S15_EUlS14_E_NS1_11comp_targetILNS1_3genE10ELNS1_11target_archE1200ELNS1_3gpuE4ELNS1_3repE0EEENS1_30default_config_static_selectorELNS0_4arch9wavefront6targetE1EEEvT1_,comdat
	.protected	_ZN7rocprim17ROCPRIM_400000_NS6detail17trampoline_kernelINS0_14default_configENS1_25partition_config_selectorILNS1_17partition_subalgoE5EiNS0_10empty_typeEbEEZZNS1_14partition_implILS5_5ELb0ES3_mPiPS6_N6thrust23THRUST_200600_302600_NS18transform_iteratorINSC_6detail9not_fun_tIN6dUtils8isNotOneIiEEEES9_NSC_11use_defaultESK_EENS0_5tupleIJS9_S6_EEENSM_IJSA_SA_EEES6_PlJS6_EEE10hipError_tPvRmT3_T4_T5_T6_T7_T9_mT8_P12ihipStream_tbDpT10_ENKUlT_T0_E_clISt17integral_constantIbLb1EES18_IbLb0EEEEDaS14_S15_EUlS14_E_NS1_11comp_targetILNS1_3genE10ELNS1_11target_archE1200ELNS1_3gpuE4ELNS1_3repE0EEENS1_30default_config_static_selectorELNS0_4arch9wavefront6targetE1EEEvT1_ ; -- Begin function _ZN7rocprim17ROCPRIM_400000_NS6detail17trampoline_kernelINS0_14default_configENS1_25partition_config_selectorILNS1_17partition_subalgoE5EiNS0_10empty_typeEbEEZZNS1_14partition_implILS5_5ELb0ES3_mPiPS6_N6thrust23THRUST_200600_302600_NS18transform_iteratorINSC_6detail9not_fun_tIN6dUtils8isNotOneIiEEEES9_NSC_11use_defaultESK_EENS0_5tupleIJS9_S6_EEENSM_IJSA_SA_EEES6_PlJS6_EEE10hipError_tPvRmT3_T4_T5_T6_T7_T9_mT8_P12ihipStream_tbDpT10_ENKUlT_T0_E_clISt17integral_constantIbLb1EES18_IbLb0EEEEDaS14_S15_EUlS14_E_NS1_11comp_targetILNS1_3genE10ELNS1_11target_archE1200ELNS1_3gpuE4ELNS1_3repE0EEENS1_30default_config_static_selectorELNS0_4arch9wavefront6targetE1EEEvT1_
	.globl	_ZN7rocprim17ROCPRIM_400000_NS6detail17trampoline_kernelINS0_14default_configENS1_25partition_config_selectorILNS1_17partition_subalgoE5EiNS0_10empty_typeEbEEZZNS1_14partition_implILS5_5ELb0ES3_mPiPS6_N6thrust23THRUST_200600_302600_NS18transform_iteratorINSC_6detail9not_fun_tIN6dUtils8isNotOneIiEEEES9_NSC_11use_defaultESK_EENS0_5tupleIJS9_S6_EEENSM_IJSA_SA_EEES6_PlJS6_EEE10hipError_tPvRmT3_T4_T5_T6_T7_T9_mT8_P12ihipStream_tbDpT10_ENKUlT_T0_E_clISt17integral_constantIbLb1EES18_IbLb0EEEEDaS14_S15_EUlS14_E_NS1_11comp_targetILNS1_3genE10ELNS1_11target_archE1200ELNS1_3gpuE4ELNS1_3repE0EEENS1_30default_config_static_selectorELNS0_4arch9wavefront6targetE1EEEvT1_
	.p2align	8
	.type	_ZN7rocprim17ROCPRIM_400000_NS6detail17trampoline_kernelINS0_14default_configENS1_25partition_config_selectorILNS1_17partition_subalgoE5EiNS0_10empty_typeEbEEZZNS1_14partition_implILS5_5ELb0ES3_mPiPS6_N6thrust23THRUST_200600_302600_NS18transform_iteratorINSC_6detail9not_fun_tIN6dUtils8isNotOneIiEEEES9_NSC_11use_defaultESK_EENS0_5tupleIJS9_S6_EEENSM_IJSA_SA_EEES6_PlJS6_EEE10hipError_tPvRmT3_T4_T5_T6_T7_T9_mT8_P12ihipStream_tbDpT10_ENKUlT_T0_E_clISt17integral_constantIbLb1EES18_IbLb0EEEEDaS14_S15_EUlS14_E_NS1_11comp_targetILNS1_3genE10ELNS1_11target_archE1200ELNS1_3gpuE4ELNS1_3repE0EEENS1_30default_config_static_selectorELNS0_4arch9wavefront6targetE1EEEvT1_,@function
_ZN7rocprim17ROCPRIM_400000_NS6detail17trampoline_kernelINS0_14default_configENS1_25partition_config_selectorILNS1_17partition_subalgoE5EiNS0_10empty_typeEbEEZZNS1_14partition_implILS5_5ELb0ES3_mPiPS6_N6thrust23THRUST_200600_302600_NS18transform_iteratorINSC_6detail9not_fun_tIN6dUtils8isNotOneIiEEEES9_NSC_11use_defaultESK_EENS0_5tupleIJS9_S6_EEENSM_IJSA_SA_EEES6_PlJS6_EEE10hipError_tPvRmT3_T4_T5_T6_T7_T9_mT8_P12ihipStream_tbDpT10_ENKUlT_T0_E_clISt17integral_constantIbLb1EES18_IbLb0EEEEDaS14_S15_EUlS14_E_NS1_11comp_targetILNS1_3genE10ELNS1_11target_archE1200ELNS1_3gpuE4ELNS1_3repE0EEENS1_30default_config_static_selectorELNS0_4arch9wavefront6targetE1EEEvT1_: ; @_ZN7rocprim17ROCPRIM_400000_NS6detail17trampoline_kernelINS0_14default_configENS1_25partition_config_selectorILNS1_17partition_subalgoE5EiNS0_10empty_typeEbEEZZNS1_14partition_implILS5_5ELb0ES3_mPiPS6_N6thrust23THRUST_200600_302600_NS18transform_iteratorINSC_6detail9not_fun_tIN6dUtils8isNotOneIiEEEES9_NSC_11use_defaultESK_EENS0_5tupleIJS9_S6_EEENSM_IJSA_SA_EEES6_PlJS6_EEE10hipError_tPvRmT3_T4_T5_T6_T7_T9_mT8_P12ihipStream_tbDpT10_ENKUlT_T0_E_clISt17integral_constantIbLb1EES18_IbLb0EEEEDaS14_S15_EUlS14_E_NS1_11comp_targetILNS1_3genE10ELNS1_11target_archE1200ELNS1_3gpuE4ELNS1_3repE0EEENS1_30default_config_static_selectorELNS0_4arch9wavefront6targetE1EEEvT1_
; %bb.0:
	.section	.rodata,"a",@progbits
	.p2align	6, 0x0
	.amdhsa_kernel _ZN7rocprim17ROCPRIM_400000_NS6detail17trampoline_kernelINS0_14default_configENS1_25partition_config_selectorILNS1_17partition_subalgoE5EiNS0_10empty_typeEbEEZZNS1_14partition_implILS5_5ELb0ES3_mPiPS6_N6thrust23THRUST_200600_302600_NS18transform_iteratorINSC_6detail9not_fun_tIN6dUtils8isNotOneIiEEEES9_NSC_11use_defaultESK_EENS0_5tupleIJS9_S6_EEENSM_IJSA_SA_EEES6_PlJS6_EEE10hipError_tPvRmT3_T4_T5_T6_T7_T9_mT8_P12ihipStream_tbDpT10_ENKUlT_T0_E_clISt17integral_constantIbLb1EES18_IbLb0EEEEDaS14_S15_EUlS14_E_NS1_11comp_targetILNS1_3genE10ELNS1_11target_archE1200ELNS1_3gpuE4ELNS1_3repE0EEENS1_30default_config_static_selectorELNS0_4arch9wavefront6targetE1EEEvT1_
		.amdhsa_group_segment_fixed_size 0
		.amdhsa_private_segment_fixed_size 0
		.amdhsa_kernarg_size 120
		.amdhsa_user_sgpr_count 6
		.amdhsa_user_sgpr_private_segment_buffer 1
		.amdhsa_user_sgpr_dispatch_ptr 0
		.amdhsa_user_sgpr_queue_ptr 0
		.amdhsa_user_sgpr_kernarg_segment_ptr 1
		.amdhsa_user_sgpr_dispatch_id 0
		.amdhsa_user_sgpr_flat_scratch_init 0
		.amdhsa_user_sgpr_kernarg_preload_length 0
		.amdhsa_user_sgpr_kernarg_preload_offset 0
		.amdhsa_user_sgpr_private_segment_size 0
		.amdhsa_uses_dynamic_stack 0
		.amdhsa_system_sgpr_private_segment_wavefront_offset 0
		.amdhsa_system_sgpr_workgroup_id_x 1
		.amdhsa_system_sgpr_workgroup_id_y 0
		.amdhsa_system_sgpr_workgroup_id_z 0
		.amdhsa_system_sgpr_workgroup_info 0
		.amdhsa_system_vgpr_workitem_id 0
		.amdhsa_next_free_vgpr 1
		.amdhsa_next_free_sgpr 0
		.amdhsa_accum_offset 4
		.amdhsa_reserve_vcc 0
		.amdhsa_reserve_flat_scratch 0
		.amdhsa_float_round_mode_32 0
		.amdhsa_float_round_mode_16_64 0
		.amdhsa_float_denorm_mode_32 3
		.amdhsa_float_denorm_mode_16_64 3
		.amdhsa_dx10_clamp 1
		.amdhsa_ieee_mode 1
		.amdhsa_fp16_overflow 0
		.amdhsa_tg_split 0
		.amdhsa_exception_fp_ieee_invalid_op 0
		.amdhsa_exception_fp_denorm_src 0
		.amdhsa_exception_fp_ieee_div_zero 0
		.amdhsa_exception_fp_ieee_overflow 0
		.amdhsa_exception_fp_ieee_underflow 0
		.amdhsa_exception_fp_ieee_inexact 0
		.amdhsa_exception_int_div_zero 0
	.end_amdhsa_kernel
	.section	.text._ZN7rocprim17ROCPRIM_400000_NS6detail17trampoline_kernelINS0_14default_configENS1_25partition_config_selectorILNS1_17partition_subalgoE5EiNS0_10empty_typeEbEEZZNS1_14partition_implILS5_5ELb0ES3_mPiPS6_N6thrust23THRUST_200600_302600_NS18transform_iteratorINSC_6detail9not_fun_tIN6dUtils8isNotOneIiEEEES9_NSC_11use_defaultESK_EENS0_5tupleIJS9_S6_EEENSM_IJSA_SA_EEES6_PlJS6_EEE10hipError_tPvRmT3_T4_T5_T6_T7_T9_mT8_P12ihipStream_tbDpT10_ENKUlT_T0_E_clISt17integral_constantIbLb1EES18_IbLb0EEEEDaS14_S15_EUlS14_E_NS1_11comp_targetILNS1_3genE10ELNS1_11target_archE1200ELNS1_3gpuE4ELNS1_3repE0EEENS1_30default_config_static_selectorELNS0_4arch9wavefront6targetE1EEEvT1_,"axG",@progbits,_ZN7rocprim17ROCPRIM_400000_NS6detail17trampoline_kernelINS0_14default_configENS1_25partition_config_selectorILNS1_17partition_subalgoE5EiNS0_10empty_typeEbEEZZNS1_14partition_implILS5_5ELb0ES3_mPiPS6_N6thrust23THRUST_200600_302600_NS18transform_iteratorINSC_6detail9not_fun_tIN6dUtils8isNotOneIiEEEES9_NSC_11use_defaultESK_EENS0_5tupleIJS9_S6_EEENSM_IJSA_SA_EEES6_PlJS6_EEE10hipError_tPvRmT3_T4_T5_T6_T7_T9_mT8_P12ihipStream_tbDpT10_ENKUlT_T0_E_clISt17integral_constantIbLb1EES18_IbLb0EEEEDaS14_S15_EUlS14_E_NS1_11comp_targetILNS1_3genE10ELNS1_11target_archE1200ELNS1_3gpuE4ELNS1_3repE0EEENS1_30default_config_static_selectorELNS0_4arch9wavefront6targetE1EEEvT1_,comdat
.Lfunc_end135:
	.size	_ZN7rocprim17ROCPRIM_400000_NS6detail17trampoline_kernelINS0_14default_configENS1_25partition_config_selectorILNS1_17partition_subalgoE5EiNS0_10empty_typeEbEEZZNS1_14partition_implILS5_5ELb0ES3_mPiPS6_N6thrust23THRUST_200600_302600_NS18transform_iteratorINSC_6detail9not_fun_tIN6dUtils8isNotOneIiEEEES9_NSC_11use_defaultESK_EENS0_5tupleIJS9_S6_EEENSM_IJSA_SA_EEES6_PlJS6_EEE10hipError_tPvRmT3_T4_T5_T6_T7_T9_mT8_P12ihipStream_tbDpT10_ENKUlT_T0_E_clISt17integral_constantIbLb1EES18_IbLb0EEEEDaS14_S15_EUlS14_E_NS1_11comp_targetILNS1_3genE10ELNS1_11target_archE1200ELNS1_3gpuE4ELNS1_3repE0EEENS1_30default_config_static_selectorELNS0_4arch9wavefront6targetE1EEEvT1_, .Lfunc_end135-_ZN7rocprim17ROCPRIM_400000_NS6detail17trampoline_kernelINS0_14default_configENS1_25partition_config_selectorILNS1_17partition_subalgoE5EiNS0_10empty_typeEbEEZZNS1_14partition_implILS5_5ELb0ES3_mPiPS6_N6thrust23THRUST_200600_302600_NS18transform_iteratorINSC_6detail9not_fun_tIN6dUtils8isNotOneIiEEEES9_NSC_11use_defaultESK_EENS0_5tupleIJS9_S6_EEENSM_IJSA_SA_EEES6_PlJS6_EEE10hipError_tPvRmT3_T4_T5_T6_T7_T9_mT8_P12ihipStream_tbDpT10_ENKUlT_T0_E_clISt17integral_constantIbLb1EES18_IbLb0EEEEDaS14_S15_EUlS14_E_NS1_11comp_targetILNS1_3genE10ELNS1_11target_archE1200ELNS1_3gpuE4ELNS1_3repE0EEENS1_30default_config_static_selectorELNS0_4arch9wavefront6targetE1EEEvT1_
                                        ; -- End function
	.section	.AMDGPU.csdata,"",@progbits
; Kernel info:
; codeLenInByte = 0
; NumSgprs: 4
; NumVgprs: 0
; NumAgprs: 0
; TotalNumVgprs: 0
; ScratchSize: 0
; MemoryBound: 0
; FloatMode: 240
; IeeeMode: 1
; LDSByteSize: 0 bytes/workgroup (compile time only)
; SGPRBlocks: 0
; VGPRBlocks: 0
; NumSGPRsForWavesPerEU: 4
; NumVGPRsForWavesPerEU: 1
; AccumOffset: 4
; Occupancy: 8
; WaveLimiterHint : 0
; COMPUTE_PGM_RSRC2:SCRATCH_EN: 0
; COMPUTE_PGM_RSRC2:USER_SGPR: 6
; COMPUTE_PGM_RSRC2:TRAP_HANDLER: 0
; COMPUTE_PGM_RSRC2:TGID_X_EN: 1
; COMPUTE_PGM_RSRC2:TGID_Y_EN: 0
; COMPUTE_PGM_RSRC2:TGID_Z_EN: 0
; COMPUTE_PGM_RSRC2:TIDIG_COMP_CNT: 0
; COMPUTE_PGM_RSRC3_GFX90A:ACCUM_OFFSET: 0
; COMPUTE_PGM_RSRC3_GFX90A:TG_SPLIT: 0
	.section	.text._ZN7rocprim17ROCPRIM_400000_NS6detail17trampoline_kernelINS0_14default_configENS1_25partition_config_selectorILNS1_17partition_subalgoE5EiNS0_10empty_typeEbEEZZNS1_14partition_implILS5_5ELb0ES3_mPiPS6_N6thrust23THRUST_200600_302600_NS18transform_iteratorINSC_6detail9not_fun_tIN6dUtils8isNotOneIiEEEES9_NSC_11use_defaultESK_EENS0_5tupleIJS9_S6_EEENSM_IJSA_SA_EEES6_PlJS6_EEE10hipError_tPvRmT3_T4_T5_T6_T7_T9_mT8_P12ihipStream_tbDpT10_ENKUlT_T0_E_clISt17integral_constantIbLb1EES18_IbLb0EEEEDaS14_S15_EUlS14_E_NS1_11comp_targetILNS1_3genE9ELNS1_11target_archE1100ELNS1_3gpuE3ELNS1_3repE0EEENS1_30default_config_static_selectorELNS0_4arch9wavefront6targetE1EEEvT1_,"axG",@progbits,_ZN7rocprim17ROCPRIM_400000_NS6detail17trampoline_kernelINS0_14default_configENS1_25partition_config_selectorILNS1_17partition_subalgoE5EiNS0_10empty_typeEbEEZZNS1_14partition_implILS5_5ELb0ES3_mPiPS6_N6thrust23THRUST_200600_302600_NS18transform_iteratorINSC_6detail9not_fun_tIN6dUtils8isNotOneIiEEEES9_NSC_11use_defaultESK_EENS0_5tupleIJS9_S6_EEENSM_IJSA_SA_EEES6_PlJS6_EEE10hipError_tPvRmT3_T4_T5_T6_T7_T9_mT8_P12ihipStream_tbDpT10_ENKUlT_T0_E_clISt17integral_constantIbLb1EES18_IbLb0EEEEDaS14_S15_EUlS14_E_NS1_11comp_targetILNS1_3genE9ELNS1_11target_archE1100ELNS1_3gpuE3ELNS1_3repE0EEENS1_30default_config_static_selectorELNS0_4arch9wavefront6targetE1EEEvT1_,comdat
	.protected	_ZN7rocprim17ROCPRIM_400000_NS6detail17trampoline_kernelINS0_14default_configENS1_25partition_config_selectorILNS1_17partition_subalgoE5EiNS0_10empty_typeEbEEZZNS1_14partition_implILS5_5ELb0ES3_mPiPS6_N6thrust23THRUST_200600_302600_NS18transform_iteratorINSC_6detail9not_fun_tIN6dUtils8isNotOneIiEEEES9_NSC_11use_defaultESK_EENS0_5tupleIJS9_S6_EEENSM_IJSA_SA_EEES6_PlJS6_EEE10hipError_tPvRmT3_T4_T5_T6_T7_T9_mT8_P12ihipStream_tbDpT10_ENKUlT_T0_E_clISt17integral_constantIbLb1EES18_IbLb0EEEEDaS14_S15_EUlS14_E_NS1_11comp_targetILNS1_3genE9ELNS1_11target_archE1100ELNS1_3gpuE3ELNS1_3repE0EEENS1_30default_config_static_selectorELNS0_4arch9wavefront6targetE1EEEvT1_ ; -- Begin function _ZN7rocprim17ROCPRIM_400000_NS6detail17trampoline_kernelINS0_14default_configENS1_25partition_config_selectorILNS1_17partition_subalgoE5EiNS0_10empty_typeEbEEZZNS1_14partition_implILS5_5ELb0ES3_mPiPS6_N6thrust23THRUST_200600_302600_NS18transform_iteratorINSC_6detail9not_fun_tIN6dUtils8isNotOneIiEEEES9_NSC_11use_defaultESK_EENS0_5tupleIJS9_S6_EEENSM_IJSA_SA_EEES6_PlJS6_EEE10hipError_tPvRmT3_T4_T5_T6_T7_T9_mT8_P12ihipStream_tbDpT10_ENKUlT_T0_E_clISt17integral_constantIbLb1EES18_IbLb0EEEEDaS14_S15_EUlS14_E_NS1_11comp_targetILNS1_3genE9ELNS1_11target_archE1100ELNS1_3gpuE3ELNS1_3repE0EEENS1_30default_config_static_selectorELNS0_4arch9wavefront6targetE1EEEvT1_
	.globl	_ZN7rocprim17ROCPRIM_400000_NS6detail17trampoline_kernelINS0_14default_configENS1_25partition_config_selectorILNS1_17partition_subalgoE5EiNS0_10empty_typeEbEEZZNS1_14partition_implILS5_5ELb0ES3_mPiPS6_N6thrust23THRUST_200600_302600_NS18transform_iteratorINSC_6detail9not_fun_tIN6dUtils8isNotOneIiEEEES9_NSC_11use_defaultESK_EENS0_5tupleIJS9_S6_EEENSM_IJSA_SA_EEES6_PlJS6_EEE10hipError_tPvRmT3_T4_T5_T6_T7_T9_mT8_P12ihipStream_tbDpT10_ENKUlT_T0_E_clISt17integral_constantIbLb1EES18_IbLb0EEEEDaS14_S15_EUlS14_E_NS1_11comp_targetILNS1_3genE9ELNS1_11target_archE1100ELNS1_3gpuE3ELNS1_3repE0EEENS1_30default_config_static_selectorELNS0_4arch9wavefront6targetE1EEEvT1_
	.p2align	8
	.type	_ZN7rocprim17ROCPRIM_400000_NS6detail17trampoline_kernelINS0_14default_configENS1_25partition_config_selectorILNS1_17partition_subalgoE5EiNS0_10empty_typeEbEEZZNS1_14partition_implILS5_5ELb0ES3_mPiPS6_N6thrust23THRUST_200600_302600_NS18transform_iteratorINSC_6detail9not_fun_tIN6dUtils8isNotOneIiEEEES9_NSC_11use_defaultESK_EENS0_5tupleIJS9_S6_EEENSM_IJSA_SA_EEES6_PlJS6_EEE10hipError_tPvRmT3_T4_T5_T6_T7_T9_mT8_P12ihipStream_tbDpT10_ENKUlT_T0_E_clISt17integral_constantIbLb1EES18_IbLb0EEEEDaS14_S15_EUlS14_E_NS1_11comp_targetILNS1_3genE9ELNS1_11target_archE1100ELNS1_3gpuE3ELNS1_3repE0EEENS1_30default_config_static_selectorELNS0_4arch9wavefront6targetE1EEEvT1_,@function
_ZN7rocprim17ROCPRIM_400000_NS6detail17trampoline_kernelINS0_14default_configENS1_25partition_config_selectorILNS1_17partition_subalgoE5EiNS0_10empty_typeEbEEZZNS1_14partition_implILS5_5ELb0ES3_mPiPS6_N6thrust23THRUST_200600_302600_NS18transform_iteratorINSC_6detail9not_fun_tIN6dUtils8isNotOneIiEEEES9_NSC_11use_defaultESK_EENS0_5tupleIJS9_S6_EEENSM_IJSA_SA_EEES6_PlJS6_EEE10hipError_tPvRmT3_T4_T5_T6_T7_T9_mT8_P12ihipStream_tbDpT10_ENKUlT_T0_E_clISt17integral_constantIbLb1EES18_IbLb0EEEEDaS14_S15_EUlS14_E_NS1_11comp_targetILNS1_3genE9ELNS1_11target_archE1100ELNS1_3gpuE3ELNS1_3repE0EEENS1_30default_config_static_selectorELNS0_4arch9wavefront6targetE1EEEvT1_: ; @_ZN7rocprim17ROCPRIM_400000_NS6detail17trampoline_kernelINS0_14default_configENS1_25partition_config_selectorILNS1_17partition_subalgoE5EiNS0_10empty_typeEbEEZZNS1_14partition_implILS5_5ELb0ES3_mPiPS6_N6thrust23THRUST_200600_302600_NS18transform_iteratorINSC_6detail9not_fun_tIN6dUtils8isNotOneIiEEEES9_NSC_11use_defaultESK_EENS0_5tupleIJS9_S6_EEENSM_IJSA_SA_EEES6_PlJS6_EEE10hipError_tPvRmT3_T4_T5_T6_T7_T9_mT8_P12ihipStream_tbDpT10_ENKUlT_T0_E_clISt17integral_constantIbLb1EES18_IbLb0EEEEDaS14_S15_EUlS14_E_NS1_11comp_targetILNS1_3genE9ELNS1_11target_archE1100ELNS1_3gpuE3ELNS1_3repE0EEENS1_30default_config_static_selectorELNS0_4arch9wavefront6targetE1EEEvT1_
; %bb.0:
	.section	.rodata,"a",@progbits
	.p2align	6, 0x0
	.amdhsa_kernel _ZN7rocprim17ROCPRIM_400000_NS6detail17trampoline_kernelINS0_14default_configENS1_25partition_config_selectorILNS1_17partition_subalgoE5EiNS0_10empty_typeEbEEZZNS1_14partition_implILS5_5ELb0ES3_mPiPS6_N6thrust23THRUST_200600_302600_NS18transform_iteratorINSC_6detail9not_fun_tIN6dUtils8isNotOneIiEEEES9_NSC_11use_defaultESK_EENS0_5tupleIJS9_S6_EEENSM_IJSA_SA_EEES6_PlJS6_EEE10hipError_tPvRmT3_T4_T5_T6_T7_T9_mT8_P12ihipStream_tbDpT10_ENKUlT_T0_E_clISt17integral_constantIbLb1EES18_IbLb0EEEEDaS14_S15_EUlS14_E_NS1_11comp_targetILNS1_3genE9ELNS1_11target_archE1100ELNS1_3gpuE3ELNS1_3repE0EEENS1_30default_config_static_selectorELNS0_4arch9wavefront6targetE1EEEvT1_
		.amdhsa_group_segment_fixed_size 0
		.amdhsa_private_segment_fixed_size 0
		.amdhsa_kernarg_size 120
		.amdhsa_user_sgpr_count 6
		.amdhsa_user_sgpr_private_segment_buffer 1
		.amdhsa_user_sgpr_dispatch_ptr 0
		.amdhsa_user_sgpr_queue_ptr 0
		.amdhsa_user_sgpr_kernarg_segment_ptr 1
		.amdhsa_user_sgpr_dispatch_id 0
		.amdhsa_user_sgpr_flat_scratch_init 0
		.amdhsa_user_sgpr_kernarg_preload_length 0
		.amdhsa_user_sgpr_kernarg_preload_offset 0
		.amdhsa_user_sgpr_private_segment_size 0
		.amdhsa_uses_dynamic_stack 0
		.amdhsa_system_sgpr_private_segment_wavefront_offset 0
		.amdhsa_system_sgpr_workgroup_id_x 1
		.amdhsa_system_sgpr_workgroup_id_y 0
		.amdhsa_system_sgpr_workgroup_id_z 0
		.amdhsa_system_sgpr_workgroup_info 0
		.amdhsa_system_vgpr_workitem_id 0
		.amdhsa_next_free_vgpr 1
		.amdhsa_next_free_sgpr 0
		.amdhsa_accum_offset 4
		.amdhsa_reserve_vcc 0
		.amdhsa_reserve_flat_scratch 0
		.amdhsa_float_round_mode_32 0
		.amdhsa_float_round_mode_16_64 0
		.amdhsa_float_denorm_mode_32 3
		.amdhsa_float_denorm_mode_16_64 3
		.amdhsa_dx10_clamp 1
		.amdhsa_ieee_mode 1
		.amdhsa_fp16_overflow 0
		.amdhsa_tg_split 0
		.amdhsa_exception_fp_ieee_invalid_op 0
		.amdhsa_exception_fp_denorm_src 0
		.amdhsa_exception_fp_ieee_div_zero 0
		.amdhsa_exception_fp_ieee_overflow 0
		.amdhsa_exception_fp_ieee_underflow 0
		.amdhsa_exception_fp_ieee_inexact 0
		.amdhsa_exception_int_div_zero 0
	.end_amdhsa_kernel
	.section	.text._ZN7rocprim17ROCPRIM_400000_NS6detail17trampoline_kernelINS0_14default_configENS1_25partition_config_selectorILNS1_17partition_subalgoE5EiNS0_10empty_typeEbEEZZNS1_14partition_implILS5_5ELb0ES3_mPiPS6_N6thrust23THRUST_200600_302600_NS18transform_iteratorINSC_6detail9not_fun_tIN6dUtils8isNotOneIiEEEES9_NSC_11use_defaultESK_EENS0_5tupleIJS9_S6_EEENSM_IJSA_SA_EEES6_PlJS6_EEE10hipError_tPvRmT3_T4_T5_T6_T7_T9_mT8_P12ihipStream_tbDpT10_ENKUlT_T0_E_clISt17integral_constantIbLb1EES18_IbLb0EEEEDaS14_S15_EUlS14_E_NS1_11comp_targetILNS1_3genE9ELNS1_11target_archE1100ELNS1_3gpuE3ELNS1_3repE0EEENS1_30default_config_static_selectorELNS0_4arch9wavefront6targetE1EEEvT1_,"axG",@progbits,_ZN7rocprim17ROCPRIM_400000_NS6detail17trampoline_kernelINS0_14default_configENS1_25partition_config_selectorILNS1_17partition_subalgoE5EiNS0_10empty_typeEbEEZZNS1_14partition_implILS5_5ELb0ES3_mPiPS6_N6thrust23THRUST_200600_302600_NS18transform_iteratorINSC_6detail9not_fun_tIN6dUtils8isNotOneIiEEEES9_NSC_11use_defaultESK_EENS0_5tupleIJS9_S6_EEENSM_IJSA_SA_EEES6_PlJS6_EEE10hipError_tPvRmT3_T4_T5_T6_T7_T9_mT8_P12ihipStream_tbDpT10_ENKUlT_T0_E_clISt17integral_constantIbLb1EES18_IbLb0EEEEDaS14_S15_EUlS14_E_NS1_11comp_targetILNS1_3genE9ELNS1_11target_archE1100ELNS1_3gpuE3ELNS1_3repE0EEENS1_30default_config_static_selectorELNS0_4arch9wavefront6targetE1EEEvT1_,comdat
.Lfunc_end136:
	.size	_ZN7rocprim17ROCPRIM_400000_NS6detail17trampoline_kernelINS0_14default_configENS1_25partition_config_selectorILNS1_17partition_subalgoE5EiNS0_10empty_typeEbEEZZNS1_14partition_implILS5_5ELb0ES3_mPiPS6_N6thrust23THRUST_200600_302600_NS18transform_iteratorINSC_6detail9not_fun_tIN6dUtils8isNotOneIiEEEES9_NSC_11use_defaultESK_EENS0_5tupleIJS9_S6_EEENSM_IJSA_SA_EEES6_PlJS6_EEE10hipError_tPvRmT3_T4_T5_T6_T7_T9_mT8_P12ihipStream_tbDpT10_ENKUlT_T0_E_clISt17integral_constantIbLb1EES18_IbLb0EEEEDaS14_S15_EUlS14_E_NS1_11comp_targetILNS1_3genE9ELNS1_11target_archE1100ELNS1_3gpuE3ELNS1_3repE0EEENS1_30default_config_static_selectorELNS0_4arch9wavefront6targetE1EEEvT1_, .Lfunc_end136-_ZN7rocprim17ROCPRIM_400000_NS6detail17trampoline_kernelINS0_14default_configENS1_25partition_config_selectorILNS1_17partition_subalgoE5EiNS0_10empty_typeEbEEZZNS1_14partition_implILS5_5ELb0ES3_mPiPS6_N6thrust23THRUST_200600_302600_NS18transform_iteratorINSC_6detail9not_fun_tIN6dUtils8isNotOneIiEEEES9_NSC_11use_defaultESK_EENS0_5tupleIJS9_S6_EEENSM_IJSA_SA_EEES6_PlJS6_EEE10hipError_tPvRmT3_T4_T5_T6_T7_T9_mT8_P12ihipStream_tbDpT10_ENKUlT_T0_E_clISt17integral_constantIbLb1EES18_IbLb0EEEEDaS14_S15_EUlS14_E_NS1_11comp_targetILNS1_3genE9ELNS1_11target_archE1100ELNS1_3gpuE3ELNS1_3repE0EEENS1_30default_config_static_selectorELNS0_4arch9wavefront6targetE1EEEvT1_
                                        ; -- End function
	.section	.AMDGPU.csdata,"",@progbits
; Kernel info:
; codeLenInByte = 0
; NumSgprs: 4
; NumVgprs: 0
; NumAgprs: 0
; TotalNumVgprs: 0
; ScratchSize: 0
; MemoryBound: 0
; FloatMode: 240
; IeeeMode: 1
; LDSByteSize: 0 bytes/workgroup (compile time only)
; SGPRBlocks: 0
; VGPRBlocks: 0
; NumSGPRsForWavesPerEU: 4
; NumVGPRsForWavesPerEU: 1
; AccumOffset: 4
; Occupancy: 8
; WaveLimiterHint : 0
; COMPUTE_PGM_RSRC2:SCRATCH_EN: 0
; COMPUTE_PGM_RSRC2:USER_SGPR: 6
; COMPUTE_PGM_RSRC2:TRAP_HANDLER: 0
; COMPUTE_PGM_RSRC2:TGID_X_EN: 1
; COMPUTE_PGM_RSRC2:TGID_Y_EN: 0
; COMPUTE_PGM_RSRC2:TGID_Z_EN: 0
; COMPUTE_PGM_RSRC2:TIDIG_COMP_CNT: 0
; COMPUTE_PGM_RSRC3_GFX90A:ACCUM_OFFSET: 0
; COMPUTE_PGM_RSRC3_GFX90A:TG_SPLIT: 0
	.section	.text._ZN7rocprim17ROCPRIM_400000_NS6detail17trampoline_kernelINS0_14default_configENS1_25partition_config_selectorILNS1_17partition_subalgoE5EiNS0_10empty_typeEbEEZZNS1_14partition_implILS5_5ELb0ES3_mPiPS6_N6thrust23THRUST_200600_302600_NS18transform_iteratorINSC_6detail9not_fun_tIN6dUtils8isNotOneIiEEEES9_NSC_11use_defaultESK_EENS0_5tupleIJS9_S6_EEENSM_IJSA_SA_EEES6_PlJS6_EEE10hipError_tPvRmT3_T4_T5_T6_T7_T9_mT8_P12ihipStream_tbDpT10_ENKUlT_T0_E_clISt17integral_constantIbLb1EES18_IbLb0EEEEDaS14_S15_EUlS14_E_NS1_11comp_targetILNS1_3genE8ELNS1_11target_archE1030ELNS1_3gpuE2ELNS1_3repE0EEENS1_30default_config_static_selectorELNS0_4arch9wavefront6targetE1EEEvT1_,"axG",@progbits,_ZN7rocprim17ROCPRIM_400000_NS6detail17trampoline_kernelINS0_14default_configENS1_25partition_config_selectorILNS1_17partition_subalgoE5EiNS0_10empty_typeEbEEZZNS1_14partition_implILS5_5ELb0ES3_mPiPS6_N6thrust23THRUST_200600_302600_NS18transform_iteratorINSC_6detail9not_fun_tIN6dUtils8isNotOneIiEEEES9_NSC_11use_defaultESK_EENS0_5tupleIJS9_S6_EEENSM_IJSA_SA_EEES6_PlJS6_EEE10hipError_tPvRmT3_T4_T5_T6_T7_T9_mT8_P12ihipStream_tbDpT10_ENKUlT_T0_E_clISt17integral_constantIbLb1EES18_IbLb0EEEEDaS14_S15_EUlS14_E_NS1_11comp_targetILNS1_3genE8ELNS1_11target_archE1030ELNS1_3gpuE2ELNS1_3repE0EEENS1_30default_config_static_selectorELNS0_4arch9wavefront6targetE1EEEvT1_,comdat
	.protected	_ZN7rocprim17ROCPRIM_400000_NS6detail17trampoline_kernelINS0_14default_configENS1_25partition_config_selectorILNS1_17partition_subalgoE5EiNS0_10empty_typeEbEEZZNS1_14partition_implILS5_5ELb0ES3_mPiPS6_N6thrust23THRUST_200600_302600_NS18transform_iteratorINSC_6detail9not_fun_tIN6dUtils8isNotOneIiEEEES9_NSC_11use_defaultESK_EENS0_5tupleIJS9_S6_EEENSM_IJSA_SA_EEES6_PlJS6_EEE10hipError_tPvRmT3_T4_T5_T6_T7_T9_mT8_P12ihipStream_tbDpT10_ENKUlT_T0_E_clISt17integral_constantIbLb1EES18_IbLb0EEEEDaS14_S15_EUlS14_E_NS1_11comp_targetILNS1_3genE8ELNS1_11target_archE1030ELNS1_3gpuE2ELNS1_3repE0EEENS1_30default_config_static_selectorELNS0_4arch9wavefront6targetE1EEEvT1_ ; -- Begin function _ZN7rocprim17ROCPRIM_400000_NS6detail17trampoline_kernelINS0_14default_configENS1_25partition_config_selectorILNS1_17partition_subalgoE5EiNS0_10empty_typeEbEEZZNS1_14partition_implILS5_5ELb0ES3_mPiPS6_N6thrust23THRUST_200600_302600_NS18transform_iteratorINSC_6detail9not_fun_tIN6dUtils8isNotOneIiEEEES9_NSC_11use_defaultESK_EENS0_5tupleIJS9_S6_EEENSM_IJSA_SA_EEES6_PlJS6_EEE10hipError_tPvRmT3_T4_T5_T6_T7_T9_mT8_P12ihipStream_tbDpT10_ENKUlT_T0_E_clISt17integral_constantIbLb1EES18_IbLb0EEEEDaS14_S15_EUlS14_E_NS1_11comp_targetILNS1_3genE8ELNS1_11target_archE1030ELNS1_3gpuE2ELNS1_3repE0EEENS1_30default_config_static_selectorELNS0_4arch9wavefront6targetE1EEEvT1_
	.globl	_ZN7rocprim17ROCPRIM_400000_NS6detail17trampoline_kernelINS0_14default_configENS1_25partition_config_selectorILNS1_17partition_subalgoE5EiNS0_10empty_typeEbEEZZNS1_14partition_implILS5_5ELb0ES3_mPiPS6_N6thrust23THRUST_200600_302600_NS18transform_iteratorINSC_6detail9not_fun_tIN6dUtils8isNotOneIiEEEES9_NSC_11use_defaultESK_EENS0_5tupleIJS9_S6_EEENSM_IJSA_SA_EEES6_PlJS6_EEE10hipError_tPvRmT3_T4_T5_T6_T7_T9_mT8_P12ihipStream_tbDpT10_ENKUlT_T0_E_clISt17integral_constantIbLb1EES18_IbLb0EEEEDaS14_S15_EUlS14_E_NS1_11comp_targetILNS1_3genE8ELNS1_11target_archE1030ELNS1_3gpuE2ELNS1_3repE0EEENS1_30default_config_static_selectorELNS0_4arch9wavefront6targetE1EEEvT1_
	.p2align	8
	.type	_ZN7rocprim17ROCPRIM_400000_NS6detail17trampoline_kernelINS0_14default_configENS1_25partition_config_selectorILNS1_17partition_subalgoE5EiNS0_10empty_typeEbEEZZNS1_14partition_implILS5_5ELb0ES3_mPiPS6_N6thrust23THRUST_200600_302600_NS18transform_iteratorINSC_6detail9not_fun_tIN6dUtils8isNotOneIiEEEES9_NSC_11use_defaultESK_EENS0_5tupleIJS9_S6_EEENSM_IJSA_SA_EEES6_PlJS6_EEE10hipError_tPvRmT3_T4_T5_T6_T7_T9_mT8_P12ihipStream_tbDpT10_ENKUlT_T0_E_clISt17integral_constantIbLb1EES18_IbLb0EEEEDaS14_S15_EUlS14_E_NS1_11comp_targetILNS1_3genE8ELNS1_11target_archE1030ELNS1_3gpuE2ELNS1_3repE0EEENS1_30default_config_static_selectorELNS0_4arch9wavefront6targetE1EEEvT1_,@function
_ZN7rocprim17ROCPRIM_400000_NS6detail17trampoline_kernelINS0_14default_configENS1_25partition_config_selectorILNS1_17partition_subalgoE5EiNS0_10empty_typeEbEEZZNS1_14partition_implILS5_5ELb0ES3_mPiPS6_N6thrust23THRUST_200600_302600_NS18transform_iteratorINSC_6detail9not_fun_tIN6dUtils8isNotOneIiEEEES9_NSC_11use_defaultESK_EENS0_5tupleIJS9_S6_EEENSM_IJSA_SA_EEES6_PlJS6_EEE10hipError_tPvRmT3_T4_T5_T6_T7_T9_mT8_P12ihipStream_tbDpT10_ENKUlT_T0_E_clISt17integral_constantIbLb1EES18_IbLb0EEEEDaS14_S15_EUlS14_E_NS1_11comp_targetILNS1_3genE8ELNS1_11target_archE1030ELNS1_3gpuE2ELNS1_3repE0EEENS1_30default_config_static_selectorELNS0_4arch9wavefront6targetE1EEEvT1_: ; @_ZN7rocprim17ROCPRIM_400000_NS6detail17trampoline_kernelINS0_14default_configENS1_25partition_config_selectorILNS1_17partition_subalgoE5EiNS0_10empty_typeEbEEZZNS1_14partition_implILS5_5ELb0ES3_mPiPS6_N6thrust23THRUST_200600_302600_NS18transform_iteratorINSC_6detail9not_fun_tIN6dUtils8isNotOneIiEEEES9_NSC_11use_defaultESK_EENS0_5tupleIJS9_S6_EEENSM_IJSA_SA_EEES6_PlJS6_EEE10hipError_tPvRmT3_T4_T5_T6_T7_T9_mT8_P12ihipStream_tbDpT10_ENKUlT_T0_E_clISt17integral_constantIbLb1EES18_IbLb0EEEEDaS14_S15_EUlS14_E_NS1_11comp_targetILNS1_3genE8ELNS1_11target_archE1030ELNS1_3gpuE2ELNS1_3repE0EEENS1_30default_config_static_selectorELNS0_4arch9wavefront6targetE1EEEvT1_
; %bb.0:
	.section	.rodata,"a",@progbits
	.p2align	6, 0x0
	.amdhsa_kernel _ZN7rocprim17ROCPRIM_400000_NS6detail17trampoline_kernelINS0_14default_configENS1_25partition_config_selectorILNS1_17partition_subalgoE5EiNS0_10empty_typeEbEEZZNS1_14partition_implILS5_5ELb0ES3_mPiPS6_N6thrust23THRUST_200600_302600_NS18transform_iteratorINSC_6detail9not_fun_tIN6dUtils8isNotOneIiEEEES9_NSC_11use_defaultESK_EENS0_5tupleIJS9_S6_EEENSM_IJSA_SA_EEES6_PlJS6_EEE10hipError_tPvRmT3_T4_T5_T6_T7_T9_mT8_P12ihipStream_tbDpT10_ENKUlT_T0_E_clISt17integral_constantIbLb1EES18_IbLb0EEEEDaS14_S15_EUlS14_E_NS1_11comp_targetILNS1_3genE8ELNS1_11target_archE1030ELNS1_3gpuE2ELNS1_3repE0EEENS1_30default_config_static_selectorELNS0_4arch9wavefront6targetE1EEEvT1_
		.amdhsa_group_segment_fixed_size 0
		.amdhsa_private_segment_fixed_size 0
		.amdhsa_kernarg_size 120
		.amdhsa_user_sgpr_count 6
		.amdhsa_user_sgpr_private_segment_buffer 1
		.amdhsa_user_sgpr_dispatch_ptr 0
		.amdhsa_user_sgpr_queue_ptr 0
		.amdhsa_user_sgpr_kernarg_segment_ptr 1
		.amdhsa_user_sgpr_dispatch_id 0
		.amdhsa_user_sgpr_flat_scratch_init 0
		.amdhsa_user_sgpr_kernarg_preload_length 0
		.amdhsa_user_sgpr_kernarg_preload_offset 0
		.amdhsa_user_sgpr_private_segment_size 0
		.amdhsa_uses_dynamic_stack 0
		.amdhsa_system_sgpr_private_segment_wavefront_offset 0
		.amdhsa_system_sgpr_workgroup_id_x 1
		.amdhsa_system_sgpr_workgroup_id_y 0
		.amdhsa_system_sgpr_workgroup_id_z 0
		.amdhsa_system_sgpr_workgroup_info 0
		.amdhsa_system_vgpr_workitem_id 0
		.amdhsa_next_free_vgpr 1
		.amdhsa_next_free_sgpr 0
		.amdhsa_accum_offset 4
		.amdhsa_reserve_vcc 0
		.amdhsa_reserve_flat_scratch 0
		.amdhsa_float_round_mode_32 0
		.amdhsa_float_round_mode_16_64 0
		.amdhsa_float_denorm_mode_32 3
		.amdhsa_float_denorm_mode_16_64 3
		.amdhsa_dx10_clamp 1
		.amdhsa_ieee_mode 1
		.amdhsa_fp16_overflow 0
		.amdhsa_tg_split 0
		.amdhsa_exception_fp_ieee_invalid_op 0
		.amdhsa_exception_fp_denorm_src 0
		.amdhsa_exception_fp_ieee_div_zero 0
		.amdhsa_exception_fp_ieee_overflow 0
		.amdhsa_exception_fp_ieee_underflow 0
		.amdhsa_exception_fp_ieee_inexact 0
		.amdhsa_exception_int_div_zero 0
	.end_amdhsa_kernel
	.section	.text._ZN7rocprim17ROCPRIM_400000_NS6detail17trampoline_kernelINS0_14default_configENS1_25partition_config_selectorILNS1_17partition_subalgoE5EiNS0_10empty_typeEbEEZZNS1_14partition_implILS5_5ELb0ES3_mPiPS6_N6thrust23THRUST_200600_302600_NS18transform_iteratorINSC_6detail9not_fun_tIN6dUtils8isNotOneIiEEEES9_NSC_11use_defaultESK_EENS0_5tupleIJS9_S6_EEENSM_IJSA_SA_EEES6_PlJS6_EEE10hipError_tPvRmT3_T4_T5_T6_T7_T9_mT8_P12ihipStream_tbDpT10_ENKUlT_T0_E_clISt17integral_constantIbLb1EES18_IbLb0EEEEDaS14_S15_EUlS14_E_NS1_11comp_targetILNS1_3genE8ELNS1_11target_archE1030ELNS1_3gpuE2ELNS1_3repE0EEENS1_30default_config_static_selectorELNS0_4arch9wavefront6targetE1EEEvT1_,"axG",@progbits,_ZN7rocprim17ROCPRIM_400000_NS6detail17trampoline_kernelINS0_14default_configENS1_25partition_config_selectorILNS1_17partition_subalgoE5EiNS0_10empty_typeEbEEZZNS1_14partition_implILS5_5ELb0ES3_mPiPS6_N6thrust23THRUST_200600_302600_NS18transform_iteratorINSC_6detail9not_fun_tIN6dUtils8isNotOneIiEEEES9_NSC_11use_defaultESK_EENS0_5tupleIJS9_S6_EEENSM_IJSA_SA_EEES6_PlJS6_EEE10hipError_tPvRmT3_T4_T5_T6_T7_T9_mT8_P12ihipStream_tbDpT10_ENKUlT_T0_E_clISt17integral_constantIbLb1EES18_IbLb0EEEEDaS14_S15_EUlS14_E_NS1_11comp_targetILNS1_3genE8ELNS1_11target_archE1030ELNS1_3gpuE2ELNS1_3repE0EEENS1_30default_config_static_selectorELNS0_4arch9wavefront6targetE1EEEvT1_,comdat
.Lfunc_end137:
	.size	_ZN7rocprim17ROCPRIM_400000_NS6detail17trampoline_kernelINS0_14default_configENS1_25partition_config_selectorILNS1_17partition_subalgoE5EiNS0_10empty_typeEbEEZZNS1_14partition_implILS5_5ELb0ES3_mPiPS6_N6thrust23THRUST_200600_302600_NS18transform_iteratorINSC_6detail9not_fun_tIN6dUtils8isNotOneIiEEEES9_NSC_11use_defaultESK_EENS0_5tupleIJS9_S6_EEENSM_IJSA_SA_EEES6_PlJS6_EEE10hipError_tPvRmT3_T4_T5_T6_T7_T9_mT8_P12ihipStream_tbDpT10_ENKUlT_T0_E_clISt17integral_constantIbLb1EES18_IbLb0EEEEDaS14_S15_EUlS14_E_NS1_11comp_targetILNS1_3genE8ELNS1_11target_archE1030ELNS1_3gpuE2ELNS1_3repE0EEENS1_30default_config_static_selectorELNS0_4arch9wavefront6targetE1EEEvT1_, .Lfunc_end137-_ZN7rocprim17ROCPRIM_400000_NS6detail17trampoline_kernelINS0_14default_configENS1_25partition_config_selectorILNS1_17partition_subalgoE5EiNS0_10empty_typeEbEEZZNS1_14partition_implILS5_5ELb0ES3_mPiPS6_N6thrust23THRUST_200600_302600_NS18transform_iteratorINSC_6detail9not_fun_tIN6dUtils8isNotOneIiEEEES9_NSC_11use_defaultESK_EENS0_5tupleIJS9_S6_EEENSM_IJSA_SA_EEES6_PlJS6_EEE10hipError_tPvRmT3_T4_T5_T6_T7_T9_mT8_P12ihipStream_tbDpT10_ENKUlT_T0_E_clISt17integral_constantIbLb1EES18_IbLb0EEEEDaS14_S15_EUlS14_E_NS1_11comp_targetILNS1_3genE8ELNS1_11target_archE1030ELNS1_3gpuE2ELNS1_3repE0EEENS1_30default_config_static_selectorELNS0_4arch9wavefront6targetE1EEEvT1_
                                        ; -- End function
	.section	.AMDGPU.csdata,"",@progbits
; Kernel info:
; codeLenInByte = 0
; NumSgprs: 4
; NumVgprs: 0
; NumAgprs: 0
; TotalNumVgprs: 0
; ScratchSize: 0
; MemoryBound: 0
; FloatMode: 240
; IeeeMode: 1
; LDSByteSize: 0 bytes/workgroup (compile time only)
; SGPRBlocks: 0
; VGPRBlocks: 0
; NumSGPRsForWavesPerEU: 4
; NumVGPRsForWavesPerEU: 1
; AccumOffset: 4
; Occupancy: 8
; WaveLimiterHint : 0
; COMPUTE_PGM_RSRC2:SCRATCH_EN: 0
; COMPUTE_PGM_RSRC2:USER_SGPR: 6
; COMPUTE_PGM_RSRC2:TRAP_HANDLER: 0
; COMPUTE_PGM_RSRC2:TGID_X_EN: 1
; COMPUTE_PGM_RSRC2:TGID_Y_EN: 0
; COMPUTE_PGM_RSRC2:TGID_Z_EN: 0
; COMPUTE_PGM_RSRC2:TIDIG_COMP_CNT: 0
; COMPUTE_PGM_RSRC3_GFX90A:ACCUM_OFFSET: 0
; COMPUTE_PGM_RSRC3_GFX90A:TG_SPLIT: 0
	.section	.text._ZN7rocprim17ROCPRIM_400000_NS6detail31init_lookback_scan_state_kernelINS1_19lookback_scan_stateImLb0ELb1EEENS1_16block_id_wrapperIjLb1EEEEEvT_jT0_jPNS7_10value_typeE,"axG",@progbits,_ZN7rocprim17ROCPRIM_400000_NS6detail31init_lookback_scan_state_kernelINS1_19lookback_scan_stateImLb0ELb1EEENS1_16block_id_wrapperIjLb1EEEEEvT_jT0_jPNS7_10value_typeE,comdat
	.protected	_ZN7rocprim17ROCPRIM_400000_NS6detail31init_lookback_scan_state_kernelINS1_19lookback_scan_stateImLb0ELb1EEENS1_16block_id_wrapperIjLb1EEEEEvT_jT0_jPNS7_10value_typeE ; -- Begin function _ZN7rocprim17ROCPRIM_400000_NS6detail31init_lookback_scan_state_kernelINS1_19lookback_scan_stateImLb0ELb1EEENS1_16block_id_wrapperIjLb1EEEEEvT_jT0_jPNS7_10value_typeE
	.globl	_ZN7rocprim17ROCPRIM_400000_NS6detail31init_lookback_scan_state_kernelINS1_19lookback_scan_stateImLb0ELb1EEENS1_16block_id_wrapperIjLb1EEEEEvT_jT0_jPNS7_10value_typeE
	.p2align	8
	.type	_ZN7rocprim17ROCPRIM_400000_NS6detail31init_lookback_scan_state_kernelINS1_19lookback_scan_stateImLb0ELb1EEENS1_16block_id_wrapperIjLb1EEEEEvT_jT0_jPNS7_10value_typeE,@function
_ZN7rocprim17ROCPRIM_400000_NS6detail31init_lookback_scan_state_kernelINS1_19lookback_scan_stateImLb0ELb1EEENS1_16block_id_wrapperIjLb1EEEEEvT_jT0_jPNS7_10value_typeE: ; @_ZN7rocprim17ROCPRIM_400000_NS6detail31init_lookback_scan_state_kernelINS1_19lookback_scan_stateImLb0ELb1EEENS1_16block_id_wrapperIjLb1EEEEEvT_jT0_jPNS7_10value_typeE
; %bb.0:
	s_load_dword s7, s[4:5], 0x34
	s_load_dwordx2 s[2:3], s[4:5], 0x20
	s_load_dwordx2 s[0:1], s[4:5], 0x0
	s_load_dword s14, s[4:5], 0x8
	s_waitcnt lgkmcnt(0)
	s_and_b32 s7, s7, 0xffff
	s_mul_i32 s6, s6, s7
	s_cmp_eq_u64 s[2:3], 0
	v_add_u32_e32 v0, s6, v0
	s_cbranch_scc1 .LBB138_8
; %bb.1:
	s_load_dword s8, s[4:5], 0x18
	s_mov_b32 s9, 0
	s_waitcnt lgkmcnt(0)
	s_cmp_lt_u32 s8, s14
	s_cselect_b32 s6, s8, 0
	v_cmp_eq_u32_e32 vcc, s6, v0
	s_and_saveexec_b64 s[6:7], vcc
	s_cbranch_execz .LBB138_7
; %bb.2:
	s_add_i32 s8, s8, 64
	s_lshl_b64 s[8:9], s[8:9], 4
	s_add_u32 s12, s0, s8
	s_addc_u32 s13, s1, s9
	v_pk_mov_b32 v[2:3], s[12:13], s[12:13] op_sel:[0,1]
	;;#ASMSTART
	global_load_dwordx4 v[2:5], v[2:3] off glc	
s_waitcnt vmcnt(0)
	;;#ASMEND
	v_mov_b32_e32 v7, 0
	v_and_b32_e32 v6, 0xff, v4
	s_mov_b64 s[10:11], 0
	v_cmp_eq_u64_e32 vcc, 0, v[6:7]
	s_and_saveexec_b64 s[8:9], vcc
	s_cbranch_execz .LBB138_6
; %bb.3:
	v_pk_mov_b32 v[8:9], s[12:13], s[12:13] op_sel:[0,1]
.LBB138_4:                              ; =>This Inner Loop Header: Depth=1
	;;#ASMSTART
	global_load_dwordx4 v[2:5], v[8:9] off glc	
s_waitcnt vmcnt(0)
	;;#ASMEND
	v_and_b32_e32 v6, 0xff, v4
	v_cmp_ne_u64_e32 vcc, 0, v[6:7]
	s_or_b64 s[10:11], vcc, s[10:11]
	s_andn2_b64 exec, exec, s[10:11]
	s_cbranch_execnz .LBB138_4
; %bb.5:
	s_or_b64 exec, exec, s[10:11]
.LBB138_6:
	s_or_b64 exec, exec, s[8:9]
	v_mov_b32_e32 v1, 0
	global_store_dwordx2 v1, v[2:3], s[2:3]
.LBB138_7:
	s_or_b64 exec, exec, s[6:7]
.LBB138_8:
	v_cmp_eq_u32_e32 vcc, 0, v0
	s_and_saveexec_b64 s[2:3], vcc
	s_cbranch_execnz .LBB138_12
; %bb.9:
	s_or_b64 exec, exec, s[2:3]
	v_cmp_gt_u32_e32 vcc, s14, v0
	s_and_saveexec_b64 s[2:3], vcc
	s_cbranch_execnz .LBB138_13
.LBB138_10:
	s_or_b64 exec, exec, s[2:3]
	v_cmp_gt_u32_e32 vcc, 64, v0
	s_and_saveexec_b64 s[2:3], vcc
	s_cbranch_execnz .LBB138_14
.LBB138_11:
	s_endpgm
.LBB138_12:
	s_load_dwordx2 s[4:5], s[4:5], 0x10
	v_mov_b32_e32 v1, 0
	s_waitcnt lgkmcnt(0)
	global_store_dword v1, v1, s[4:5]
	s_or_b64 exec, exec, s[2:3]
	v_cmp_gt_u32_e32 vcc, s14, v0
	s_and_saveexec_b64 s[2:3], vcc
	s_cbranch_execz .LBB138_10
.LBB138_13:
	v_add_u32_e32 v2, 64, v0
	v_mov_b32_e32 v3, 0
	v_lshlrev_b64 v[4:5], 4, v[2:3]
	v_mov_b32_e32 v1, s1
	v_add_co_u32_e32 v6, vcc, s0, v4
	v_addc_co_u32_e32 v7, vcc, v1, v5, vcc
	v_mov_b32_e32 v2, v3
	v_mov_b32_e32 v4, v3
	;; [unrolled: 1-line block ×3, first 2 shown]
	global_store_dwordx4 v[6:7], v[2:5], off
	s_or_b64 exec, exec, s[2:3]
	v_cmp_gt_u32_e32 vcc, 64, v0
	s_and_saveexec_b64 s[2:3], vcc
	s_cbranch_execz .LBB138_11
.LBB138_14:
	v_mov_b32_e32 v1, 0
	v_lshlrev_b64 v[2:3], 4, v[0:1]
	v_mov_b32_e32 v0, s1
	v_add_co_u32_e32 v4, vcc, s0, v2
	v_addc_co_u32_e32 v5, vcc, v0, v3, vcc
	v_mov_b32_e32 v2, 0xff
	v_mov_b32_e32 v0, v1
	;; [unrolled: 1-line block ×3, first 2 shown]
	global_store_dwordx4 v[4:5], v[0:3], off
	s_endpgm
	.section	.rodata,"a",@progbits
	.p2align	6, 0x0
	.amdhsa_kernel _ZN7rocprim17ROCPRIM_400000_NS6detail31init_lookback_scan_state_kernelINS1_19lookback_scan_stateImLb0ELb1EEENS1_16block_id_wrapperIjLb1EEEEEvT_jT0_jPNS7_10value_typeE
		.amdhsa_group_segment_fixed_size 0
		.amdhsa_private_segment_fixed_size 0
		.amdhsa_kernarg_size 296
		.amdhsa_user_sgpr_count 6
		.amdhsa_user_sgpr_private_segment_buffer 1
		.amdhsa_user_sgpr_dispatch_ptr 0
		.amdhsa_user_sgpr_queue_ptr 0
		.amdhsa_user_sgpr_kernarg_segment_ptr 1
		.amdhsa_user_sgpr_dispatch_id 0
		.amdhsa_user_sgpr_flat_scratch_init 0
		.amdhsa_user_sgpr_kernarg_preload_length 0
		.amdhsa_user_sgpr_kernarg_preload_offset 0
		.amdhsa_user_sgpr_private_segment_size 0
		.amdhsa_uses_dynamic_stack 0
		.amdhsa_system_sgpr_private_segment_wavefront_offset 0
		.amdhsa_system_sgpr_workgroup_id_x 1
		.amdhsa_system_sgpr_workgroup_id_y 0
		.amdhsa_system_sgpr_workgroup_id_z 0
		.amdhsa_system_sgpr_workgroup_info 0
		.amdhsa_system_vgpr_workitem_id 0
		.amdhsa_next_free_vgpr 10
		.amdhsa_next_free_sgpr 15
		.amdhsa_accum_offset 12
		.amdhsa_reserve_vcc 1
		.amdhsa_reserve_flat_scratch 0
		.amdhsa_float_round_mode_32 0
		.amdhsa_float_round_mode_16_64 0
		.amdhsa_float_denorm_mode_32 3
		.amdhsa_float_denorm_mode_16_64 3
		.amdhsa_dx10_clamp 1
		.amdhsa_ieee_mode 1
		.amdhsa_fp16_overflow 0
		.amdhsa_tg_split 0
		.amdhsa_exception_fp_ieee_invalid_op 0
		.amdhsa_exception_fp_denorm_src 0
		.amdhsa_exception_fp_ieee_div_zero 0
		.amdhsa_exception_fp_ieee_overflow 0
		.amdhsa_exception_fp_ieee_underflow 0
		.amdhsa_exception_fp_ieee_inexact 0
		.amdhsa_exception_int_div_zero 0
	.end_amdhsa_kernel
	.section	.text._ZN7rocprim17ROCPRIM_400000_NS6detail31init_lookback_scan_state_kernelINS1_19lookback_scan_stateImLb0ELb1EEENS1_16block_id_wrapperIjLb1EEEEEvT_jT0_jPNS7_10value_typeE,"axG",@progbits,_ZN7rocprim17ROCPRIM_400000_NS6detail31init_lookback_scan_state_kernelINS1_19lookback_scan_stateImLb0ELb1EEENS1_16block_id_wrapperIjLb1EEEEEvT_jT0_jPNS7_10value_typeE,comdat
.Lfunc_end138:
	.size	_ZN7rocprim17ROCPRIM_400000_NS6detail31init_lookback_scan_state_kernelINS1_19lookback_scan_stateImLb0ELb1EEENS1_16block_id_wrapperIjLb1EEEEEvT_jT0_jPNS7_10value_typeE, .Lfunc_end138-_ZN7rocprim17ROCPRIM_400000_NS6detail31init_lookback_scan_state_kernelINS1_19lookback_scan_stateImLb0ELb1EEENS1_16block_id_wrapperIjLb1EEEEEvT_jT0_jPNS7_10value_typeE
                                        ; -- End function
	.section	.AMDGPU.csdata,"",@progbits
; Kernel info:
; codeLenInByte = 440
; NumSgprs: 19
; NumVgprs: 10
; NumAgprs: 0
; TotalNumVgprs: 10
; ScratchSize: 0
; MemoryBound: 0
; FloatMode: 240
; IeeeMode: 1
; LDSByteSize: 0 bytes/workgroup (compile time only)
; SGPRBlocks: 2
; VGPRBlocks: 1
; NumSGPRsForWavesPerEU: 19
; NumVGPRsForWavesPerEU: 10
; AccumOffset: 12
; Occupancy: 8
; WaveLimiterHint : 0
; COMPUTE_PGM_RSRC2:SCRATCH_EN: 0
; COMPUTE_PGM_RSRC2:USER_SGPR: 6
; COMPUTE_PGM_RSRC2:TRAP_HANDLER: 0
; COMPUTE_PGM_RSRC2:TGID_X_EN: 1
; COMPUTE_PGM_RSRC2:TGID_Y_EN: 0
; COMPUTE_PGM_RSRC2:TGID_Z_EN: 0
; COMPUTE_PGM_RSRC2:TIDIG_COMP_CNT: 0
; COMPUTE_PGM_RSRC3_GFX90A:ACCUM_OFFSET: 2
; COMPUTE_PGM_RSRC3_GFX90A:TG_SPLIT: 0
	.section	.text._ZN7rocprim17ROCPRIM_400000_NS6detail17trampoline_kernelINS0_14default_configENS1_25partition_config_selectorILNS1_17partition_subalgoE5EiNS0_10empty_typeEbEEZZNS1_14partition_implILS5_5ELb0ES3_mPiPS6_N6thrust23THRUST_200600_302600_NS18transform_iteratorINSC_6detail9not_fun_tIN6dUtils8isNotOneIiEEEES9_NSC_11use_defaultESK_EENS0_5tupleIJS9_S6_EEENSM_IJSA_SA_EEES6_PlJS6_EEE10hipError_tPvRmT3_T4_T5_T6_T7_T9_mT8_P12ihipStream_tbDpT10_ENKUlT_T0_E_clISt17integral_constantIbLb0EES18_IbLb1EEEEDaS14_S15_EUlS14_E_NS1_11comp_targetILNS1_3genE0ELNS1_11target_archE4294967295ELNS1_3gpuE0ELNS1_3repE0EEENS1_30default_config_static_selectorELNS0_4arch9wavefront6targetE1EEEvT1_,"axG",@progbits,_ZN7rocprim17ROCPRIM_400000_NS6detail17trampoline_kernelINS0_14default_configENS1_25partition_config_selectorILNS1_17partition_subalgoE5EiNS0_10empty_typeEbEEZZNS1_14partition_implILS5_5ELb0ES3_mPiPS6_N6thrust23THRUST_200600_302600_NS18transform_iteratorINSC_6detail9not_fun_tIN6dUtils8isNotOneIiEEEES9_NSC_11use_defaultESK_EENS0_5tupleIJS9_S6_EEENSM_IJSA_SA_EEES6_PlJS6_EEE10hipError_tPvRmT3_T4_T5_T6_T7_T9_mT8_P12ihipStream_tbDpT10_ENKUlT_T0_E_clISt17integral_constantIbLb0EES18_IbLb1EEEEDaS14_S15_EUlS14_E_NS1_11comp_targetILNS1_3genE0ELNS1_11target_archE4294967295ELNS1_3gpuE0ELNS1_3repE0EEENS1_30default_config_static_selectorELNS0_4arch9wavefront6targetE1EEEvT1_,comdat
	.protected	_ZN7rocprim17ROCPRIM_400000_NS6detail17trampoline_kernelINS0_14default_configENS1_25partition_config_selectorILNS1_17partition_subalgoE5EiNS0_10empty_typeEbEEZZNS1_14partition_implILS5_5ELb0ES3_mPiPS6_N6thrust23THRUST_200600_302600_NS18transform_iteratorINSC_6detail9not_fun_tIN6dUtils8isNotOneIiEEEES9_NSC_11use_defaultESK_EENS0_5tupleIJS9_S6_EEENSM_IJSA_SA_EEES6_PlJS6_EEE10hipError_tPvRmT3_T4_T5_T6_T7_T9_mT8_P12ihipStream_tbDpT10_ENKUlT_T0_E_clISt17integral_constantIbLb0EES18_IbLb1EEEEDaS14_S15_EUlS14_E_NS1_11comp_targetILNS1_3genE0ELNS1_11target_archE4294967295ELNS1_3gpuE0ELNS1_3repE0EEENS1_30default_config_static_selectorELNS0_4arch9wavefront6targetE1EEEvT1_ ; -- Begin function _ZN7rocprim17ROCPRIM_400000_NS6detail17trampoline_kernelINS0_14default_configENS1_25partition_config_selectorILNS1_17partition_subalgoE5EiNS0_10empty_typeEbEEZZNS1_14partition_implILS5_5ELb0ES3_mPiPS6_N6thrust23THRUST_200600_302600_NS18transform_iteratorINSC_6detail9not_fun_tIN6dUtils8isNotOneIiEEEES9_NSC_11use_defaultESK_EENS0_5tupleIJS9_S6_EEENSM_IJSA_SA_EEES6_PlJS6_EEE10hipError_tPvRmT3_T4_T5_T6_T7_T9_mT8_P12ihipStream_tbDpT10_ENKUlT_T0_E_clISt17integral_constantIbLb0EES18_IbLb1EEEEDaS14_S15_EUlS14_E_NS1_11comp_targetILNS1_3genE0ELNS1_11target_archE4294967295ELNS1_3gpuE0ELNS1_3repE0EEENS1_30default_config_static_selectorELNS0_4arch9wavefront6targetE1EEEvT1_
	.globl	_ZN7rocprim17ROCPRIM_400000_NS6detail17trampoline_kernelINS0_14default_configENS1_25partition_config_selectorILNS1_17partition_subalgoE5EiNS0_10empty_typeEbEEZZNS1_14partition_implILS5_5ELb0ES3_mPiPS6_N6thrust23THRUST_200600_302600_NS18transform_iteratorINSC_6detail9not_fun_tIN6dUtils8isNotOneIiEEEES9_NSC_11use_defaultESK_EENS0_5tupleIJS9_S6_EEENSM_IJSA_SA_EEES6_PlJS6_EEE10hipError_tPvRmT3_T4_T5_T6_T7_T9_mT8_P12ihipStream_tbDpT10_ENKUlT_T0_E_clISt17integral_constantIbLb0EES18_IbLb1EEEEDaS14_S15_EUlS14_E_NS1_11comp_targetILNS1_3genE0ELNS1_11target_archE4294967295ELNS1_3gpuE0ELNS1_3repE0EEENS1_30default_config_static_selectorELNS0_4arch9wavefront6targetE1EEEvT1_
	.p2align	8
	.type	_ZN7rocprim17ROCPRIM_400000_NS6detail17trampoline_kernelINS0_14default_configENS1_25partition_config_selectorILNS1_17partition_subalgoE5EiNS0_10empty_typeEbEEZZNS1_14partition_implILS5_5ELb0ES3_mPiPS6_N6thrust23THRUST_200600_302600_NS18transform_iteratorINSC_6detail9not_fun_tIN6dUtils8isNotOneIiEEEES9_NSC_11use_defaultESK_EENS0_5tupleIJS9_S6_EEENSM_IJSA_SA_EEES6_PlJS6_EEE10hipError_tPvRmT3_T4_T5_T6_T7_T9_mT8_P12ihipStream_tbDpT10_ENKUlT_T0_E_clISt17integral_constantIbLb0EES18_IbLb1EEEEDaS14_S15_EUlS14_E_NS1_11comp_targetILNS1_3genE0ELNS1_11target_archE4294967295ELNS1_3gpuE0ELNS1_3repE0EEENS1_30default_config_static_selectorELNS0_4arch9wavefront6targetE1EEEvT1_,@function
_ZN7rocprim17ROCPRIM_400000_NS6detail17trampoline_kernelINS0_14default_configENS1_25partition_config_selectorILNS1_17partition_subalgoE5EiNS0_10empty_typeEbEEZZNS1_14partition_implILS5_5ELb0ES3_mPiPS6_N6thrust23THRUST_200600_302600_NS18transform_iteratorINSC_6detail9not_fun_tIN6dUtils8isNotOneIiEEEES9_NSC_11use_defaultESK_EENS0_5tupleIJS9_S6_EEENSM_IJSA_SA_EEES6_PlJS6_EEE10hipError_tPvRmT3_T4_T5_T6_T7_T9_mT8_P12ihipStream_tbDpT10_ENKUlT_T0_E_clISt17integral_constantIbLb0EES18_IbLb1EEEEDaS14_S15_EUlS14_E_NS1_11comp_targetILNS1_3genE0ELNS1_11target_archE4294967295ELNS1_3gpuE0ELNS1_3repE0EEENS1_30default_config_static_selectorELNS0_4arch9wavefront6targetE1EEEvT1_: ; @_ZN7rocprim17ROCPRIM_400000_NS6detail17trampoline_kernelINS0_14default_configENS1_25partition_config_selectorILNS1_17partition_subalgoE5EiNS0_10empty_typeEbEEZZNS1_14partition_implILS5_5ELb0ES3_mPiPS6_N6thrust23THRUST_200600_302600_NS18transform_iteratorINSC_6detail9not_fun_tIN6dUtils8isNotOneIiEEEES9_NSC_11use_defaultESK_EENS0_5tupleIJS9_S6_EEENSM_IJSA_SA_EEES6_PlJS6_EEE10hipError_tPvRmT3_T4_T5_T6_T7_T9_mT8_P12ihipStream_tbDpT10_ENKUlT_T0_E_clISt17integral_constantIbLb0EES18_IbLb1EEEEDaS14_S15_EUlS14_E_NS1_11comp_targetILNS1_3genE0ELNS1_11target_archE4294967295ELNS1_3gpuE0ELNS1_3repE0EEENS1_30default_config_static_selectorELNS0_4arch9wavefront6targetE1EEEvT1_
; %bb.0:
	.section	.rodata,"a",@progbits
	.p2align	6, 0x0
	.amdhsa_kernel _ZN7rocprim17ROCPRIM_400000_NS6detail17trampoline_kernelINS0_14default_configENS1_25partition_config_selectorILNS1_17partition_subalgoE5EiNS0_10empty_typeEbEEZZNS1_14partition_implILS5_5ELb0ES3_mPiPS6_N6thrust23THRUST_200600_302600_NS18transform_iteratorINSC_6detail9not_fun_tIN6dUtils8isNotOneIiEEEES9_NSC_11use_defaultESK_EENS0_5tupleIJS9_S6_EEENSM_IJSA_SA_EEES6_PlJS6_EEE10hipError_tPvRmT3_T4_T5_T6_T7_T9_mT8_P12ihipStream_tbDpT10_ENKUlT_T0_E_clISt17integral_constantIbLb0EES18_IbLb1EEEEDaS14_S15_EUlS14_E_NS1_11comp_targetILNS1_3genE0ELNS1_11target_archE4294967295ELNS1_3gpuE0ELNS1_3repE0EEENS1_30default_config_static_selectorELNS0_4arch9wavefront6targetE1EEEvT1_
		.amdhsa_group_segment_fixed_size 0
		.amdhsa_private_segment_fixed_size 0
		.amdhsa_kernarg_size 136
		.amdhsa_user_sgpr_count 6
		.amdhsa_user_sgpr_private_segment_buffer 1
		.amdhsa_user_sgpr_dispatch_ptr 0
		.amdhsa_user_sgpr_queue_ptr 0
		.amdhsa_user_sgpr_kernarg_segment_ptr 1
		.amdhsa_user_sgpr_dispatch_id 0
		.amdhsa_user_sgpr_flat_scratch_init 0
		.amdhsa_user_sgpr_kernarg_preload_length 0
		.amdhsa_user_sgpr_kernarg_preload_offset 0
		.amdhsa_user_sgpr_private_segment_size 0
		.amdhsa_uses_dynamic_stack 0
		.amdhsa_system_sgpr_private_segment_wavefront_offset 0
		.amdhsa_system_sgpr_workgroup_id_x 1
		.amdhsa_system_sgpr_workgroup_id_y 0
		.amdhsa_system_sgpr_workgroup_id_z 0
		.amdhsa_system_sgpr_workgroup_info 0
		.amdhsa_system_vgpr_workitem_id 0
		.amdhsa_next_free_vgpr 1
		.amdhsa_next_free_sgpr 0
		.amdhsa_accum_offset 4
		.amdhsa_reserve_vcc 0
		.amdhsa_reserve_flat_scratch 0
		.amdhsa_float_round_mode_32 0
		.amdhsa_float_round_mode_16_64 0
		.amdhsa_float_denorm_mode_32 3
		.amdhsa_float_denorm_mode_16_64 3
		.amdhsa_dx10_clamp 1
		.amdhsa_ieee_mode 1
		.amdhsa_fp16_overflow 0
		.amdhsa_tg_split 0
		.amdhsa_exception_fp_ieee_invalid_op 0
		.amdhsa_exception_fp_denorm_src 0
		.amdhsa_exception_fp_ieee_div_zero 0
		.amdhsa_exception_fp_ieee_overflow 0
		.amdhsa_exception_fp_ieee_underflow 0
		.amdhsa_exception_fp_ieee_inexact 0
		.amdhsa_exception_int_div_zero 0
	.end_amdhsa_kernel
	.section	.text._ZN7rocprim17ROCPRIM_400000_NS6detail17trampoline_kernelINS0_14default_configENS1_25partition_config_selectorILNS1_17partition_subalgoE5EiNS0_10empty_typeEbEEZZNS1_14partition_implILS5_5ELb0ES3_mPiPS6_N6thrust23THRUST_200600_302600_NS18transform_iteratorINSC_6detail9not_fun_tIN6dUtils8isNotOneIiEEEES9_NSC_11use_defaultESK_EENS0_5tupleIJS9_S6_EEENSM_IJSA_SA_EEES6_PlJS6_EEE10hipError_tPvRmT3_T4_T5_T6_T7_T9_mT8_P12ihipStream_tbDpT10_ENKUlT_T0_E_clISt17integral_constantIbLb0EES18_IbLb1EEEEDaS14_S15_EUlS14_E_NS1_11comp_targetILNS1_3genE0ELNS1_11target_archE4294967295ELNS1_3gpuE0ELNS1_3repE0EEENS1_30default_config_static_selectorELNS0_4arch9wavefront6targetE1EEEvT1_,"axG",@progbits,_ZN7rocprim17ROCPRIM_400000_NS6detail17trampoline_kernelINS0_14default_configENS1_25partition_config_selectorILNS1_17partition_subalgoE5EiNS0_10empty_typeEbEEZZNS1_14partition_implILS5_5ELb0ES3_mPiPS6_N6thrust23THRUST_200600_302600_NS18transform_iteratorINSC_6detail9not_fun_tIN6dUtils8isNotOneIiEEEES9_NSC_11use_defaultESK_EENS0_5tupleIJS9_S6_EEENSM_IJSA_SA_EEES6_PlJS6_EEE10hipError_tPvRmT3_T4_T5_T6_T7_T9_mT8_P12ihipStream_tbDpT10_ENKUlT_T0_E_clISt17integral_constantIbLb0EES18_IbLb1EEEEDaS14_S15_EUlS14_E_NS1_11comp_targetILNS1_3genE0ELNS1_11target_archE4294967295ELNS1_3gpuE0ELNS1_3repE0EEENS1_30default_config_static_selectorELNS0_4arch9wavefront6targetE1EEEvT1_,comdat
.Lfunc_end139:
	.size	_ZN7rocprim17ROCPRIM_400000_NS6detail17trampoline_kernelINS0_14default_configENS1_25partition_config_selectorILNS1_17partition_subalgoE5EiNS0_10empty_typeEbEEZZNS1_14partition_implILS5_5ELb0ES3_mPiPS6_N6thrust23THRUST_200600_302600_NS18transform_iteratorINSC_6detail9not_fun_tIN6dUtils8isNotOneIiEEEES9_NSC_11use_defaultESK_EENS0_5tupleIJS9_S6_EEENSM_IJSA_SA_EEES6_PlJS6_EEE10hipError_tPvRmT3_T4_T5_T6_T7_T9_mT8_P12ihipStream_tbDpT10_ENKUlT_T0_E_clISt17integral_constantIbLb0EES18_IbLb1EEEEDaS14_S15_EUlS14_E_NS1_11comp_targetILNS1_3genE0ELNS1_11target_archE4294967295ELNS1_3gpuE0ELNS1_3repE0EEENS1_30default_config_static_selectorELNS0_4arch9wavefront6targetE1EEEvT1_, .Lfunc_end139-_ZN7rocprim17ROCPRIM_400000_NS6detail17trampoline_kernelINS0_14default_configENS1_25partition_config_selectorILNS1_17partition_subalgoE5EiNS0_10empty_typeEbEEZZNS1_14partition_implILS5_5ELb0ES3_mPiPS6_N6thrust23THRUST_200600_302600_NS18transform_iteratorINSC_6detail9not_fun_tIN6dUtils8isNotOneIiEEEES9_NSC_11use_defaultESK_EENS0_5tupleIJS9_S6_EEENSM_IJSA_SA_EEES6_PlJS6_EEE10hipError_tPvRmT3_T4_T5_T6_T7_T9_mT8_P12ihipStream_tbDpT10_ENKUlT_T0_E_clISt17integral_constantIbLb0EES18_IbLb1EEEEDaS14_S15_EUlS14_E_NS1_11comp_targetILNS1_3genE0ELNS1_11target_archE4294967295ELNS1_3gpuE0ELNS1_3repE0EEENS1_30default_config_static_selectorELNS0_4arch9wavefront6targetE1EEEvT1_
                                        ; -- End function
	.section	.AMDGPU.csdata,"",@progbits
; Kernel info:
; codeLenInByte = 0
; NumSgprs: 4
; NumVgprs: 0
; NumAgprs: 0
; TotalNumVgprs: 0
; ScratchSize: 0
; MemoryBound: 0
; FloatMode: 240
; IeeeMode: 1
; LDSByteSize: 0 bytes/workgroup (compile time only)
; SGPRBlocks: 0
; VGPRBlocks: 0
; NumSGPRsForWavesPerEU: 4
; NumVGPRsForWavesPerEU: 1
; AccumOffset: 4
; Occupancy: 8
; WaveLimiterHint : 0
; COMPUTE_PGM_RSRC2:SCRATCH_EN: 0
; COMPUTE_PGM_RSRC2:USER_SGPR: 6
; COMPUTE_PGM_RSRC2:TRAP_HANDLER: 0
; COMPUTE_PGM_RSRC2:TGID_X_EN: 1
; COMPUTE_PGM_RSRC2:TGID_Y_EN: 0
; COMPUTE_PGM_RSRC2:TGID_Z_EN: 0
; COMPUTE_PGM_RSRC2:TIDIG_COMP_CNT: 0
; COMPUTE_PGM_RSRC3_GFX90A:ACCUM_OFFSET: 0
; COMPUTE_PGM_RSRC3_GFX90A:TG_SPLIT: 0
	.section	.text._ZN7rocprim17ROCPRIM_400000_NS6detail17trampoline_kernelINS0_14default_configENS1_25partition_config_selectorILNS1_17partition_subalgoE5EiNS0_10empty_typeEbEEZZNS1_14partition_implILS5_5ELb0ES3_mPiPS6_N6thrust23THRUST_200600_302600_NS18transform_iteratorINSC_6detail9not_fun_tIN6dUtils8isNotOneIiEEEES9_NSC_11use_defaultESK_EENS0_5tupleIJS9_S6_EEENSM_IJSA_SA_EEES6_PlJS6_EEE10hipError_tPvRmT3_T4_T5_T6_T7_T9_mT8_P12ihipStream_tbDpT10_ENKUlT_T0_E_clISt17integral_constantIbLb0EES18_IbLb1EEEEDaS14_S15_EUlS14_E_NS1_11comp_targetILNS1_3genE5ELNS1_11target_archE942ELNS1_3gpuE9ELNS1_3repE0EEENS1_30default_config_static_selectorELNS0_4arch9wavefront6targetE1EEEvT1_,"axG",@progbits,_ZN7rocprim17ROCPRIM_400000_NS6detail17trampoline_kernelINS0_14default_configENS1_25partition_config_selectorILNS1_17partition_subalgoE5EiNS0_10empty_typeEbEEZZNS1_14partition_implILS5_5ELb0ES3_mPiPS6_N6thrust23THRUST_200600_302600_NS18transform_iteratorINSC_6detail9not_fun_tIN6dUtils8isNotOneIiEEEES9_NSC_11use_defaultESK_EENS0_5tupleIJS9_S6_EEENSM_IJSA_SA_EEES6_PlJS6_EEE10hipError_tPvRmT3_T4_T5_T6_T7_T9_mT8_P12ihipStream_tbDpT10_ENKUlT_T0_E_clISt17integral_constantIbLb0EES18_IbLb1EEEEDaS14_S15_EUlS14_E_NS1_11comp_targetILNS1_3genE5ELNS1_11target_archE942ELNS1_3gpuE9ELNS1_3repE0EEENS1_30default_config_static_selectorELNS0_4arch9wavefront6targetE1EEEvT1_,comdat
	.protected	_ZN7rocprim17ROCPRIM_400000_NS6detail17trampoline_kernelINS0_14default_configENS1_25partition_config_selectorILNS1_17partition_subalgoE5EiNS0_10empty_typeEbEEZZNS1_14partition_implILS5_5ELb0ES3_mPiPS6_N6thrust23THRUST_200600_302600_NS18transform_iteratorINSC_6detail9not_fun_tIN6dUtils8isNotOneIiEEEES9_NSC_11use_defaultESK_EENS0_5tupleIJS9_S6_EEENSM_IJSA_SA_EEES6_PlJS6_EEE10hipError_tPvRmT3_T4_T5_T6_T7_T9_mT8_P12ihipStream_tbDpT10_ENKUlT_T0_E_clISt17integral_constantIbLb0EES18_IbLb1EEEEDaS14_S15_EUlS14_E_NS1_11comp_targetILNS1_3genE5ELNS1_11target_archE942ELNS1_3gpuE9ELNS1_3repE0EEENS1_30default_config_static_selectorELNS0_4arch9wavefront6targetE1EEEvT1_ ; -- Begin function _ZN7rocprim17ROCPRIM_400000_NS6detail17trampoline_kernelINS0_14default_configENS1_25partition_config_selectorILNS1_17partition_subalgoE5EiNS0_10empty_typeEbEEZZNS1_14partition_implILS5_5ELb0ES3_mPiPS6_N6thrust23THRUST_200600_302600_NS18transform_iteratorINSC_6detail9not_fun_tIN6dUtils8isNotOneIiEEEES9_NSC_11use_defaultESK_EENS0_5tupleIJS9_S6_EEENSM_IJSA_SA_EEES6_PlJS6_EEE10hipError_tPvRmT3_T4_T5_T6_T7_T9_mT8_P12ihipStream_tbDpT10_ENKUlT_T0_E_clISt17integral_constantIbLb0EES18_IbLb1EEEEDaS14_S15_EUlS14_E_NS1_11comp_targetILNS1_3genE5ELNS1_11target_archE942ELNS1_3gpuE9ELNS1_3repE0EEENS1_30default_config_static_selectorELNS0_4arch9wavefront6targetE1EEEvT1_
	.globl	_ZN7rocprim17ROCPRIM_400000_NS6detail17trampoline_kernelINS0_14default_configENS1_25partition_config_selectorILNS1_17partition_subalgoE5EiNS0_10empty_typeEbEEZZNS1_14partition_implILS5_5ELb0ES3_mPiPS6_N6thrust23THRUST_200600_302600_NS18transform_iteratorINSC_6detail9not_fun_tIN6dUtils8isNotOneIiEEEES9_NSC_11use_defaultESK_EENS0_5tupleIJS9_S6_EEENSM_IJSA_SA_EEES6_PlJS6_EEE10hipError_tPvRmT3_T4_T5_T6_T7_T9_mT8_P12ihipStream_tbDpT10_ENKUlT_T0_E_clISt17integral_constantIbLb0EES18_IbLb1EEEEDaS14_S15_EUlS14_E_NS1_11comp_targetILNS1_3genE5ELNS1_11target_archE942ELNS1_3gpuE9ELNS1_3repE0EEENS1_30default_config_static_selectorELNS0_4arch9wavefront6targetE1EEEvT1_
	.p2align	8
	.type	_ZN7rocprim17ROCPRIM_400000_NS6detail17trampoline_kernelINS0_14default_configENS1_25partition_config_selectorILNS1_17partition_subalgoE5EiNS0_10empty_typeEbEEZZNS1_14partition_implILS5_5ELb0ES3_mPiPS6_N6thrust23THRUST_200600_302600_NS18transform_iteratorINSC_6detail9not_fun_tIN6dUtils8isNotOneIiEEEES9_NSC_11use_defaultESK_EENS0_5tupleIJS9_S6_EEENSM_IJSA_SA_EEES6_PlJS6_EEE10hipError_tPvRmT3_T4_T5_T6_T7_T9_mT8_P12ihipStream_tbDpT10_ENKUlT_T0_E_clISt17integral_constantIbLb0EES18_IbLb1EEEEDaS14_S15_EUlS14_E_NS1_11comp_targetILNS1_3genE5ELNS1_11target_archE942ELNS1_3gpuE9ELNS1_3repE0EEENS1_30default_config_static_selectorELNS0_4arch9wavefront6targetE1EEEvT1_,@function
_ZN7rocprim17ROCPRIM_400000_NS6detail17trampoline_kernelINS0_14default_configENS1_25partition_config_selectorILNS1_17partition_subalgoE5EiNS0_10empty_typeEbEEZZNS1_14partition_implILS5_5ELb0ES3_mPiPS6_N6thrust23THRUST_200600_302600_NS18transform_iteratorINSC_6detail9not_fun_tIN6dUtils8isNotOneIiEEEES9_NSC_11use_defaultESK_EENS0_5tupleIJS9_S6_EEENSM_IJSA_SA_EEES6_PlJS6_EEE10hipError_tPvRmT3_T4_T5_T6_T7_T9_mT8_P12ihipStream_tbDpT10_ENKUlT_T0_E_clISt17integral_constantIbLb0EES18_IbLb1EEEEDaS14_S15_EUlS14_E_NS1_11comp_targetILNS1_3genE5ELNS1_11target_archE942ELNS1_3gpuE9ELNS1_3repE0EEENS1_30default_config_static_selectorELNS0_4arch9wavefront6targetE1EEEvT1_: ; @_ZN7rocprim17ROCPRIM_400000_NS6detail17trampoline_kernelINS0_14default_configENS1_25partition_config_selectorILNS1_17partition_subalgoE5EiNS0_10empty_typeEbEEZZNS1_14partition_implILS5_5ELb0ES3_mPiPS6_N6thrust23THRUST_200600_302600_NS18transform_iteratorINSC_6detail9not_fun_tIN6dUtils8isNotOneIiEEEES9_NSC_11use_defaultESK_EENS0_5tupleIJS9_S6_EEENSM_IJSA_SA_EEES6_PlJS6_EEE10hipError_tPvRmT3_T4_T5_T6_T7_T9_mT8_P12ihipStream_tbDpT10_ENKUlT_T0_E_clISt17integral_constantIbLb0EES18_IbLb1EEEEDaS14_S15_EUlS14_E_NS1_11comp_targetILNS1_3genE5ELNS1_11target_archE942ELNS1_3gpuE9ELNS1_3repE0EEENS1_30default_config_static_selectorELNS0_4arch9wavefront6targetE1EEEvT1_
; %bb.0:
	.section	.rodata,"a",@progbits
	.p2align	6, 0x0
	.amdhsa_kernel _ZN7rocprim17ROCPRIM_400000_NS6detail17trampoline_kernelINS0_14default_configENS1_25partition_config_selectorILNS1_17partition_subalgoE5EiNS0_10empty_typeEbEEZZNS1_14partition_implILS5_5ELb0ES3_mPiPS6_N6thrust23THRUST_200600_302600_NS18transform_iteratorINSC_6detail9not_fun_tIN6dUtils8isNotOneIiEEEES9_NSC_11use_defaultESK_EENS0_5tupleIJS9_S6_EEENSM_IJSA_SA_EEES6_PlJS6_EEE10hipError_tPvRmT3_T4_T5_T6_T7_T9_mT8_P12ihipStream_tbDpT10_ENKUlT_T0_E_clISt17integral_constantIbLb0EES18_IbLb1EEEEDaS14_S15_EUlS14_E_NS1_11comp_targetILNS1_3genE5ELNS1_11target_archE942ELNS1_3gpuE9ELNS1_3repE0EEENS1_30default_config_static_selectorELNS0_4arch9wavefront6targetE1EEEvT1_
		.amdhsa_group_segment_fixed_size 0
		.amdhsa_private_segment_fixed_size 0
		.amdhsa_kernarg_size 136
		.amdhsa_user_sgpr_count 6
		.amdhsa_user_sgpr_private_segment_buffer 1
		.amdhsa_user_sgpr_dispatch_ptr 0
		.amdhsa_user_sgpr_queue_ptr 0
		.amdhsa_user_sgpr_kernarg_segment_ptr 1
		.amdhsa_user_sgpr_dispatch_id 0
		.amdhsa_user_sgpr_flat_scratch_init 0
		.amdhsa_user_sgpr_kernarg_preload_length 0
		.amdhsa_user_sgpr_kernarg_preload_offset 0
		.amdhsa_user_sgpr_private_segment_size 0
		.amdhsa_uses_dynamic_stack 0
		.amdhsa_system_sgpr_private_segment_wavefront_offset 0
		.amdhsa_system_sgpr_workgroup_id_x 1
		.amdhsa_system_sgpr_workgroup_id_y 0
		.amdhsa_system_sgpr_workgroup_id_z 0
		.amdhsa_system_sgpr_workgroup_info 0
		.amdhsa_system_vgpr_workitem_id 0
		.amdhsa_next_free_vgpr 1
		.amdhsa_next_free_sgpr 0
		.amdhsa_accum_offset 4
		.amdhsa_reserve_vcc 0
		.amdhsa_reserve_flat_scratch 0
		.amdhsa_float_round_mode_32 0
		.amdhsa_float_round_mode_16_64 0
		.amdhsa_float_denorm_mode_32 3
		.amdhsa_float_denorm_mode_16_64 3
		.amdhsa_dx10_clamp 1
		.amdhsa_ieee_mode 1
		.amdhsa_fp16_overflow 0
		.amdhsa_tg_split 0
		.amdhsa_exception_fp_ieee_invalid_op 0
		.amdhsa_exception_fp_denorm_src 0
		.amdhsa_exception_fp_ieee_div_zero 0
		.amdhsa_exception_fp_ieee_overflow 0
		.amdhsa_exception_fp_ieee_underflow 0
		.amdhsa_exception_fp_ieee_inexact 0
		.amdhsa_exception_int_div_zero 0
	.end_amdhsa_kernel
	.section	.text._ZN7rocprim17ROCPRIM_400000_NS6detail17trampoline_kernelINS0_14default_configENS1_25partition_config_selectorILNS1_17partition_subalgoE5EiNS0_10empty_typeEbEEZZNS1_14partition_implILS5_5ELb0ES3_mPiPS6_N6thrust23THRUST_200600_302600_NS18transform_iteratorINSC_6detail9not_fun_tIN6dUtils8isNotOneIiEEEES9_NSC_11use_defaultESK_EENS0_5tupleIJS9_S6_EEENSM_IJSA_SA_EEES6_PlJS6_EEE10hipError_tPvRmT3_T4_T5_T6_T7_T9_mT8_P12ihipStream_tbDpT10_ENKUlT_T0_E_clISt17integral_constantIbLb0EES18_IbLb1EEEEDaS14_S15_EUlS14_E_NS1_11comp_targetILNS1_3genE5ELNS1_11target_archE942ELNS1_3gpuE9ELNS1_3repE0EEENS1_30default_config_static_selectorELNS0_4arch9wavefront6targetE1EEEvT1_,"axG",@progbits,_ZN7rocprim17ROCPRIM_400000_NS6detail17trampoline_kernelINS0_14default_configENS1_25partition_config_selectorILNS1_17partition_subalgoE5EiNS0_10empty_typeEbEEZZNS1_14partition_implILS5_5ELb0ES3_mPiPS6_N6thrust23THRUST_200600_302600_NS18transform_iteratorINSC_6detail9not_fun_tIN6dUtils8isNotOneIiEEEES9_NSC_11use_defaultESK_EENS0_5tupleIJS9_S6_EEENSM_IJSA_SA_EEES6_PlJS6_EEE10hipError_tPvRmT3_T4_T5_T6_T7_T9_mT8_P12ihipStream_tbDpT10_ENKUlT_T0_E_clISt17integral_constantIbLb0EES18_IbLb1EEEEDaS14_S15_EUlS14_E_NS1_11comp_targetILNS1_3genE5ELNS1_11target_archE942ELNS1_3gpuE9ELNS1_3repE0EEENS1_30default_config_static_selectorELNS0_4arch9wavefront6targetE1EEEvT1_,comdat
.Lfunc_end140:
	.size	_ZN7rocprim17ROCPRIM_400000_NS6detail17trampoline_kernelINS0_14default_configENS1_25partition_config_selectorILNS1_17partition_subalgoE5EiNS0_10empty_typeEbEEZZNS1_14partition_implILS5_5ELb0ES3_mPiPS6_N6thrust23THRUST_200600_302600_NS18transform_iteratorINSC_6detail9not_fun_tIN6dUtils8isNotOneIiEEEES9_NSC_11use_defaultESK_EENS0_5tupleIJS9_S6_EEENSM_IJSA_SA_EEES6_PlJS6_EEE10hipError_tPvRmT3_T4_T5_T6_T7_T9_mT8_P12ihipStream_tbDpT10_ENKUlT_T0_E_clISt17integral_constantIbLb0EES18_IbLb1EEEEDaS14_S15_EUlS14_E_NS1_11comp_targetILNS1_3genE5ELNS1_11target_archE942ELNS1_3gpuE9ELNS1_3repE0EEENS1_30default_config_static_selectorELNS0_4arch9wavefront6targetE1EEEvT1_, .Lfunc_end140-_ZN7rocprim17ROCPRIM_400000_NS6detail17trampoline_kernelINS0_14default_configENS1_25partition_config_selectorILNS1_17partition_subalgoE5EiNS0_10empty_typeEbEEZZNS1_14partition_implILS5_5ELb0ES3_mPiPS6_N6thrust23THRUST_200600_302600_NS18transform_iteratorINSC_6detail9not_fun_tIN6dUtils8isNotOneIiEEEES9_NSC_11use_defaultESK_EENS0_5tupleIJS9_S6_EEENSM_IJSA_SA_EEES6_PlJS6_EEE10hipError_tPvRmT3_T4_T5_T6_T7_T9_mT8_P12ihipStream_tbDpT10_ENKUlT_T0_E_clISt17integral_constantIbLb0EES18_IbLb1EEEEDaS14_S15_EUlS14_E_NS1_11comp_targetILNS1_3genE5ELNS1_11target_archE942ELNS1_3gpuE9ELNS1_3repE0EEENS1_30default_config_static_selectorELNS0_4arch9wavefront6targetE1EEEvT1_
                                        ; -- End function
	.section	.AMDGPU.csdata,"",@progbits
; Kernel info:
; codeLenInByte = 0
; NumSgprs: 4
; NumVgprs: 0
; NumAgprs: 0
; TotalNumVgprs: 0
; ScratchSize: 0
; MemoryBound: 0
; FloatMode: 240
; IeeeMode: 1
; LDSByteSize: 0 bytes/workgroup (compile time only)
; SGPRBlocks: 0
; VGPRBlocks: 0
; NumSGPRsForWavesPerEU: 4
; NumVGPRsForWavesPerEU: 1
; AccumOffset: 4
; Occupancy: 8
; WaveLimiterHint : 0
; COMPUTE_PGM_RSRC2:SCRATCH_EN: 0
; COMPUTE_PGM_RSRC2:USER_SGPR: 6
; COMPUTE_PGM_RSRC2:TRAP_HANDLER: 0
; COMPUTE_PGM_RSRC2:TGID_X_EN: 1
; COMPUTE_PGM_RSRC2:TGID_Y_EN: 0
; COMPUTE_PGM_RSRC2:TGID_Z_EN: 0
; COMPUTE_PGM_RSRC2:TIDIG_COMP_CNT: 0
; COMPUTE_PGM_RSRC3_GFX90A:ACCUM_OFFSET: 0
; COMPUTE_PGM_RSRC3_GFX90A:TG_SPLIT: 0
	.section	.text._ZN7rocprim17ROCPRIM_400000_NS6detail17trampoline_kernelINS0_14default_configENS1_25partition_config_selectorILNS1_17partition_subalgoE5EiNS0_10empty_typeEbEEZZNS1_14partition_implILS5_5ELb0ES3_mPiPS6_N6thrust23THRUST_200600_302600_NS18transform_iteratorINSC_6detail9not_fun_tIN6dUtils8isNotOneIiEEEES9_NSC_11use_defaultESK_EENS0_5tupleIJS9_S6_EEENSM_IJSA_SA_EEES6_PlJS6_EEE10hipError_tPvRmT3_T4_T5_T6_T7_T9_mT8_P12ihipStream_tbDpT10_ENKUlT_T0_E_clISt17integral_constantIbLb0EES18_IbLb1EEEEDaS14_S15_EUlS14_E_NS1_11comp_targetILNS1_3genE4ELNS1_11target_archE910ELNS1_3gpuE8ELNS1_3repE0EEENS1_30default_config_static_selectorELNS0_4arch9wavefront6targetE1EEEvT1_,"axG",@progbits,_ZN7rocprim17ROCPRIM_400000_NS6detail17trampoline_kernelINS0_14default_configENS1_25partition_config_selectorILNS1_17partition_subalgoE5EiNS0_10empty_typeEbEEZZNS1_14partition_implILS5_5ELb0ES3_mPiPS6_N6thrust23THRUST_200600_302600_NS18transform_iteratorINSC_6detail9not_fun_tIN6dUtils8isNotOneIiEEEES9_NSC_11use_defaultESK_EENS0_5tupleIJS9_S6_EEENSM_IJSA_SA_EEES6_PlJS6_EEE10hipError_tPvRmT3_T4_T5_T6_T7_T9_mT8_P12ihipStream_tbDpT10_ENKUlT_T0_E_clISt17integral_constantIbLb0EES18_IbLb1EEEEDaS14_S15_EUlS14_E_NS1_11comp_targetILNS1_3genE4ELNS1_11target_archE910ELNS1_3gpuE8ELNS1_3repE0EEENS1_30default_config_static_selectorELNS0_4arch9wavefront6targetE1EEEvT1_,comdat
	.protected	_ZN7rocprim17ROCPRIM_400000_NS6detail17trampoline_kernelINS0_14default_configENS1_25partition_config_selectorILNS1_17partition_subalgoE5EiNS0_10empty_typeEbEEZZNS1_14partition_implILS5_5ELb0ES3_mPiPS6_N6thrust23THRUST_200600_302600_NS18transform_iteratorINSC_6detail9not_fun_tIN6dUtils8isNotOneIiEEEES9_NSC_11use_defaultESK_EENS0_5tupleIJS9_S6_EEENSM_IJSA_SA_EEES6_PlJS6_EEE10hipError_tPvRmT3_T4_T5_T6_T7_T9_mT8_P12ihipStream_tbDpT10_ENKUlT_T0_E_clISt17integral_constantIbLb0EES18_IbLb1EEEEDaS14_S15_EUlS14_E_NS1_11comp_targetILNS1_3genE4ELNS1_11target_archE910ELNS1_3gpuE8ELNS1_3repE0EEENS1_30default_config_static_selectorELNS0_4arch9wavefront6targetE1EEEvT1_ ; -- Begin function _ZN7rocprim17ROCPRIM_400000_NS6detail17trampoline_kernelINS0_14default_configENS1_25partition_config_selectorILNS1_17partition_subalgoE5EiNS0_10empty_typeEbEEZZNS1_14partition_implILS5_5ELb0ES3_mPiPS6_N6thrust23THRUST_200600_302600_NS18transform_iteratorINSC_6detail9not_fun_tIN6dUtils8isNotOneIiEEEES9_NSC_11use_defaultESK_EENS0_5tupleIJS9_S6_EEENSM_IJSA_SA_EEES6_PlJS6_EEE10hipError_tPvRmT3_T4_T5_T6_T7_T9_mT8_P12ihipStream_tbDpT10_ENKUlT_T0_E_clISt17integral_constantIbLb0EES18_IbLb1EEEEDaS14_S15_EUlS14_E_NS1_11comp_targetILNS1_3genE4ELNS1_11target_archE910ELNS1_3gpuE8ELNS1_3repE0EEENS1_30default_config_static_selectorELNS0_4arch9wavefront6targetE1EEEvT1_
	.globl	_ZN7rocprim17ROCPRIM_400000_NS6detail17trampoline_kernelINS0_14default_configENS1_25partition_config_selectorILNS1_17partition_subalgoE5EiNS0_10empty_typeEbEEZZNS1_14partition_implILS5_5ELb0ES3_mPiPS6_N6thrust23THRUST_200600_302600_NS18transform_iteratorINSC_6detail9not_fun_tIN6dUtils8isNotOneIiEEEES9_NSC_11use_defaultESK_EENS0_5tupleIJS9_S6_EEENSM_IJSA_SA_EEES6_PlJS6_EEE10hipError_tPvRmT3_T4_T5_T6_T7_T9_mT8_P12ihipStream_tbDpT10_ENKUlT_T0_E_clISt17integral_constantIbLb0EES18_IbLb1EEEEDaS14_S15_EUlS14_E_NS1_11comp_targetILNS1_3genE4ELNS1_11target_archE910ELNS1_3gpuE8ELNS1_3repE0EEENS1_30default_config_static_selectorELNS0_4arch9wavefront6targetE1EEEvT1_
	.p2align	8
	.type	_ZN7rocprim17ROCPRIM_400000_NS6detail17trampoline_kernelINS0_14default_configENS1_25partition_config_selectorILNS1_17partition_subalgoE5EiNS0_10empty_typeEbEEZZNS1_14partition_implILS5_5ELb0ES3_mPiPS6_N6thrust23THRUST_200600_302600_NS18transform_iteratorINSC_6detail9not_fun_tIN6dUtils8isNotOneIiEEEES9_NSC_11use_defaultESK_EENS0_5tupleIJS9_S6_EEENSM_IJSA_SA_EEES6_PlJS6_EEE10hipError_tPvRmT3_T4_T5_T6_T7_T9_mT8_P12ihipStream_tbDpT10_ENKUlT_T0_E_clISt17integral_constantIbLb0EES18_IbLb1EEEEDaS14_S15_EUlS14_E_NS1_11comp_targetILNS1_3genE4ELNS1_11target_archE910ELNS1_3gpuE8ELNS1_3repE0EEENS1_30default_config_static_selectorELNS0_4arch9wavefront6targetE1EEEvT1_,@function
_ZN7rocprim17ROCPRIM_400000_NS6detail17trampoline_kernelINS0_14default_configENS1_25partition_config_selectorILNS1_17partition_subalgoE5EiNS0_10empty_typeEbEEZZNS1_14partition_implILS5_5ELb0ES3_mPiPS6_N6thrust23THRUST_200600_302600_NS18transform_iteratorINSC_6detail9not_fun_tIN6dUtils8isNotOneIiEEEES9_NSC_11use_defaultESK_EENS0_5tupleIJS9_S6_EEENSM_IJSA_SA_EEES6_PlJS6_EEE10hipError_tPvRmT3_T4_T5_T6_T7_T9_mT8_P12ihipStream_tbDpT10_ENKUlT_T0_E_clISt17integral_constantIbLb0EES18_IbLb1EEEEDaS14_S15_EUlS14_E_NS1_11comp_targetILNS1_3genE4ELNS1_11target_archE910ELNS1_3gpuE8ELNS1_3repE0EEENS1_30default_config_static_selectorELNS0_4arch9wavefront6targetE1EEEvT1_: ; @_ZN7rocprim17ROCPRIM_400000_NS6detail17trampoline_kernelINS0_14default_configENS1_25partition_config_selectorILNS1_17partition_subalgoE5EiNS0_10empty_typeEbEEZZNS1_14partition_implILS5_5ELb0ES3_mPiPS6_N6thrust23THRUST_200600_302600_NS18transform_iteratorINSC_6detail9not_fun_tIN6dUtils8isNotOneIiEEEES9_NSC_11use_defaultESK_EENS0_5tupleIJS9_S6_EEENSM_IJSA_SA_EEES6_PlJS6_EEE10hipError_tPvRmT3_T4_T5_T6_T7_T9_mT8_P12ihipStream_tbDpT10_ENKUlT_T0_E_clISt17integral_constantIbLb0EES18_IbLb1EEEEDaS14_S15_EUlS14_E_NS1_11comp_targetILNS1_3genE4ELNS1_11target_archE910ELNS1_3gpuE8ELNS1_3repE0EEENS1_30default_config_static_selectorELNS0_4arch9wavefront6targetE1EEEvT1_
; %bb.0:
	s_load_dwordx2 s[6:7], s[4:5], 0x20
	s_load_dwordx2 s[14:15], s[4:5], 0x30
	;; [unrolled: 1-line block ×3, first 2 shown]
	s_load_dwordx4 s[16:19], s[4:5], 0x48
	s_load_dwordx2 s[22:23], s[4:5], 0x68
	v_cmp_eq_u32_e64 s[0:1], 0, v0
	s_and_saveexec_b64 s[8:9], s[0:1]
	s_cbranch_execz .LBB141_4
; %bb.1:
	s_mov_b64 s[12:13], exec
	v_mbcnt_lo_u32_b32 v1, s12, 0
	v_mbcnt_hi_u32_b32 v1, s13, v1
	v_cmp_eq_u32_e32 vcc, 0, v1
                                        ; implicit-def: $vgpr2
	s_and_saveexec_b64 s[10:11], vcc
	s_cbranch_execz .LBB141_3
; %bb.2:
	s_load_dwordx2 s[20:21], s[4:5], 0x78
	s_bcnt1_i32_b64 s12, s[12:13]
	v_mov_b32_e32 v2, 0
	v_mov_b32_e32 v3, s12
	s_waitcnt lgkmcnt(0)
	global_atomic_add v2, v2, v3, s[20:21] glc
.LBB141_3:
	s_or_b64 exec, exec, s[10:11]
	s_waitcnt vmcnt(0)
	v_readfirstlane_b32 s10, v2
	v_add_u32_e32 v1, s10, v1
	v_mov_b32_e32 v2, 0
	ds_write_b32 v2, v1
.LBB141_4:
	s_or_b64 exec, exec, s[8:9]
	v_mov_b32_e32 v1, 0
	s_load_dwordx4 s[8:11], s[4:5], 0x8
	s_load_dword s12, s[4:5], 0x70
	s_waitcnt lgkmcnt(0)
	s_barrier
	ds_read_b32 v4, v1
	s_waitcnt lgkmcnt(0)
	s_barrier
	global_load_dwordx2 v[12:13], v1, s[18:19]
	s_lshl_b64 s[4:5], s[10:11], 2
	v_mov_b32_e32 v3, s3
	s_add_u32 s13, s8, s4
	s_mul_i32 s3, s12, 0x700
	s_addc_u32 s26, s9, s5
	s_add_i32 s9, s3, s10
	s_sub_i32 s25, s2, s9
	s_add_i32 s18, s12, -1
	s_addk_i32 s25, 0x700
	v_mov_b32_e32 v2, s2
	s_add_u32 s2, s10, s3
	v_readfirstlane_b32 s24, v4
	s_addc_u32 s3, s11, 0
	s_cmp_eq_u32 s24, s18
	v_cmp_ge_u64_e32 vcc, s[2:3], v[2:3]
	s_cselect_b64 s[18:19], -1, 0
	s_mul_i32 s8, s24, 0x700
	s_mov_b32 s9, 0
	s_and_b64 s[10:11], vcc, s[18:19]
	s_xor_b64 s[20:21], s[10:11], -1
	s_lshl_b64 s[8:9], s[8:9], 2
	s_add_u32 s10, s13, s8
	s_mov_b64 s[2:3], -1
	s_addc_u32 s11, s26, s9
	s_and_b64 vcc, exec, s[20:21]
	v_lshlrev_b32_e32 v1, 2, v0
	s_cbranch_vccz .LBB141_6
; %bb.5:
	v_mov_b32_e32 v2, s11
	v_add_co_u32_e32 v3, vcc, s10, v1
	v_addc_co_u32_e32 v4, vcc, 0, v2, vcc
	v_add_co_u32_e32 v2, vcc, 0x1000, v3
	v_addc_co_u32_e32 v3, vcc, 0, v4, vcc
	global_load_dword v5, v1, s[10:11]
	global_load_dword v6, v1, s[10:11] offset:1024
	global_load_dword v7, v1, s[10:11] offset:2048
	;; [unrolled: 1-line block ×3, first 2 shown]
	global_load_dword v4, v[2:3], off
	global_load_dword v9, v[2:3], off offset:1024
	global_load_dword v10, v[2:3], off offset:2048
	s_mov_b64 s[2:3], 0
	s_waitcnt vmcnt(5)
	ds_write2st64_b32 v1, v5, v6 offset1:4
	s_waitcnt vmcnt(3)
	ds_write2st64_b32 v1, v7, v8 offset0:8 offset1:12
	s_waitcnt vmcnt(1)
	ds_write2st64_b32 v1, v4, v9 offset0:16 offset1:20
	s_waitcnt vmcnt(0)
	ds_write_b32 v1, v10 offset:6144
	s_waitcnt lgkmcnt(0)
	s_barrier
.LBB141_6:
	s_andn2_b64 vcc, exec, s[2:3]
	v_cmp_gt_u32_e64 s[2:3], s25, v0
	s_cbranch_vccnz .LBB141_22
; %bb.7:
                                        ; implicit-def: $vgpr2_vgpr3_vgpr4_vgpr5_vgpr6_vgpr7_vgpr8
	s_and_saveexec_b64 s[12:13], s[2:3]
	s_cbranch_execz .LBB141_9
; %bb.8:
	global_load_dword v2, v1, s[10:11]
.LBB141_9:
	s_or_b64 exec, exec, s[12:13]
	v_or_b32_e32 v9, 0x100, v0
	v_cmp_gt_u32_e32 vcc, s25, v9
	s_and_saveexec_b64 s[2:3], vcc
	s_cbranch_execz .LBB141_11
; %bb.10:
	global_load_dword v3, v1, s[10:11] offset:1024
.LBB141_11:
	s_or_b64 exec, exec, s[2:3]
	v_or_b32_e32 v9, 0x200, v0
	v_cmp_gt_u32_e32 vcc, s25, v9
	s_and_saveexec_b64 s[2:3], vcc
	s_cbranch_execz .LBB141_13
; %bb.12:
	global_load_dword v4, v1, s[10:11] offset:2048
.LBB141_13:
	;; [unrolled: 8-line block ×3, first 2 shown]
	s_or_b64 exec, exec, s[2:3]
	v_or_b32_e32 v9, 0x400, v0
	v_cmp_gt_u32_e32 vcc, s25, v9
	s_and_saveexec_b64 s[2:3], vcc
	s_cbranch_execz .LBB141_17
; %bb.16:
	v_lshlrev_b32_e32 v6, 2, v9
	global_load_dword v6, v6, s[10:11]
.LBB141_17:
	s_or_b64 exec, exec, s[2:3]
	v_or_b32_e32 v9, 0x500, v0
	v_cmp_gt_u32_e32 vcc, s25, v9
	s_and_saveexec_b64 s[2:3], vcc
	s_cbranch_execz .LBB141_19
; %bb.18:
	v_lshlrev_b32_e32 v7, 2, v9
	global_load_dword v7, v7, s[10:11]
.LBB141_19:
	;; [unrolled: 9-line block ×3, first 2 shown]
	s_or_b64 exec, exec, s[2:3]
	s_waitcnt vmcnt(0)
	ds_write2st64_b32 v1, v2, v3 offset1:4
	ds_write2st64_b32 v1, v4, v5 offset0:8 offset1:12
	ds_write2st64_b32 v1, v6, v7 offset0:16 offset1:20
	ds_write_b32 v1, v8 offset:6144
	s_waitcnt lgkmcnt(0)
	s_barrier
.LBB141_22:
	v_mul_u32_u24_e32 v2, 7, v0
	v_lshlrev_b32_e32 v2, 2, v2
	ds_read2_b32 v[16:17], v2 offset1:1
	ds_read2_b32 v[14:15], v2 offset0:2 offset1:3
	ds_read2_b32 v[10:11], v2 offset0:4 offset1:5
	ds_read_b32 v19, v2 offset:24
	s_add_u32 s2, s6, s4
	s_addc_u32 s3, s7, s5
	s_add_u32 s2, s2, s8
	s_addc_u32 s3, s3, s9
	s_mov_b64 s[4:5], -1
	s_and_b64 vcc, exec, s[20:21]
	s_waitcnt lgkmcnt(0)
	s_barrier
	s_cbranch_vccz .LBB141_24
; %bb.23:
	global_load_dword v6, v1, s[2:3]
	global_load_dword v7, v1, s[2:3] offset:1024
	v_mov_b32_e32 v3, s3
	v_add_co_u32_e32 v4, vcc, s2, v1
	v_addc_co_u32_e32 v3, vcc, 0, v3, vcc
	global_load_dword v8, v1, s[2:3] offset:2048
	global_load_dword v9, v1, s[2:3] offset:3072
	s_movk_i32 s4, 0x1000
	v_add_co_u32_e32 v4, vcc, s4, v4
	v_addc_co_u32_e32 v5, vcc, 0, v3, vcc
	global_load_dword v3, v[4:5], off
	global_load_dword v18, v[4:5], off offset:1024
	global_load_dword v20, v[4:5], off offset:2048
	s_mov_b64 s[4:5], 0
	s_waitcnt vmcnt(6)
	v_cmp_eq_u32_e32 vcc, 1, v6
	v_cndmask_b32_e64 v4, 0, 1, vcc
	s_waitcnt vmcnt(5)
	v_cmp_eq_u32_e32 vcc, 1, v7
	v_cndmask_b32_e64 v5, 0, 1, vcc
	;; [unrolled: 3-line block ×4, first 2 shown]
	ds_write_b8 v0, v4
	ds_write_b8 v0, v5 offset:256
	ds_write_b8 v0, v6 offset:512
	;; [unrolled: 1-line block ×3, first 2 shown]
	s_waitcnt vmcnt(2)
	v_cmp_eq_u32_e32 vcc, 1, v3
	v_cndmask_b32_e64 v3, 0, 1, vcc
	s_waitcnt vmcnt(1)
	v_cmp_eq_u32_e32 vcc, 1, v18
	v_cndmask_b32_e64 v4, 0, 1, vcc
	;; [unrolled: 3-line block ×3, first 2 shown]
	ds_write_b8 v0, v3 offset:1024
	ds_write_b8 v0, v4 offset:1280
	;; [unrolled: 1-line block ×3, first 2 shown]
	s_waitcnt lgkmcnt(0)
	s_barrier
.LBB141_24:
	s_andn2_b64 vcc, exec, s[4:5]
	s_cbranch_vccnz .LBB141_40
; %bb.25:
	v_cmp_gt_u32_e32 vcc, s25, v0
	v_mov_b32_e32 v3, 0
	v_mov_b32_e32 v4, 0
	s_and_saveexec_b64 s[4:5], vcc
	s_cbranch_execz .LBB141_27
; %bb.26:
	global_load_dword v4, v1, s[2:3]
	s_waitcnt vmcnt(0)
	v_cmp_eq_u32_e32 vcc, 1, v4
	v_cndmask_b32_e64 v4, 0, 1, vcc
.LBB141_27:
	s_or_b64 exec, exec, s[4:5]
	v_or_b32_e32 v5, 0x100, v0
	v_cmp_gt_u32_e32 vcc, s25, v5
	s_and_saveexec_b64 s[4:5], vcc
	s_cbranch_execz .LBB141_29
; %bb.28:
	global_load_dword v3, v1, s[2:3] offset:1024
	s_waitcnt vmcnt(0)
	v_cmp_eq_u32_e32 vcc, 1, v3
	v_cndmask_b32_e64 v3, 0, 1, vcc
.LBB141_29:
	s_or_b64 exec, exec, s[4:5]
	v_or_b32_e32 v5, 0x200, v0
	v_cmp_gt_u32_e32 vcc, s25, v5
	v_mov_b32_e32 v5, 0
	v_mov_b32_e32 v6, 0
	s_and_saveexec_b64 s[4:5], vcc
	s_cbranch_execz .LBB141_31
; %bb.30:
	global_load_dword v6, v1, s[2:3] offset:2048
	s_waitcnt vmcnt(0)
	v_cmp_eq_u32_e32 vcc, 1, v6
	v_cndmask_b32_e64 v6, 0, 1, vcc
.LBB141_31:
	s_or_b64 exec, exec, s[4:5]
	v_or_b32_e32 v7, 0x300, v0
	v_cmp_gt_u32_e32 vcc, s25, v7
	s_and_saveexec_b64 s[4:5], vcc
	s_cbranch_execz .LBB141_33
; %bb.32:
	global_load_dword v1, v1, s[2:3] offset:3072
	s_waitcnt vmcnt(0)
	v_cmp_eq_u32_e32 vcc, 1, v1
	v_cndmask_b32_e64 v5, 0, 1, vcc
.LBB141_33:
	s_or_b64 exec, exec, s[4:5]
	v_or_b32_e32 v8, 0x400, v0
	v_cmp_gt_u32_e32 vcc, s25, v8
	v_mov_b32_e32 v1, 0
	v_mov_b32_e32 v7, 0
	s_and_saveexec_b64 s[4:5], vcc
	s_cbranch_execz .LBB141_35
; %bb.34:
	v_lshlrev_b32_e32 v7, 2, v8
	global_load_dword v7, v7, s[2:3]
	s_waitcnt vmcnt(0)
	v_cmp_eq_u32_e32 vcc, 1, v7
	v_cndmask_b32_e64 v7, 0, 1, vcc
.LBB141_35:
	s_or_b64 exec, exec, s[4:5]
	v_or_b32_e32 v8, 0x500, v0
	v_cmp_gt_u32_e32 vcc, s25, v8
	s_and_saveexec_b64 s[4:5], vcc
	s_cbranch_execz .LBB141_37
; %bb.36:
	v_lshlrev_b32_e32 v1, 2, v8
	global_load_dword v1, v1, s[2:3]
	s_waitcnt vmcnt(0)
	v_cmp_eq_u32_e32 vcc, 1, v1
	v_cndmask_b32_e64 v1, 0, 1, vcc
.LBB141_37:
	s_or_b64 exec, exec, s[4:5]
	v_or_b32_e32 v9, 0x600, v0
	v_cmp_gt_u32_e32 vcc, s25, v9
	v_mov_b32_e32 v8, 0
	s_and_saveexec_b64 s[4:5], vcc
	s_cbranch_execz .LBB141_39
; %bb.38:
	v_lshlrev_b32_e32 v8, 2, v9
	global_load_dword v8, v8, s[2:3]
	s_waitcnt vmcnt(0)
	v_cmp_eq_u32_e32 vcc, 1, v8
	v_cndmask_b32_e64 v8, 0, 1, vcc
.LBB141_39:
	s_or_b64 exec, exec, s[4:5]
	ds_write_b8 v0, v4
	ds_write_b8 v0, v3 offset:256
	ds_write_b8 v0, v6 offset:512
	;; [unrolled: 1-line block ×6, first 2 shown]
	s_waitcnt lgkmcnt(0)
	s_barrier
.LBB141_40:
	s_movk_i32 s2, 0xffeb
	v_mad_i32_i24 v25, v0, s2, v2
	ds_read_u8 v1, v25
	ds_read_u8 v2, v25 offset:1
	ds_read_u8 v3, v25 offset:2
	;; [unrolled: 1-line block ×6, first 2 shown]
	s_waitcnt lgkmcnt(6)
	v_and_b32_e32 v28, 1, v1
	s_waitcnt lgkmcnt(5)
	v_and_b32_e32 v26, 1, v2
	;; [unrolled: 2-line block ×3, first 2 shown]
	v_add_co_u32_e32 v2, vcc, v26, v28
	v_addc_co_u32_e64 v3, s[2:3], 0, 0, vcc
	v_add_co_u32_e32 v2, vcc, v2, v24
	s_waitcnt lgkmcnt(3)
	v_and_b32_e32 v22, 1, v4
	v_addc_co_u32_e32 v3, vcc, 0, v3, vcc
	v_add_co_u32_e32 v2, vcc, v2, v22
	s_waitcnt lgkmcnt(2)
	v_and_b32_e32 v20, 1, v5
	v_addc_co_u32_e32 v3, vcc, 0, v3, vcc
	;; [unrolled: 4-line block ×4, first 2 shown]
	v_add_co_u32_e32 v30, vcc, v2, v21
	v_mbcnt_lo_u32_b32 v2, -1, 0
	v_mbcnt_hi_u32_b32 v23, -1, v2
	v_addc_co_u32_e32 v31, vcc, 0, v3, vcc
	v_and_b32_e32 v29, 15, v23
	s_cmp_lg_u32 s24, 0
	v_mov_b32_e32 v1, 0
	v_cmp_eq_u32_e64 s[4:5], 0, v29
	v_cmp_lt_u32_e64 s[2:3], 1, v29
	v_cmp_lt_u32_e64 s[10:11], 3, v29
	v_cmp_lt_u32_e64 s[8:9], 7, v29
	v_and_b32_e32 v27, 16, v23
	v_cmp_eq_u32_e64 s[6:7], 0, v23
	v_cmp_ne_u32_e32 vcc, 0, v23
	s_barrier
	s_cbranch_scc0 .LBB141_69
; %bb.41:
	v_mov_b32_dpp v2, v30 row_shr:1 row_mask:0xf bank_mask:0xf
	v_add_co_u32_e64 v2, s[12:13], v30, v2
	v_addc_co_u32_e64 v3, s[12:13], 0, v31, s[12:13]
	v_mov_b32_dpp v1, v1 row_shr:1 row_mask:0xf bank_mask:0xf
	v_add_co_u32_e64 v4, s[12:13], 0, v2
	v_addc_co_u32_e64 v1, s[12:13], v1, v3, s[12:13]
	v_cndmask_b32_e64 v2, v2, v30, s[4:5]
	v_cndmask_b32_e64 v3, v1, 0, s[4:5]
	v_cndmask_b32_e64 v4, v4, v30, s[4:5]
	v_mov_b32_dpp v5, v2 row_shr:2 row_mask:0xf bank_mask:0xf
	v_cndmask_b32_e64 v1, v1, v31, s[4:5]
	v_mov_b32_dpp v6, v3 row_shr:2 row_mask:0xf bank_mask:0xf
	v_add_co_u32_e64 v5, s[12:13], v5, v4
	v_addc_co_u32_e64 v6, s[12:13], v6, v1, s[12:13]
	v_cndmask_b32_e64 v2, v2, v5, s[2:3]
	v_cndmask_b32_e64 v3, v3, v6, s[2:3]
	v_cndmask_b32_e64 v4, v4, v5, s[2:3]
	v_mov_b32_dpp v5, v2 row_shr:4 row_mask:0xf bank_mask:0xf
	v_cndmask_b32_e64 v1, v1, v6, s[2:3]
	;; [unrolled: 8-line block ×3, first 2 shown]
	v_mov_b32_dpp v6, v3 row_shr:8 row_mask:0xf bank_mask:0xf
	v_add_co_u32_e64 v5, s[10:11], v5, v4
	v_addc_co_u32_e64 v6, s[10:11], v6, v1, s[10:11]
	v_cndmask_b32_e64 v2, v2, v5, s[8:9]
	v_cndmask_b32_e64 v3, v3, v6, s[8:9]
	;; [unrolled: 1-line block ×3, first 2 shown]
	v_mov_b32_dpp v5, v2 row_bcast:15 row_mask:0xf bank_mask:0xf
	v_cndmask_b32_e64 v1, v1, v6, s[8:9]
	v_mov_b32_dpp v6, v3 row_bcast:15 row_mask:0xf bank_mask:0xf
	v_add_co_u32_e64 v5, s[8:9], v5, v4
	v_addc_co_u32_e64 v7, s[8:9], v6, v1, s[8:9]
	v_cmp_eq_u32_e64 s[8:9], 0, v27
	v_cndmask_b32_e64 v3, v7, v3, s[8:9]
	v_cndmask_b32_e64 v2, v5, v2, s[8:9]
	s_nop 0
	v_mov_b32_dpp v8, v3 row_bcast:31 row_mask:0xf bank_mask:0xf
	v_mov_b32_dpp v6, v2 row_bcast:31 row_mask:0xf bank_mask:0xf
	v_pk_mov_b32 v[2:3], v[30:31], v[30:31] op_sel:[0,1]
	s_and_saveexec_b64 s[10:11], vcc
; %bb.42:
	v_cmp_lt_u32_e32 vcc, 31, v23
	v_cndmask_b32_e64 v2, v5, v4, s[8:9]
	v_cndmask_b32_e32 v4, 0, v6, vcc
	v_cndmask_b32_e64 v1, v7, v1, s[8:9]
	v_cndmask_b32_e32 v3, 0, v8, vcc
	v_add_co_u32_e32 v2, vcc, v4, v2
	v_addc_co_u32_e32 v3, vcc, v3, v1, vcc
; %bb.43:
	s_or_b64 exec, exec, s[10:11]
	v_or_b32_e32 v4, 63, v0
	v_lshrrev_b32_e32 v1, 6, v0
	v_cmp_eq_u32_e32 vcc, v4, v0
	s_and_saveexec_b64 s[8:9], vcc
	s_cbranch_execz .LBB141_45
; %bb.44:
	v_lshlrev_b32_e32 v4, 3, v1
	ds_write_b64 v4, v[2:3]
.LBB141_45:
	s_or_b64 exec, exec, s[8:9]
	v_cmp_gt_u32_e32 vcc, 4, v0
	s_waitcnt lgkmcnt(0)
	s_barrier
	s_and_saveexec_b64 s[10:11], vcc
	s_cbranch_execz .LBB141_47
; %bb.46:
	v_lshlrev_b32_e32 v6, 3, v0
	ds_read_b64 v[4:5], v6
	v_and_b32_e32 v7, 3, v23
	v_cmp_ne_u32_e64 s[8:9], 1, v7
	s_waitcnt lgkmcnt(0)
	v_mov_b32_dpp v8, v4 row_shr:1 row_mask:0xf bank_mask:0xf
	v_add_co_u32_e32 v8, vcc, v4, v8
	v_addc_co_u32_e32 v32, vcc, 0, v5, vcc
	v_mov_b32_dpp v9, v5 row_shr:1 row_mask:0xf bank_mask:0xf
	v_add_co_u32_e32 v33, vcc, 0, v8
	v_addc_co_u32_e32 v9, vcc, v9, v32, vcc
	v_cmp_eq_u32_e32 vcc, 0, v7
	v_cndmask_b32_e32 v8, v8, v4, vcc
	v_cndmask_b32_e32 v32, v9, v5, vcc
	s_nop 0
	v_mov_b32_dpp v8, v8 row_shr:2 row_mask:0xf bank_mask:0xf
	v_mov_b32_dpp v32, v32 row_shr:2 row_mask:0xf bank_mask:0xf
	v_cndmask_b32_e64 v7, 0, v8, s[8:9]
	v_cndmask_b32_e64 v8, 0, v32, s[8:9]
	v_add_co_u32_e64 v7, s[8:9], v7, v33
	v_addc_co_u32_e64 v8, s[8:9], v8, v9, s[8:9]
	v_cndmask_b32_e32 v5, v8, v5, vcc
	v_cndmask_b32_e32 v4, v7, v4, vcc
	ds_write_b64 v6, v[4:5]
.LBB141_47:
	s_or_b64 exec, exec, s[10:11]
	v_cmp_gt_u32_e32 vcc, 64, v0
	v_cmp_lt_u32_e64 s[8:9], 63, v0
	s_waitcnt lgkmcnt(0)
	s_barrier
	s_waitcnt lgkmcnt(0)
                                        ; implicit-def: $vgpr32_vgpr33
	s_and_saveexec_b64 s[10:11], s[8:9]
	s_cbranch_execz .LBB141_49
; %bb.48:
	v_lshl_add_u32 v1, v1, 3, -8
	ds_read_b64 v[32:33], v1
	s_waitcnt lgkmcnt(0)
	v_add_co_u32_e64 v2, s[8:9], v32, v2
	v_addc_co_u32_e64 v3, s[8:9], v33, v3, s[8:9]
.LBB141_49:
	s_or_b64 exec, exec, s[10:11]
	v_add_u32_e32 v1, -1, v23
	v_and_b32_e32 v4, 64, v23
	v_cmp_lt_i32_e64 s[8:9], v1, v4
	v_cndmask_b32_e64 v1, v1, v23, s[8:9]
	v_lshlrev_b32_e32 v1, 2, v1
	ds_bpermute_b32 v40, v1, v2
	ds_bpermute_b32 v1, v1, v3
	s_and_saveexec_b64 s[12:13], vcc
	s_cbranch_execz .LBB141_68
; %bb.50:
	v_mov_b32_e32 v5, 0
	ds_read_b64 v[2:3], v5 offset:24
	s_and_saveexec_b64 s[8:9], s[6:7]
	s_cbranch_execz .LBB141_52
; %bb.51:
	s_add_i32 s10, s24, 64
	s_mov_b32 s11, 0
	s_lshl_b64 s[10:11], s[10:11], 4
	s_add_u32 s10, s22, s10
	s_addc_u32 s11, s23, s11
	v_mov_b32_e32 v4, 1
	v_pk_mov_b32 v[6:7], s[10:11], s[10:11] op_sel:[0,1]
	s_waitcnt lgkmcnt(0)
	;;#ASMSTART
	global_store_dwordx4 v[6:7], v[2:5] off	
s_waitcnt vmcnt(0)
	;;#ASMEND
.LBB141_52:
	s_or_b64 exec, exec, s[8:9]
	v_xad_u32 v34, v23, -1, s24
	v_add_u32_e32 v4, 64, v34
	v_lshlrev_b64 v[6:7], 4, v[4:5]
	v_mov_b32_e32 v4, s23
	v_add_co_u32_e32 v36, vcc, s22, v6
	v_addc_co_u32_e32 v37, vcc, v4, v7, vcc
	;;#ASMSTART
	global_load_dwordx4 v[6:9], v[36:37] off glc	
s_waitcnt vmcnt(0)
	;;#ASMEND
	v_and_b32_e32 v4, 0xff, v7
	v_and_b32_e32 v9, 0xff00, v7
	v_or3_b32 v4, 0, v4, v9
	v_or3_b32 v6, v6, 0, 0
	v_and_b32_e32 v9, 0xff000000, v7
	v_and_b32_e32 v7, 0xff0000, v7
	v_or3_b32 v7, v4, v7, v9
	v_or3_b32 v6, v6, 0, 0
	v_cmp_eq_u16_sdwa s[10:11], v8, v5 src0_sel:BYTE_0 src1_sel:DWORD
	s_and_saveexec_b64 s[8:9], s[10:11]
	s_cbranch_execz .LBB141_56
; %bb.53:
	s_mov_b64 s[10:11], 0
	v_mov_b32_e32 v4, 0
.LBB141_54:                             ; =>This Inner Loop Header: Depth=1
	;;#ASMSTART
	global_load_dwordx4 v[6:9], v[36:37] off glc	
s_waitcnt vmcnt(0)
	;;#ASMEND
	v_cmp_ne_u16_sdwa s[26:27], v8, v4 src0_sel:BYTE_0 src1_sel:DWORD
	s_or_b64 s[10:11], s[26:27], s[10:11]
	s_andn2_b64 exec, exec, s[10:11]
	s_cbranch_execnz .LBB141_54
; %bb.55:
	s_or_b64 exec, exec, s[10:11]
.LBB141_56:
	s_or_b64 exec, exec, s[8:9]
	v_and_b32_e32 v42, 63, v23
	v_mov_b32_e32 v41, 2
	v_cmp_ne_u32_e32 vcc, 63, v42
	v_cmp_eq_u16_sdwa s[8:9], v8, v41 src0_sel:BYTE_0 src1_sel:DWORD
	v_lshlrev_b64 v[36:37], v23, -1
	v_addc_co_u32_e32 v9, vcc, 0, v23, vcc
	v_and_b32_e32 v4, s9, v37
	v_lshlrev_b32_e32 v43, 2, v9
	v_or_b32_e32 v4, 0x80000000, v4
	ds_bpermute_b32 v9, v43, v6
	v_and_b32_e32 v5, s8, v36
	v_ffbl_b32_e32 v4, v4
	v_add_u32_e32 v4, 32, v4
	v_ffbl_b32_e32 v5, v5
	v_min_u32_e32 v4, v5, v4
	ds_bpermute_b32 v5, v43, v7
	s_waitcnt lgkmcnt(1)
	v_add_co_u32_e32 v9, vcc, v6, v9
	v_addc_co_u32_e32 v38, vcc, 0, v7, vcc
	v_add_co_u32_e32 v39, vcc, 0, v9
	v_cmp_gt_u32_e64 s[8:9], 62, v42
	s_waitcnt lgkmcnt(0)
	v_addc_co_u32_e32 v5, vcc, v5, v38, vcc
	v_cndmask_b32_e64 v38, 0, 1, s[8:9]
	v_cmp_lt_u32_e32 vcc, v42, v4
	v_lshlrev_b32_e32 v38, 1, v38
	v_cndmask_b32_e32 v9, v6, v9, vcc
	v_add_lshl_u32 v44, v38, v23, 2
	v_cndmask_b32_e32 v5, v7, v5, vcc
	ds_bpermute_b32 v38, v44, v9
	ds_bpermute_b32 v46, v44, v5
	v_cndmask_b32_e32 v39, v6, v39, vcc
	v_add_u32_e32 v45, 2, v42
	v_cmp_gt_u32_e64 s[10:11], 60, v42
	s_waitcnt lgkmcnt(1)
	v_add_co_u32_e64 v38, s[8:9], v38, v39
	s_waitcnt lgkmcnt(0)
	v_addc_co_u32_e64 v46, s[8:9], v46, v5, s[8:9]
	v_cmp_gt_u32_e64 s[8:9], v45, v4
	v_cndmask_b32_e64 v5, v46, v5, s[8:9]
	v_cndmask_b32_e64 v46, 0, 1, s[10:11]
	v_lshlrev_b32_e32 v46, 2, v46
	v_cndmask_b32_e64 v9, v38, v9, s[8:9]
	v_add_lshl_u32 v46, v46, v23, 2
	ds_bpermute_b32 v48, v46, v9
	v_cndmask_b32_e64 v38, v38, v39, s[8:9]
	ds_bpermute_b32 v39, v46, v5
	v_add_u32_e32 v47, 4, v42
	v_cmp_gt_u32_e64 s[10:11], 56, v42
	s_waitcnt lgkmcnt(1)
	v_add_co_u32_e64 v49, s[8:9], v48, v38
	s_waitcnt lgkmcnt(0)
	v_addc_co_u32_e64 v39, s[8:9], v39, v5, s[8:9]
	v_cmp_gt_u32_e64 s[8:9], v47, v4
	v_cndmask_b32_e64 v5, v39, v5, s[8:9]
	v_cndmask_b32_e64 v39, 0, 1, s[10:11]
	v_lshlrev_b32_e32 v39, 3, v39
	v_cndmask_b32_e64 v9, v49, v9, s[8:9]
	v_add_lshl_u32 v48, v39, v23, 2
	ds_bpermute_b32 v39, v48, v9
	ds_bpermute_b32 v50, v48, v5
	v_cndmask_b32_e64 v38, v49, v38, s[8:9]
	v_add_u32_e32 v49, 8, v42
	v_cmp_gt_u32_e64 s[10:11], 48, v42
	s_waitcnt lgkmcnt(1)
	v_add_co_u32_e64 v39, s[8:9], v39, v38
	s_waitcnt lgkmcnt(0)
	v_addc_co_u32_e64 v50, s[8:9], v50, v5, s[8:9]
	v_cmp_gt_u32_e64 s[8:9], v49, v4
	v_cndmask_b32_e64 v5, v50, v5, s[8:9]
	v_cndmask_b32_e64 v50, 0, 1, s[10:11]
	v_lshlrev_b32_e32 v50, 4, v50
	v_cndmask_b32_e64 v9, v39, v9, s[8:9]
	v_add_lshl_u32 v50, v50, v23, 2
	ds_bpermute_b32 v52, v50, v9
	v_cndmask_b32_e64 v38, v39, v38, s[8:9]
	ds_bpermute_b32 v39, v50, v5
	v_cmp_gt_u32_e64 s[10:11], 32, v42
	v_add_u32_e32 v51, 16, v42
	s_waitcnt lgkmcnt(1)
	v_add_co_u32_e64 v54, s[8:9], v52, v38
	s_waitcnt lgkmcnt(0)
	v_addc_co_u32_e64 v39, s[8:9], v39, v5, s[8:9]
	v_cndmask_b32_e64 v52, 0, 1, s[10:11]
	v_cmp_gt_u32_e64 s[8:9], v51, v4
	v_lshlrev_b32_e32 v52, 5, v52
	v_cndmask_b32_e64 v9, v54, v9, s[8:9]
	v_add_lshl_u32 v52, v52, v23, 2
	v_cndmask_b32_e64 v5, v39, v5, s[8:9]
	ds_bpermute_b32 v9, v52, v9
	ds_bpermute_b32 v39, v52, v5
	v_add_u32_e32 v53, 32, v42
	v_cndmask_b32_e64 v38, v54, v38, s[8:9]
	v_cmp_le_u32_e64 s[8:9], v53, v4
	s_waitcnt lgkmcnt(1)
	v_cndmask_b32_e64 v9, 0, v9, s[8:9]
	s_waitcnt lgkmcnt(0)
	v_cndmask_b32_e64 v4, 0, v39, s[8:9]
	v_add_co_u32_e64 v9, s[8:9], v9, v38
	v_addc_co_u32_e64 v4, s[8:9], v4, v5, s[8:9]
	v_mov_b32_e32 v35, 0
	v_cndmask_b32_e32 v7, v7, v4, vcc
	v_cndmask_b32_e32 v6, v6, v9, vcc
	s_branch .LBB141_58
.LBB141_57:                             ;   in Loop: Header=BB141_58 Depth=1
	s_or_b64 exec, exec, s[8:9]
	v_cmp_eq_u16_sdwa s[8:9], v8, v41 src0_sel:BYTE_0 src1_sel:DWORD
	v_and_b32_e32 v9, s9, v37
	v_or_b32_e32 v9, 0x80000000, v9
	ds_bpermute_b32 v39, v43, v6
	v_and_b32_e32 v38, s8, v36
	v_ffbl_b32_e32 v9, v9
	v_add_u32_e32 v9, 32, v9
	v_ffbl_b32_e32 v38, v38
	v_min_u32_e32 v9, v38, v9
	ds_bpermute_b32 v38, v43, v7
	s_waitcnt lgkmcnt(1)
	v_add_co_u32_e32 v39, vcc, v6, v39
	v_addc_co_u32_e32 v54, vcc, 0, v7, vcc
	v_add_co_u32_e32 v55, vcc, 0, v39
	s_waitcnt lgkmcnt(0)
	v_addc_co_u32_e32 v38, vcc, v38, v54, vcc
	v_cmp_lt_u32_e32 vcc, v42, v9
	v_cndmask_b32_e32 v39, v6, v39, vcc
	ds_bpermute_b32 v54, v44, v39
	v_cndmask_b32_e32 v38, v7, v38, vcc
	ds_bpermute_b32 v56, v44, v38
	v_cndmask_b32_e32 v55, v6, v55, vcc
	v_subrev_u32_e32 v34, 64, v34
	s_waitcnt lgkmcnt(1)
	v_add_co_u32_e64 v54, s[8:9], v54, v55
	s_waitcnt lgkmcnt(0)
	v_addc_co_u32_e64 v56, s[8:9], v56, v38, s[8:9]
	v_cmp_gt_u32_e64 s[8:9], v45, v9
	v_cndmask_b32_e64 v39, v54, v39, s[8:9]
	ds_bpermute_b32 v57, v46, v39
	v_cndmask_b32_e64 v38, v56, v38, s[8:9]
	ds_bpermute_b32 v56, v46, v38
	v_cndmask_b32_e64 v54, v54, v55, s[8:9]
	s_waitcnt lgkmcnt(1)
	v_add_co_u32_e64 v55, s[8:9], v57, v54
	s_waitcnt lgkmcnt(0)
	v_addc_co_u32_e64 v56, s[8:9], v56, v38, s[8:9]
	v_cmp_gt_u32_e64 s[8:9], v47, v9
	v_cndmask_b32_e64 v39, v55, v39, s[8:9]
	ds_bpermute_b32 v57, v48, v39
	v_cndmask_b32_e64 v38, v56, v38, s[8:9]
	ds_bpermute_b32 v56, v48, v38
	v_cndmask_b32_e64 v54, v55, v54, s[8:9]
	;; [unrolled: 10-line block ×3, first 2 shown]
	s_waitcnt lgkmcnt(1)
	v_add_co_u32_e64 v55, s[8:9], v57, v54
	s_waitcnt lgkmcnt(0)
	v_addc_co_u32_e64 v56, s[8:9], v56, v38, s[8:9]
	v_cmp_gt_u32_e64 s[8:9], v51, v9
	v_cndmask_b32_e64 v39, v55, v39, s[8:9]
	v_cndmask_b32_e64 v38, v56, v38, s[8:9]
	ds_bpermute_b32 v39, v52, v39
	ds_bpermute_b32 v56, v52, v38
	v_cndmask_b32_e64 v54, v55, v54, s[8:9]
	v_cmp_le_u32_e64 s[8:9], v53, v9
	s_waitcnt lgkmcnt(1)
	v_cndmask_b32_e64 v39, 0, v39, s[8:9]
	s_waitcnt lgkmcnt(0)
	v_cndmask_b32_e64 v9, 0, v56, s[8:9]
	v_add_co_u32_e64 v39, s[8:9], v39, v54
	v_addc_co_u32_e64 v9, s[8:9], v9, v38, s[8:9]
	v_cndmask_b32_e32 v6, v6, v39, vcc
	v_cndmask_b32_e32 v7, v7, v9, vcc
	v_add_co_u32_e32 v6, vcc, v6, v4
	v_addc_co_u32_e32 v7, vcc, v7, v5, vcc
.LBB141_58:                             ; =>This Loop Header: Depth=1
                                        ;     Child Loop BB141_61 Depth 2
	v_cmp_ne_u16_sdwa s[8:9], v8, v41 src0_sel:BYTE_0 src1_sel:DWORD
	v_cndmask_b32_e64 v4, 0, 1, s[8:9]
	;;#ASMSTART
	;;#ASMEND
	v_cmp_ne_u32_e32 vcc, 0, v4
	s_cmp_lg_u64 vcc, exec
	v_pk_mov_b32 v[4:5], v[6:7], v[6:7] op_sel:[0,1]
	s_cbranch_scc1 .LBB141_63
; %bb.59:                               ;   in Loop: Header=BB141_58 Depth=1
	v_lshlrev_b64 v[6:7], 4, v[34:35]
	v_mov_b32_e32 v8, s23
	v_add_co_u32_e32 v38, vcc, s22, v6
	v_addc_co_u32_e32 v39, vcc, v8, v7, vcc
	;;#ASMSTART
	global_load_dwordx4 v[6:9], v[38:39] off glc	
s_waitcnt vmcnt(0)
	;;#ASMEND
	v_and_b32_e32 v9, 0xff, v7
	v_and_b32_e32 v54, 0xff00, v7
	v_or3_b32 v9, 0, v9, v54
	v_or3_b32 v6, v6, 0, 0
	v_and_b32_e32 v54, 0xff000000, v7
	v_and_b32_e32 v7, 0xff0000, v7
	v_or3_b32 v7, v9, v7, v54
	v_or3_b32 v6, v6, 0, 0
	v_cmp_eq_u16_sdwa s[10:11], v8, v35 src0_sel:BYTE_0 src1_sel:DWORD
	s_and_saveexec_b64 s[8:9], s[10:11]
	s_cbranch_execz .LBB141_57
; %bb.60:                               ;   in Loop: Header=BB141_58 Depth=1
	s_mov_b64 s[10:11], 0
.LBB141_61:                             ;   Parent Loop BB141_58 Depth=1
                                        ; =>  This Inner Loop Header: Depth=2
	;;#ASMSTART
	global_load_dwordx4 v[6:9], v[38:39] off glc	
s_waitcnt vmcnt(0)
	;;#ASMEND
	v_cmp_ne_u16_sdwa s[26:27], v8, v35 src0_sel:BYTE_0 src1_sel:DWORD
	s_or_b64 s[10:11], s[26:27], s[10:11]
	s_andn2_b64 exec, exec, s[10:11]
	s_cbranch_execnz .LBB141_61
; %bb.62:                               ;   in Loop: Header=BB141_58 Depth=1
	s_or_b64 exec, exec, s[10:11]
	s_branch .LBB141_57
.LBB141_63:                             ;   in Loop: Header=BB141_58 Depth=1
                                        ; implicit-def: $vgpr6_vgpr7
                                        ; implicit-def: $vgpr8
	s_cbranch_execz .LBB141_58
; %bb.64:
	s_and_saveexec_b64 s[8:9], s[6:7]
	s_cbranch_execz .LBB141_66
; %bb.65:
	s_add_i32 s10, s24, 64
	s_mov_b32 s11, 0
	s_lshl_b64 s[10:11], s[10:11], 4
	s_add_u32 s10, s22, s10
	v_add_co_u32_e32 v6, vcc, v4, v2
	s_addc_u32 s11, s23, s11
	v_addc_co_u32_e32 v7, vcc, v5, v3, vcc
	v_mov_b32_e32 v8, 2
	v_mov_b32_e32 v9, 0
	v_pk_mov_b32 v[34:35], s[10:11], s[10:11] op_sel:[0,1]
	;;#ASMSTART
	global_store_dwordx4 v[34:35], v[6:9] off	
s_waitcnt vmcnt(0)
	;;#ASMEND
	ds_write_b128 v9, v[2:5] offset:7168
.LBB141_66:
	s_or_b64 exec, exec, s[8:9]
	s_and_b64 exec, exec, s[0:1]
	s_cbranch_execz .LBB141_68
; %bb.67:
	v_mov_b32_e32 v2, 0
	ds_write_b64 v2, v[4:5] offset:24
.LBB141_68:
	s_or_b64 exec, exec, s[12:13]
	v_mov_b32_e32 v5, 0
	s_waitcnt lgkmcnt(0)
	s_barrier
	ds_read_b64 v[2:3], v5 offset:24
	v_cndmask_b32_e64 v4, v40, v32, s[6:7]
	v_cndmask_b32_e64 v1, v1, v33, s[6:7]
	;; [unrolled: 1-line block ×4, first 2 shown]
	s_waitcnt lgkmcnt(0)
	v_add_co_u32_e32 v40, vcc, v2, v4
	v_addc_co_u32_e32 v41, vcc, v3, v1, vcc
	v_add_co_u32_e32 v38, vcc, v40, v28
	v_addc_co_u32_e32 v39, vcc, 0, v41, vcc
	;; [unrolled: 2-line block ×5, first 2 shown]
	s_barrier
	ds_read_b128 v[4:7], v5 offset:7168
	v_add_co_u32_e32 v2, vcc, v32, v20
	v_addc_co_u32_e32 v3, vcc, 0, v33, vcc
	v_add_co_u32_e32 v8, vcc, v2, v18
	v_addc_co_u32_e32 v9, vcc, 0, v3, vcc
	s_branch .LBB141_81
.LBB141_69:
                                        ; implicit-def: $vgpr6_vgpr7
                                        ; implicit-def: $vgpr8_vgpr9
                                        ; implicit-def: $vgpr2_vgpr3
                                        ; implicit-def: $vgpr32_vgpr33
                                        ; implicit-def: $vgpr34_vgpr35
                                        ; implicit-def: $vgpr36_vgpr37
                                        ; implicit-def: $vgpr38_vgpr39
                                        ; implicit-def: $vgpr40_vgpr41
	s_cbranch_execz .LBB141_81
; %bb.70:
	v_mov_b32_dpp v1, v30 row_shr:1 row_mask:0xf bank_mask:0xf
	v_add_co_u32_e32 v1, vcc, v30, v1
	v_mov_b32_e32 v2, 0
	v_addc_co_u32_e32 v3, vcc, 0, v31, vcc
	s_nop 0
	v_mov_b32_dpp v2, v2 row_shr:1 row_mask:0xf bank_mask:0xf
	s_waitcnt lgkmcnt(0)
	v_add_co_u32_e32 v4, vcc, 0, v1
	v_addc_co_u32_e32 v2, vcc, v2, v3, vcc
	v_cndmask_b32_e64 v1, v1, v30, s[4:5]
	v_cndmask_b32_e64 v3, v2, 0, s[4:5]
	;; [unrolled: 1-line block ×3, first 2 shown]
	v_mov_b32_dpp v5, v1 row_shr:2 row_mask:0xf bank_mask:0xf
	v_cndmask_b32_e64 v2, v2, v31, s[4:5]
	v_mov_b32_dpp v6, v3 row_shr:2 row_mask:0xf bank_mask:0xf
	v_add_co_u32_e32 v5, vcc, v5, v4
	v_addc_co_u32_e32 v6, vcc, v6, v2, vcc
	v_cndmask_b32_e64 v1, v1, v5, s[2:3]
	v_cndmask_b32_e64 v3, v3, v6, s[2:3]
	v_cndmask_b32_e64 v4, v4, v5, s[2:3]
	v_mov_b32_dpp v5, v1 row_shr:4 row_mask:0xf bank_mask:0xf
	v_cndmask_b32_e64 v2, v2, v6, s[2:3]
	v_mov_b32_dpp v6, v3 row_shr:4 row_mask:0xf bank_mask:0xf
	v_add_co_u32_e32 v5, vcc, v5, v4
	v_addc_co_u32_e32 v6, vcc, v6, v2, vcc
	v_cmp_lt_u32_e32 vcc, 3, v29
	v_cndmask_b32_e32 v1, v1, v5, vcc
	v_cndmask_b32_e32 v3, v3, v6, vcc
	;; [unrolled: 1-line block ×3, first 2 shown]
	v_mov_b32_dpp v5, v1 row_shr:8 row_mask:0xf bank_mask:0xf
	v_cndmask_b32_e32 v2, v2, v6, vcc
	v_mov_b32_dpp v6, v3 row_shr:8 row_mask:0xf bank_mask:0xf
	v_add_co_u32_e32 v5, vcc, v5, v4
	v_addc_co_u32_e32 v6, vcc, v6, v2, vcc
	v_cmp_lt_u32_e32 vcc, 7, v29
	v_cndmask_b32_e32 v8, v1, v5, vcc
	v_cndmask_b32_e32 v7, v3, v6, vcc
	;; [unrolled: 1-line block ×4, first 2 shown]
	v_mov_b32_dpp v3, v8 row_bcast:15 row_mask:0xf bank_mask:0xf
	v_mov_b32_dpp v4, v7 row_bcast:15 row_mask:0xf bank_mask:0xf
	v_add_co_u32_e32 v3, vcc, v3, v2
	v_addc_co_u32_e32 v5, vcc, v4, v1, vcc
	v_cmp_eq_u32_e64 s[2:3], 0, v27
	v_cndmask_b32_e64 v6, v5, v7, s[2:3]
	v_cndmask_b32_e64 v4, v3, v8, s[2:3]
	v_cmp_eq_u32_e32 vcc, 0, v23
	v_mov_b32_dpp v6, v6 row_bcast:31 row_mask:0xf bank_mask:0xf
	v_mov_b32_dpp v4, v4 row_bcast:31 row_mask:0xf bank_mask:0xf
	v_cmp_ne_u32_e64 s[4:5], 0, v23
	s_and_saveexec_b64 s[6:7], s[4:5]
; %bb.71:
	v_cndmask_b32_e64 v1, v5, v1, s[2:3]
	v_cndmask_b32_e64 v2, v3, v2, s[2:3]
	v_cmp_lt_u32_e64 s[2:3], 31, v23
	v_cndmask_b32_e64 v4, 0, v4, s[2:3]
	v_cndmask_b32_e64 v3, 0, v6, s[2:3]
	v_add_co_u32_e64 v30, s[2:3], v4, v2
	v_addc_co_u32_e64 v31, s[2:3], v3, v1, s[2:3]
; %bb.72:
	s_or_b64 exec, exec, s[6:7]
	v_or_b32_e32 v2, 63, v0
	v_lshrrev_b32_e32 v1, 6, v0
	v_cmp_eq_u32_e64 s[2:3], v2, v0
	s_and_saveexec_b64 s[4:5], s[2:3]
	s_cbranch_execz .LBB141_74
; %bb.73:
	v_lshlrev_b32_e32 v2, 3, v1
	ds_write_b64 v2, v[30:31]
.LBB141_74:
	s_or_b64 exec, exec, s[4:5]
	v_cmp_gt_u32_e64 s[2:3], 4, v0
	s_waitcnt lgkmcnt(0)
	s_barrier
	s_and_saveexec_b64 s[6:7], s[2:3]
	s_cbranch_execz .LBB141_76
; %bb.75:
	v_add_u32_e32 v4, v25, v0
	ds_read_b64 v[2:3], v4
	v_and_b32_e32 v5, 3, v23
	v_cmp_ne_u32_e64 s[4:5], 1, v5
	s_waitcnt lgkmcnt(0)
	v_mov_b32_dpp v6, v2 row_shr:1 row_mask:0xf bank_mask:0xf
	v_add_co_u32_e64 v6, s[2:3], v2, v6
	v_addc_co_u32_e64 v8, s[2:3], 0, v3, s[2:3]
	v_mov_b32_dpp v7, v3 row_shr:1 row_mask:0xf bank_mask:0xf
	v_add_co_u32_e64 v9, s[2:3], 0, v6
	v_addc_co_u32_e64 v7, s[2:3], v7, v8, s[2:3]
	v_cmp_eq_u32_e64 s[2:3], 0, v5
	v_cndmask_b32_e64 v6, v6, v2, s[2:3]
	v_cndmask_b32_e64 v8, v7, v3, s[2:3]
	s_nop 0
	v_mov_b32_dpp v6, v6 row_shr:2 row_mask:0xf bank_mask:0xf
	v_mov_b32_dpp v8, v8 row_shr:2 row_mask:0xf bank_mask:0xf
	v_cndmask_b32_e64 v5, 0, v6, s[4:5]
	v_cndmask_b32_e64 v6, 0, v8, s[4:5]
	v_add_co_u32_e64 v5, s[4:5], v5, v9
	v_addc_co_u32_e64 v6, s[4:5], v6, v7, s[4:5]
	v_cndmask_b32_e64 v3, v6, v3, s[2:3]
	v_cndmask_b32_e64 v2, v5, v2, s[2:3]
	ds_write_b64 v4, v[2:3]
.LBB141_76:
	s_or_b64 exec, exec, s[6:7]
	v_cmp_lt_u32_e64 s[2:3], 63, v0
	v_pk_mov_b32 v[2:3], 0, 0
	s_waitcnt lgkmcnt(0)
	s_barrier
	s_and_saveexec_b64 s[4:5], s[2:3]
	s_cbranch_execz .LBB141_78
; %bb.77:
	v_lshl_add_u32 v1, v1, 3, -8
	ds_read_b64 v[2:3], v1
.LBB141_78:
	s_or_b64 exec, exec, s[4:5]
	s_waitcnt lgkmcnt(0)
	v_add_co_u32_e64 v1, s[2:3], v2, v30
	v_addc_co_u32_e64 v4, s[2:3], v3, v31, s[2:3]
	v_add_u32_e32 v5, -1, v23
	v_and_b32_e32 v6, 64, v23
	v_cmp_lt_i32_e64 s[2:3], v5, v6
	v_cndmask_b32_e64 v5, v5, v23, s[2:3]
	v_lshlrev_b32_e32 v5, 2, v5
	v_mov_b32_e32 v7, 0
	ds_bpermute_b32 v1, v5, v1
	ds_bpermute_b32 v8, v5, v4
	ds_read_b64 v[4:5], v7 offset:24
	s_and_saveexec_b64 s[2:3], s[0:1]
	s_cbranch_execz .LBB141_80
; %bb.79:
	s_add_u32 s4, s22, 0x400
	s_addc_u32 s5, s23, 0
	v_mov_b32_e32 v6, 2
	v_pk_mov_b32 v[30:31], s[4:5], s[4:5] op_sel:[0,1]
	s_waitcnt lgkmcnt(0)
	;;#ASMSTART
	global_store_dwordx4 v[30:31], v[4:7] off	
s_waitcnt vmcnt(0)
	;;#ASMEND
.LBB141_80:
	s_or_b64 exec, exec, s[2:3]
	s_waitcnt lgkmcnt(2)
	v_cndmask_b32_e32 v1, v1, v2, vcc
	s_waitcnt lgkmcnt(1)
	v_cndmask_b32_e32 v2, v8, v3, vcc
	v_cndmask_b32_e64 v40, v1, 0, s[0:1]
	v_cndmask_b32_e64 v41, v2, 0, s[0:1]
	v_add_co_u32_e32 v38, vcc, v40, v28
	v_addc_co_u32_e32 v39, vcc, 0, v41, vcc
	v_add_co_u32_e32 v36, vcc, v38, v26
	v_addc_co_u32_e32 v37, vcc, 0, v39, vcc
	;; [unrolled: 2-line block ×6, first 2 shown]
	s_waitcnt lgkmcnt(0)
	s_barrier
	v_pk_mov_b32 v[6:7], 0, 0
.LBB141_81:
	s_mov_b64 s[2:3], 0x101
	s_waitcnt lgkmcnt(0)
	v_cmp_gt_u64_e32 vcc, s[2:3], v[4:5]
	s_mov_b64 s[2:3], -1
	s_cbranch_vccnz .LBB141_85
; %bb.82:
	s_and_b64 vcc, exec, s[2:3]
	s_cbranch_vccnz .LBB141_107
.LBB141_83:
	s_and_b64 s[0:1], s[0:1], s[18:19]
	s_and_saveexec_b64 s[2:3], s[0:1]
	s_cbranch_execnz .LBB141_126
.LBB141_84:
	s_endpgm
.LBB141_85:
	v_add_co_u32_e32 v30, vcc, v6, v4
	v_addc_co_u32_e32 v31, vcc, v7, v5, vcc
	s_waitcnt vmcnt(0)
	v_lshlrev_b64 v[42:43], 2, v[12:13]
	v_mov_b32_e32 v23, s15
	v_add_co_u32_e32 v1, vcc, s14, v42
	v_addc_co_u32_e32 v23, vcc, v23, v43, vcc
	v_cmp_lt_u64_e32 vcc, v[40:41], v[30:31]
	s_or_b64 s[4:5], s[20:21], vcc
	s_and_saveexec_b64 s[2:3], s[4:5]
	s_cbranch_execz .LBB141_88
; %bb.86:
	v_cmp_eq_u32_e32 vcc, 1, v28
	s_and_b64 exec, exec, vcc
	s_cbranch_execz .LBB141_88
; %bb.87:
	v_lshlrev_b64 v[42:43], 2, v[40:41]
	v_add_co_u32_e32 v42, vcc, v1, v42
	v_addc_co_u32_e32 v43, vcc, v23, v43, vcc
	global_store_dword v[42:43], v16, off
.LBB141_88:
	s_or_b64 exec, exec, s[2:3]
	v_cmp_lt_u64_e32 vcc, v[38:39], v[30:31]
	s_or_b64 s[4:5], s[20:21], vcc
	s_and_saveexec_b64 s[2:3], s[4:5]
	s_cbranch_execz .LBB141_91
; %bb.89:
	v_cmp_eq_u32_e32 vcc, 1, v26
	s_and_b64 exec, exec, vcc
	s_cbranch_execz .LBB141_91
; %bb.90:
	v_lshlrev_b64 v[42:43], 2, v[38:39]
	v_add_co_u32_e32 v42, vcc, v1, v42
	v_addc_co_u32_e32 v43, vcc, v23, v43, vcc
	global_store_dword v[42:43], v17, off
.LBB141_91:
	s_or_b64 exec, exec, s[2:3]
	;; [unrolled: 15-line block ×7, first 2 shown]
	s_branch .LBB141_83
.LBB141_107:
	v_cmp_eq_u32_e32 vcc, 1, v28
	s_and_saveexec_b64 s[2:3], vcc
	s_cbranch_execnz .LBB141_127
; %bb.108:
	s_or_b64 exec, exec, s[2:3]
	v_cmp_eq_u32_e32 vcc, 1, v26
	s_and_saveexec_b64 s[2:3], vcc
	s_cbranch_execnz .LBB141_128
.LBB141_109:
	s_or_b64 exec, exec, s[2:3]
	v_cmp_eq_u32_e32 vcc, 1, v24
	s_and_saveexec_b64 s[2:3], vcc
	s_cbranch_execnz .LBB141_129
.LBB141_110:
	s_or_b64 exec, exec, s[2:3]
	v_cmp_eq_u32_e32 vcc, 1, v22
	s_and_saveexec_b64 s[2:3], vcc
	s_cbranch_execnz .LBB141_130
.LBB141_111:
	s_or_b64 exec, exec, s[2:3]
	v_cmp_eq_u32_e32 vcc, 1, v20
	s_and_saveexec_b64 s[2:3], vcc
	s_cbranch_execnz .LBB141_131
.LBB141_112:
	s_or_b64 exec, exec, s[2:3]
	v_cmp_eq_u32_e32 vcc, 1, v18
	s_and_saveexec_b64 s[2:3], vcc
	s_cbranch_execnz .LBB141_132
.LBB141_113:
	s_or_b64 exec, exec, s[2:3]
	v_cmp_eq_u32_e32 vcc, 1, v21
	s_and_saveexec_b64 s[2:3], vcc
	s_cbranch_execz .LBB141_115
.LBB141_114:
	v_sub_u32_e32 v1, v8, v6
	v_lshlrev_b32_e32 v1, 2, v1
	ds_write_b32 v1, v19
.LBB141_115:
	s_or_b64 exec, exec, s[2:3]
	v_mov_b32_e32 v1, 0
	v_cmp_gt_u64_e32 vcc, v[4:5], v[0:1]
	s_waitcnt lgkmcnt(0)
	s_barrier
	s_and_saveexec_b64 s[8:9], vcc
	s_cbranch_execz .LBB141_125
; %bb.116:
	v_not_b32_e32 v3, v0
	v_not_b32_e32 v2, 0
	v_add_co_u32_e32 v8, vcc, v4, v3
	v_addc_co_u32_e32 v9, vcc, v5, v2, vcc
	s_mov_b64 s[2:3], 0x2f00
	s_mov_b64 s[4:5], 0x2eff
	v_cmp_gt_u64_e64 s[2:3], s[2:3], v[8:9]
	v_cmp_lt_u64_e32 vcc, s[4:5], v[8:9]
	v_pk_mov_b32 v[2:3], v[0:1], v[0:1] op_sel:[0,1]
	s_and_saveexec_b64 s[10:11], vcc
	s_cbranch_execz .LBB141_122
; %bb.117:
	v_alignbit_b32 v2, v9, v8, 8
	s_mov_b32 s4, 0xffffff
	s_mov_b32 s6, -1
	v_lshlrev_b32_e32 v3, 8, v2
	v_cmp_lt_u32_e32 vcc, s4, v2
	v_not_b32_e32 v2, v0
	s_movk_i32 s7, 0xff
	v_cmp_gt_u32_e64 s[4:5], v3, v2
	v_xor_b32_e32 v2, 0xfffffeff, v0
	v_cmp_lt_u64_e64 s[6:7], s[6:7], v[8:9]
	s_or_b64 s[12:13], s[4:5], vcc
	v_cmp_lt_u32_e64 s[4:5], v2, v3
	s_or_b64 s[6:7], vcc, s[6:7]
	s_or_b64 s[4:5], s[6:7], s[4:5]
	s_or_b64 s[6:7], s[12:13], s[4:5]
	s_mov_b64 s[4:5], -1
	s_xor_b64 s[12:13], s[6:7], -1
	v_pk_mov_b32 v[2:3], v[0:1], v[0:1] op_sel:[0,1]
	s_and_saveexec_b64 s[6:7], s[12:13]
	s_cbranch_execz .LBB141_121
; %bb.118:
	v_lshrrev_b64 v[2:3], 8, v[8:9]
	v_add_co_u32_e32 v14, vcc, 1, v2
	v_addc_co_u32_e32 v15, vcc, 0, v3, vcc
	v_lshlrev_b64 v[8:9], 2, v[6:7]
	s_waitcnt vmcnt(0)
	v_lshlrev_b64 v[10:11], 2, v[12:13]
	v_add_co_u32_e32 v8, vcc, v8, v10
	v_addc_co_u32_e32 v9, vcc, v9, v11, vcc
	v_mov_b32_e32 v11, s15
	v_add_co_u32_e32 v8, vcc, s14, v8
	v_lshlrev_b32_e32 v10, 2, v0
	v_addc_co_u32_e32 v9, vcc, v11, v9, vcc
	v_add_co_u32_e32 v8, vcc, v8, v10
	v_addc_co_u32_e32 v9, vcc, 0, v9, vcc
	s_movk_i32 s4, 0x400
	v_or_b32_e32 v2, 0x100, v0
	v_mov_b32_e32 v3, v1
	v_add_co_u32_e32 v18, vcc, s4, v8
	v_and_b32_e32 v16, -2, v14
	v_mov_b32_e32 v17, v15
	v_addc_co_u32_e32 v19, vcc, 0, v9, vcc
	v_pk_mov_b32 v[10:11], v[2:3], v[2:3] op_sel:[0,1]
	s_mov_b64 s[12:13], 0
	v_pk_mov_b32 v[20:21], v[16:17], v[16:17] op_sel:[0,1]
	v_pk_mov_b32 v[8:9], v[0:1], v[0:1] op_sel:[0,1]
.LBB141_119:                            ; =>This Inner Loop Header: Depth=1
	v_lshlrev_b32_e32 v1, 2, v8
	v_lshlrev_b32_e32 v2, 2, v10
	ds_read_b32 v1, v1
	ds_read_b32 v2, v2
	v_add_co_u32_e32 v10, vcc, 0x200, v10
	v_addc_co_u32_e32 v11, vcc, 0, v11, vcc
	v_add_co_u32_e64 v20, s[4:5], -2, v20
	v_add_co_u32_e32 v8, vcc, 0x200, v8
	v_addc_co_u32_e64 v21, s[4:5], -1, v21, s[4:5]
	v_addc_co_u32_e32 v9, vcc, 0, v9, vcc
	v_cmp_eq_u64_e64 s[4:5], 0, v[20:21]
	s_waitcnt lgkmcnt(1)
	global_store_dword v[18:19], v1, off offset:-1024
	s_waitcnt lgkmcnt(0)
	global_store_dword v[18:19], v2, off
	v_add_co_u32_e32 v18, vcc, 0x800, v18
	s_or_b64 s[12:13], s[4:5], s[12:13]
	v_addc_co_u32_e32 v19, vcc, 0, v19, vcc
	s_andn2_b64 exec, exec, s[12:13]
	s_cbranch_execnz .LBB141_119
; %bb.120:
	s_or_b64 exec, exec, s[12:13]
	v_lshlrev_b64 v[2:3], 8, v[16:17]
	v_cmp_ne_u64_e32 vcc, v[14:15], v[16:17]
	v_or_b32_e32 v3, 0, v3
	v_or_b32_e32 v2, v2, v0
	v_lshl_or_b32 v0, v16, 8, v0
	s_orn2_b64 s[4:5], vcc, exec
.LBB141_121:
	s_or_b64 exec, exec, s[6:7]
	s_andn2_b64 s[2:3], s[2:3], exec
	s_and_b64 s[4:5], s[4:5], exec
	s_or_b64 s[2:3], s[2:3], s[4:5]
.LBB141_122:
	s_or_b64 exec, exec, s[10:11]
	s_and_b64 exec, exec, s[2:3]
	s_cbranch_execz .LBB141_125
; %bb.123:
	v_lshlrev_b64 v[8:9], 2, v[6:7]
	v_mov_b32_e32 v1, s15
	v_add_co_u32_e32 v10, vcc, s14, v8
	v_addc_co_u32_e32 v1, vcc, v1, v9, vcc
	s_waitcnt vmcnt(0)
	v_lshlrev_b64 v[8:9], 2, v[12:13]
	v_add_co_u32_e32 v8, vcc, v10, v8
	v_addc_co_u32_e32 v9, vcc, v1, v9, vcc
	v_add_u32_e32 v0, 0x100, v0
	s_mov_b64 s[4:5], 0
	v_mov_b32_e32 v1, 0
.LBB141_124:                            ; =>This Inner Loop Header: Depth=1
	v_lshlrev_b32_e32 v14, 2, v2
	ds_read_b32 v14, v14
	v_lshlrev_b64 v[10:11], 2, v[2:3]
	v_cmp_le_u64_e32 vcc, v[4:5], v[0:1]
	v_add_co_u32_e64 v10, s[2:3], v8, v10
	v_pk_mov_b32 v[2:3], v[0:1], v[0:1] op_sel:[0,1]
	v_add_u32_e32 v0, 0x100, v0
	v_addc_co_u32_e64 v11, s[2:3], v9, v11, s[2:3]
	s_or_b64 s[4:5], vcc, s[4:5]
	s_waitcnt lgkmcnt(0)
	global_store_dword v[10:11], v14, off
	s_andn2_b64 exec, exec, s[4:5]
	s_cbranch_execnz .LBB141_124
.LBB141_125:
	s_or_b64 exec, exec, s[8:9]
	s_and_b64 s[0:1], s[0:1], s[18:19]
	s_and_saveexec_b64 s[2:3], s[0:1]
	s_cbranch_execz .LBB141_84
.LBB141_126:
	v_add_co_u32_e32 v0, vcc, v6, v4
	v_addc_co_u32_e32 v1, vcc, v7, v5, vcc
	s_waitcnt vmcnt(0)
	v_add_co_u32_e32 v0, vcc, v0, v12
	v_mov_b32_e32 v2, 0
	v_addc_co_u32_e32 v1, vcc, v1, v13, vcc
	global_store_dwordx2 v2, v[0:1], s[16:17]
	s_endpgm
.LBB141_127:
	v_sub_u32_e32 v1, v40, v6
	v_lshlrev_b32_e32 v1, 2, v1
	ds_write_b32 v1, v16
	s_or_b64 exec, exec, s[2:3]
	v_cmp_eq_u32_e32 vcc, 1, v26
	s_and_saveexec_b64 s[2:3], vcc
	s_cbranch_execz .LBB141_109
.LBB141_128:
	v_sub_u32_e32 v1, v38, v6
	v_lshlrev_b32_e32 v1, 2, v1
	ds_write_b32 v1, v17
	s_or_b64 exec, exec, s[2:3]
	v_cmp_eq_u32_e32 vcc, 1, v24
	s_and_saveexec_b64 s[2:3], vcc
	s_cbranch_execz .LBB141_110
.LBB141_129:
	v_sub_u32_e32 v1, v36, v6
	v_lshlrev_b32_e32 v1, 2, v1
	ds_write_b32 v1, v14
	s_or_b64 exec, exec, s[2:3]
	v_cmp_eq_u32_e32 vcc, 1, v22
	s_and_saveexec_b64 s[2:3], vcc
	s_cbranch_execz .LBB141_111
.LBB141_130:
	v_sub_u32_e32 v1, v34, v6
	v_lshlrev_b32_e32 v1, 2, v1
	ds_write_b32 v1, v15
	s_or_b64 exec, exec, s[2:3]
	v_cmp_eq_u32_e32 vcc, 1, v20
	s_and_saveexec_b64 s[2:3], vcc
	s_cbranch_execz .LBB141_112
.LBB141_131:
	v_sub_u32_e32 v1, v32, v6
	v_lshlrev_b32_e32 v1, 2, v1
	ds_write_b32 v1, v10
	s_or_b64 exec, exec, s[2:3]
	v_cmp_eq_u32_e32 vcc, 1, v18
	s_and_saveexec_b64 s[2:3], vcc
	s_cbranch_execz .LBB141_113
.LBB141_132:
	v_sub_u32_e32 v1, v2, v6
	v_lshlrev_b32_e32 v1, 2, v1
	ds_write_b32 v1, v11
	s_or_b64 exec, exec, s[2:3]
	v_cmp_eq_u32_e32 vcc, 1, v21
	s_and_saveexec_b64 s[2:3], vcc
	s_cbranch_execnz .LBB141_114
	s_branch .LBB141_115
	.section	.rodata,"a",@progbits
	.p2align	6, 0x0
	.amdhsa_kernel _ZN7rocprim17ROCPRIM_400000_NS6detail17trampoline_kernelINS0_14default_configENS1_25partition_config_selectorILNS1_17partition_subalgoE5EiNS0_10empty_typeEbEEZZNS1_14partition_implILS5_5ELb0ES3_mPiPS6_N6thrust23THRUST_200600_302600_NS18transform_iteratorINSC_6detail9not_fun_tIN6dUtils8isNotOneIiEEEES9_NSC_11use_defaultESK_EENS0_5tupleIJS9_S6_EEENSM_IJSA_SA_EEES6_PlJS6_EEE10hipError_tPvRmT3_T4_T5_T6_T7_T9_mT8_P12ihipStream_tbDpT10_ENKUlT_T0_E_clISt17integral_constantIbLb0EES18_IbLb1EEEEDaS14_S15_EUlS14_E_NS1_11comp_targetILNS1_3genE4ELNS1_11target_archE910ELNS1_3gpuE8ELNS1_3repE0EEENS1_30default_config_static_selectorELNS0_4arch9wavefront6targetE1EEEvT1_
		.amdhsa_group_segment_fixed_size 7184
		.amdhsa_private_segment_fixed_size 0
		.amdhsa_kernarg_size 136
		.amdhsa_user_sgpr_count 6
		.amdhsa_user_sgpr_private_segment_buffer 1
		.amdhsa_user_sgpr_dispatch_ptr 0
		.amdhsa_user_sgpr_queue_ptr 0
		.amdhsa_user_sgpr_kernarg_segment_ptr 1
		.amdhsa_user_sgpr_dispatch_id 0
		.amdhsa_user_sgpr_flat_scratch_init 0
		.amdhsa_user_sgpr_kernarg_preload_length 0
		.amdhsa_user_sgpr_kernarg_preload_offset 0
		.amdhsa_user_sgpr_private_segment_size 0
		.amdhsa_uses_dynamic_stack 0
		.amdhsa_system_sgpr_private_segment_wavefront_offset 0
		.amdhsa_system_sgpr_workgroup_id_x 1
		.amdhsa_system_sgpr_workgroup_id_y 0
		.amdhsa_system_sgpr_workgroup_id_z 0
		.amdhsa_system_sgpr_workgroup_info 0
		.amdhsa_system_vgpr_workitem_id 0
		.amdhsa_next_free_vgpr 58
		.amdhsa_next_free_sgpr 28
		.amdhsa_accum_offset 60
		.amdhsa_reserve_vcc 1
		.amdhsa_reserve_flat_scratch 0
		.amdhsa_float_round_mode_32 0
		.amdhsa_float_round_mode_16_64 0
		.amdhsa_float_denorm_mode_32 3
		.amdhsa_float_denorm_mode_16_64 3
		.amdhsa_dx10_clamp 1
		.amdhsa_ieee_mode 1
		.amdhsa_fp16_overflow 0
		.amdhsa_tg_split 0
		.amdhsa_exception_fp_ieee_invalid_op 0
		.amdhsa_exception_fp_denorm_src 0
		.amdhsa_exception_fp_ieee_div_zero 0
		.amdhsa_exception_fp_ieee_overflow 0
		.amdhsa_exception_fp_ieee_underflow 0
		.amdhsa_exception_fp_ieee_inexact 0
		.amdhsa_exception_int_div_zero 0
	.end_amdhsa_kernel
	.section	.text._ZN7rocprim17ROCPRIM_400000_NS6detail17trampoline_kernelINS0_14default_configENS1_25partition_config_selectorILNS1_17partition_subalgoE5EiNS0_10empty_typeEbEEZZNS1_14partition_implILS5_5ELb0ES3_mPiPS6_N6thrust23THRUST_200600_302600_NS18transform_iteratorINSC_6detail9not_fun_tIN6dUtils8isNotOneIiEEEES9_NSC_11use_defaultESK_EENS0_5tupleIJS9_S6_EEENSM_IJSA_SA_EEES6_PlJS6_EEE10hipError_tPvRmT3_T4_T5_T6_T7_T9_mT8_P12ihipStream_tbDpT10_ENKUlT_T0_E_clISt17integral_constantIbLb0EES18_IbLb1EEEEDaS14_S15_EUlS14_E_NS1_11comp_targetILNS1_3genE4ELNS1_11target_archE910ELNS1_3gpuE8ELNS1_3repE0EEENS1_30default_config_static_selectorELNS0_4arch9wavefront6targetE1EEEvT1_,"axG",@progbits,_ZN7rocprim17ROCPRIM_400000_NS6detail17trampoline_kernelINS0_14default_configENS1_25partition_config_selectorILNS1_17partition_subalgoE5EiNS0_10empty_typeEbEEZZNS1_14partition_implILS5_5ELb0ES3_mPiPS6_N6thrust23THRUST_200600_302600_NS18transform_iteratorINSC_6detail9not_fun_tIN6dUtils8isNotOneIiEEEES9_NSC_11use_defaultESK_EENS0_5tupleIJS9_S6_EEENSM_IJSA_SA_EEES6_PlJS6_EEE10hipError_tPvRmT3_T4_T5_T6_T7_T9_mT8_P12ihipStream_tbDpT10_ENKUlT_T0_E_clISt17integral_constantIbLb0EES18_IbLb1EEEEDaS14_S15_EUlS14_E_NS1_11comp_targetILNS1_3genE4ELNS1_11target_archE910ELNS1_3gpuE8ELNS1_3repE0EEENS1_30default_config_static_selectorELNS0_4arch9wavefront6targetE1EEEvT1_,comdat
.Lfunc_end141:
	.size	_ZN7rocprim17ROCPRIM_400000_NS6detail17trampoline_kernelINS0_14default_configENS1_25partition_config_selectorILNS1_17partition_subalgoE5EiNS0_10empty_typeEbEEZZNS1_14partition_implILS5_5ELb0ES3_mPiPS6_N6thrust23THRUST_200600_302600_NS18transform_iteratorINSC_6detail9not_fun_tIN6dUtils8isNotOneIiEEEES9_NSC_11use_defaultESK_EENS0_5tupleIJS9_S6_EEENSM_IJSA_SA_EEES6_PlJS6_EEE10hipError_tPvRmT3_T4_T5_T6_T7_T9_mT8_P12ihipStream_tbDpT10_ENKUlT_T0_E_clISt17integral_constantIbLb0EES18_IbLb1EEEEDaS14_S15_EUlS14_E_NS1_11comp_targetILNS1_3genE4ELNS1_11target_archE910ELNS1_3gpuE8ELNS1_3repE0EEENS1_30default_config_static_selectorELNS0_4arch9wavefront6targetE1EEEvT1_, .Lfunc_end141-_ZN7rocprim17ROCPRIM_400000_NS6detail17trampoline_kernelINS0_14default_configENS1_25partition_config_selectorILNS1_17partition_subalgoE5EiNS0_10empty_typeEbEEZZNS1_14partition_implILS5_5ELb0ES3_mPiPS6_N6thrust23THRUST_200600_302600_NS18transform_iteratorINSC_6detail9not_fun_tIN6dUtils8isNotOneIiEEEES9_NSC_11use_defaultESK_EENS0_5tupleIJS9_S6_EEENSM_IJSA_SA_EEES6_PlJS6_EEE10hipError_tPvRmT3_T4_T5_T6_T7_T9_mT8_P12ihipStream_tbDpT10_ENKUlT_T0_E_clISt17integral_constantIbLb0EES18_IbLb1EEEEDaS14_S15_EUlS14_E_NS1_11comp_targetILNS1_3genE4ELNS1_11target_archE910ELNS1_3gpuE8ELNS1_3repE0EEENS1_30default_config_static_selectorELNS0_4arch9wavefront6targetE1EEEvT1_
                                        ; -- End function
	.section	.AMDGPU.csdata,"",@progbits
; Kernel info:
; codeLenInByte = 6700
; NumSgprs: 32
; NumVgprs: 58
; NumAgprs: 0
; TotalNumVgprs: 58
; ScratchSize: 0
; MemoryBound: 0
; FloatMode: 240
; IeeeMode: 1
; LDSByteSize: 7184 bytes/workgroup (compile time only)
; SGPRBlocks: 3
; VGPRBlocks: 7
; NumSGPRsForWavesPerEU: 32
; NumVGPRsForWavesPerEU: 58
; AccumOffset: 60
; Occupancy: 8
; WaveLimiterHint : 1
; COMPUTE_PGM_RSRC2:SCRATCH_EN: 0
; COMPUTE_PGM_RSRC2:USER_SGPR: 6
; COMPUTE_PGM_RSRC2:TRAP_HANDLER: 0
; COMPUTE_PGM_RSRC2:TGID_X_EN: 1
; COMPUTE_PGM_RSRC2:TGID_Y_EN: 0
; COMPUTE_PGM_RSRC2:TGID_Z_EN: 0
; COMPUTE_PGM_RSRC2:TIDIG_COMP_CNT: 0
; COMPUTE_PGM_RSRC3_GFX90A:ACCUM_OFFSET: 14
; COMPUTE_PGM_RSRC3_GFX90A:TG_SPLIT: 0
	.section	.text._ZN7rocprim17ROCPRIM_400000_NS6detail17trampoline_kernelINS0_14default_configENS1_25partition_config_selectorILNS1_17partition_subalgoE5EiNS0_10empty_typeEbEEZZNS1_14partition_implILS5_5ELb0ES3_mPiPS6_N6thrust23THRUST_200600_302600_NS18transform_iteratorINSC_6detail9not_fun_tIN6dUtils8isNotOneIiEEEES9_NSC_11use_defaultESK_EENS0_5tupleIJS9_S6_EEENSM_IJSA_SA_EEES6_PlJS6_EEE10hipError_tPvRmT3_T4_T5_T6_T7_T9_mT8_P12ihipStream_tbDpT10_ENKUlT_T0_E_clISt17integral_constantIbLb0EES18_IbLb1EEEEDaS14_S15_EUlS14_E_NS1_11comp_targetILNS1_3genE3ELNS1_11target_archE908ELNS1_3gpuE7ELNS1_3repE0EEENS1_30default_config_static_selectorELNS0_4arch9wavefront6targetE1EEEvT1_,"axG",@progbits,_ZN7rocprim17ROCPRIM_400000_NS6detail17trampoline_kernelINS0_14default_configENS1_25partition_config_selectorILNS1_17partition_subalgoE5EiNS0_10empty_typeEbEEZZNS1_14partition_implILS5_5ELb0ES3_mPiPS6_N6thrust23THRUST_200600_302600_NS18transform_iteratorINSC_6detail9not_fun_tIN6dUtils8isNotOneIiEEEES9_NSC_11use_defaultESK_EENS0_5tupleIJS9_S6_EEENSM_IJSA_SA_EEES6_PlJS6_EEE10hipError_tPvRmT3_T4_T5_T6_T7_T9_mT8_P12ihipStream_tbDpT10_ENKUlT_T0_E_clISt17integral_constantIbLb0EES18_IbLb1EEEEDaS14_S15_EUlS14_E_NS1_11comp_targetILNS1_3genE3ELNS1_11target_archE908ELNS1_3gpuE7ELNS1_3repE0EEENS1_30default_config_static_selectorELNS0_4arch9wavefront6targetE1EEEvT1_,comdat
	.protected	_ZN7rocprim17ROCPRIM_400000_NS6detail17trampoline_kernelINS0_14default_configENS1_25partition_config_selectorILNS1_17partition_subalgoE5EiNS0_10empty_typeEbEEZZNS1_14partition_implILS5_5ELb0ES3_mPiPS6_N6thrust23THRUST_200600_302600_NS18transform_iteratorINSC_6detail9not_fun_tIN6dUtils8isNotOneIiEEEES9_NSC_11use_defaultESK_EENS0_5tupleIJS9_S6_EEENSM_IJSA_SA_EEES6_PlJS6_EEE10hipError_tPvRmT3_T4_T5_T6_T7_T9_mT8_P12ihipStream_tbDpT10_ENKUlT_T0_E_clISt17integral_constantIbLb0EES18_IbLb1EEEEDaS14_S15_EUlS14_E_NS1_11comp_targetILNS1_3genE3ELNS1_11target_archE908ELNS1_3gpuE7ELNS1_3repE0EEENS1_30default_config_static_selectorELNS0_4arch9wavefront6targetE1EEEvT1_ ; -- Begin function _ZN7rocprim17ROCPRIM_400000_NS6detail17trampoline_kernelINS0_14default_configENS1_25partition_config_selectorILNS1_17partition_subalgoE5EiNS0_10empty_typeEbEEZZNS1_14partition_implILS5_5ELb0ES3_mPiPS6_N6thrust23THRUST_200600_302600_NS18transform_iteratorINSC_6detail9not_fun_tIN6dUtils8isNotOneIiEEEES9_NSC_11use_defaultESK_EENS0_5tupleIJS9_S6_EEENSM_IJSA_SA_EEES6_PlJS6_EEE10hipError_tPvRmT3_T4_T5_T6_T7_T9_mT8_P12ihipStream_tbDpT10_ENKUlT_T0_E_clISt17integral_constantIbLb0EES18_IbLb1EEEEDaS14_S15_EUlS14_E_NS1_11comp_targetILNS1_3genE3ELNS1_11target_archE908ELNS1_3gpuE7ELNS1_3repE0EEENS1_30default_config_static_selectorELNS0_4arch9wavefront6targetE1EEEvT1_
	.globl	_ZN7rocprim17ROCPRIM_400000_NS6detail17trampoline_kernelINS0_14default_configENS1_25partition_config_selectorILNS1_17partition_subalgoE5EiNS0_10empty_typeEbEEZZNS1_14partition_implILS5_5ELb0ES3_mPiPS6_N6thrust23THRUST_200600_302600_NS18transform_iteratorINSC_6detail9not_fun_tIN6dUtils8isNotOneIiEEEES9_NSC_11use_defaultESK_EENS0_5tupleIJS9_S6_EEENSM_IJSA_SA_EEES6_PlJS6_EEE10hipError_tPvRmT3_T4_T5_T6_T7_T9_mT8_P12ihipStream_tbDpT10_ENKUlT_T0_E_clISt17integral_constantIbLb0EES18_IbLb1EEEEDaS14_S15_EUlS14_E_NS1_11comp_targetILNS1_3genE3ELNS1_11target_archE908ELNS1_3gpuE7ELNS1_3repE0EEENS1_30default_config_static_selectorELNS0_4arch9wavefront6targetE1EEEvT1_
	.p2align	8
	.type	_ZN7rocprim17ROCPRIM_400000_NS6detail17trampoline_kernelINS0_14default_configENS1_25partition_config_selectorILNS1_17partition_subalgoE5EiNS0_10empty_typeEbEEZZNS1_14partition_implILS5_5ELb0ES3_mPiPS6_N6thrust23THRUST_200600_302600_NS18transform_iteratorINSC_6detail9not_fun_tIN6dUtils8isNotOneIiEEEES9_NSC_11use_defaultESK_EENS0_5tupleIJS9_S6_EEENSM_IJSA_SA_EEES6_PlJS6_EEE10hipError_tPvRmT3_T4_T5_T6_T7_T9_mT8_P12ihipStream_tbDpT10_ENKUlT_T0_E_clISt17integral_constantIbLb0EES18_IbLb1EEEEDaS14_S15_EUlS14_E_NS1_11comp_targetILNS1_3genE3ELNS1_11target_archE908ELNS1_3gpuE7ELNS1_3repE0EEENS1_30default_config_static_selectorELNS0_4arch9wavefront6targetE1EEEvT1_,@function
_ZN7rocprim17ROCPRIM_400000_NS6detail17trampoline_kernelINS0_14default_configENS1_25partition_config_selectorILNS1_17partition_subalgoE5EiNS0_10empty_typeEbEEZZNS1_14partition_implILS5_5ELb0ES3_mPiPS6_N6thrust23THRUST_200600_302600_NS18transform_iteratorINSC_6detail9not_fun_tIN6dUtils8isNotOneIiEEEES9_NSC_11use_defaultESK_EENS0_5tupleIJS9_S6_EEENSM_IJSA_SA_EEES6_PlJS6_EEE10hipError_tPvRmT3_T4_T5_T6_T7_T9_mT8_P12ihipStream_tbDpT10_ENKUlT_T0_E_clISt17integral_constantIbLb0EES18_IbLb1EEEEDaS14_S15_EUlS14_E_NS1_11comp_targetILNS1_3genE3ELNS1_11target_archE908ELNS1_3gpuE7ELNS1_3repE0EEENS1_30default_config_static_selectorELNS0_4arch9wavefront6targetE1EEEvT1_: ; @_ZN7rocprim17ROCPRIM_400000_NS6detail17trampoline_kernelINS0_14default_configENS1_25partition_config_selectorILNS1_17partition_subalgoE5EiNS0_10empty_typeEbEEZZNS1_14partition_implILS5_5ELb0ES3_mPiPS6_N6thrust23THRUST_200600_302600_NS18transform_iteratorINSC_6detail9not_fun_tIN6dUtils8isNotOneIiEEEES9_NSC_11use_defaultESK_EENS0_5tupleIJS9_S6_EEENSM_IJSA_SA_EEES6_PlJS6_EEE10hipError_tPvRmT3_T4_T5_T6_T7_T9_mT8_P12ihipStream_tbDpT10_ENKUlT_T0_E_clISt17integral_constantIbLb0EES18_IbLb1EEEEDaS14_S15_EUlS14_E_NS1_11comp_targetILNS1_3genE3ELNS1_11target_archE908ELNS1_3gpuE7ELNS1_3repE0EEENS1_30default_config_static_selectorELNS0_4arch9wavefront6targetE1EEEvT1_
; %bb.0:
	.section	.rodata,"a",@progbits
	.p2align	6, 0x0
	.amdhsa_kernel _ZN7rocprim17ROCPRIM_400000_NS6detail17trampoline_kernelINS0_14default_configENS1_25partition_config_selectorILNS1_17partition_subalgoE5EiNS0_10empty_typeEbEEZZNS1_14partition_implILS5_5ELb0ES3_mPiPS6_N6thrust23THRUST_200600_302600_NS18transform_iteratorINSC_6detail9not_fun_tIN6dUtils8isNotOneIiEEEES9_NSC_11use_defaultESK_EENS0_5tupleIJS9_S6_EEENSM_IJSA_SA_EEES6_PlJS6_EEE10hipError_tPvRmT3_T4_T5_T6_T7_T9_mT8_P12ihipStream_tbDpT10_ENKUlT_T0_E_clISt17integral_constantIbLb0EES18_IbLb1EEEEDaS14_S15_EUlS14_E_NS1_11comp_targetILNS1_3genE3ELNS1_11target_archE908ELNS1_3gpuE7ELNS1_3repE0EEENS1_30default_config_static_selectorELNS0_4arch9wavefront6targetE1EEEvT1_
		.amdhsa_group_segment_fixed_size 0
		.amdhsa_private_segment_fixed_size 0
		.amdhsa_kernarg_size 136
		.amdhsa_user_sgpr_count 6
		.amdhsa_user_sgpr_private_segment_buffer 1
		.amdhsa_user_sgpr_dispatch_ptr 0
		.amdhsa_user_sgpr_queue_ptr 0
		.amdhsa_user_sgpr_kernarg_segment_ptr 1
		.amdhsa_user_sgpr_dispatch_id 0
		.amdhsa_user_sgpr_flat_scratch_init 0
		.amdhsa_user_sgpr_kernarg_preload_length 0
		.amdhsa_user_sgpr_kernarg_preload_offset 0
		.amdhsa_user_sgpr_private_segment_size 0
		.amdhsa_uses_dynamic_stack 0
		.amdhsa_system_sgpr_private_segment_wavefront_offset 0
		.amdhsa_system_sgpr_workgroup_id_x 1
		.amdhsa_system_sgpr_workgroup_id_y 0
		.amdhsa_system_sgpr_workgroup_id_z 0
		.amdhsa_system_sgpr_workgroup_info 0
		.amdhsa_system_vgpr_workitem_id 0
		.amdhsa_next_free_vgpr 1
		.amdhsa_next_free_sgpr 0
		.amdhsa_accum_offset 4
		.amdhsa_reserve_vcc 0
		.amdhsa_reserve_flat_scratch 0
		.amdhsa_float_round_mode_32 0
		.amdhsa_float_round_mode_16_64 0
		.amdhsa_float_denorm_mode_32 3
		.amdhsa_float_denorm_mode_16_64 3
		.amdhsa_dx10_clamp 1
		.amdhsa_ieee_mode 1
		.amdhsa_fp16_overflow 0
		.amdhsa_tg_split 0
		.amdhsa_exception_fp_ieee_invalid_op 0
		.amdhsa_exception_fp_denorm_src 0
		.amdhsa_exception_fp_ieee_div_zero 0
		.amdhsa_exception_fp_ieee_overflow 0
		.amdhsa_exception_fp_ieee_underflow 0
		.amdhsa_exception_fp_ieee_inexact 0
		.amdhsa_exception_int_div_zero 0
	.end_amdhsa_kernel
	.section	.text._ZN7rocprim17ROCPRIM_400000_NS6detail17trampoline_kernelINS0_14default_configENS1_25partition_config_selectorILNS1_17partition_subalgoE5EiNS0_10empty_typeEbEEZZNS1_14partition_implILS5_5ELb0ES3_mPiPS6_N6thrust23THRUST_200600_302600_NS18transform_iteratorINSC_6detail9not_fun_tIN6dUtils8isNotOneIiEEEES9_NSC_11use_defaultESK_EENS0_5tupleIJS9_S6_EEENSM_IJSA_SA_EEES6_PlJS6_EEE10hipError_tPvRmT3_T4_T5_T6_T7_T9_mT8_P12ihipStream_tbDpT10_ENKUlT_T0_E_clISt17integral_constantIbLb0EES18_IbLb1EEEEDaS14_S15_EUlS14_E_NS1_11comp_targetILNS1_3genE3ELNS1_11target_archE908ELNS1_3gpuE7ELNS1_3repE0EEENS1_30default_config_static_selectorELNS0_4arch9wavefront6targetE1EEEvT1_,"axG",@progbits,_ZN7rocprim17ROCPRIM_400000_NS6detail17trampoline_kernelINS0_14default_configENS1_25partition_config_selectorILNS1_17partition_subalgoE5EiNS0_10empty_typeEbEEZZNS1_14partition_implILS5_5ELb0ES3_mPiPS6_N6thrust23THRUST_200600_302600_NS18transform_iteratorINSC_6detail9not_fun_tIN6dUtils8isNotOneIiEEEES9_NSC_11use_defaultESK_EENS0_5tupleIJS9_S6_EEENSM_IJSA_SA_EEES6_PlJS6_EEE10hipError_tPvRmT3_T4_T5_T6_T7_T9_mT8_P12ihipStream_tbDpT10_ENKUlT_T0_E_clISt17integral_constantIbLb0EES18_IbLb1EEEEDaS14_S15_EUlS14_E_NS1_11comp_targetILNS1_3genE3ELNS1_11target_archE908ELNS1_3gpuE7ELNS1_3repE0EEENS1_30default_config_static_selectorELNS0_4arch9wavefront6targetE1EEEvT1_,comdat
.Lfunc_end142:
	.size	_ZN7rocprim17ROCPRIM_400000_NS6detail17trampoline_kernelINS0_14default_configENS1_25partition_config_selectorILNS1_17partition_subalgoE5EiNS0_10empty_typeEbEEZZNS1_14partition_implILS5_5ELb0ES3_mPiPS6_N6thrust23THRUST_200600_302600_NS18transform_iteratorINSC_6detail9not_fun_tIN6dUtils8isNotOneIiEEEES9_NSC_11use_defaultESK_EENS0_5tupleIJS9_S6_EEENSM_IJSA_SA_EEES6_PlJS6_EEE10hipError_tPvRmT3_T4_T5_T6_T7_T9_mT8_P12ihipStream_tbDpT10_ENKUlT_T0_E_clISt17integral_constantIbLb0EES18_IbLb1EEEEDaS14_S15_EUlS14_E_NS1_11comp_targetILNS1_3genE3ELNS1_11target_archE908ELNS1_3gpuE7ELNS1_3repE0EEENS1_30default_config_static_selectorELNS0_4arch9wavefront6targetE1EEEvT1_, .Lfunc_end142-_ZN7rocprim17ROCPRIM_400000_NS6detail17trampoline_kernelINS0_14default_configENS1_25partition_config_selectorILNS1_17partition_subalgoE5EiNS0_10empty_typeEbEEZZNS1_14partition_implILS5_5ELb0ES3_mPiPS6_N6thrust23THRUST_200600_302600_NS18transform_iteratorINSC_6detail9not_fun_tIN6dUtils8isNotOneIiEEEES9_NSC_11use_defaultESK_EENS0_5tupleIJS9_S6_EEENSM_IJSA_SA_EEES6_PlJS6_EEE10hipError_tPvRmT3_T4_T5_T6_T7_T9_mT8_P12ihipStream_tbDpT10_ENKUlT_T0_E_clISt17integral_constantIbLb0EES18_IbLb1EEEEDaS14_S15_EUlS14_E_NS1_11comp_targetILNS1_3genE3ELNS1_11target_archE908ELNS1_3gpuE7ELNS1_3repE0EEENS1_30default_config_static_selectorELNS0_4arch9wavefront6targetE1EEEvT1_
                                        ; -- End function
	.section	.AMDGPU.csdata,"",@progbits
; Kernel info:
; codeLenInByte = 0
; NumSgprs: 4
; NumVgprs: 0
; NumAgprs: 0
; TotalNumVgprs: 0
; ScratchSize: 0
; MemoryBound: 0
; FloatMode: 240
; IeeeMode: 1
; LDSByteSize: 0 bytes/workgroup (compile time only)
; SGPRBlocks: 0
; VGPRBlocks: 0
; NumSGPRsForWavesPerEU: 4
; NumVGPRsForWavesPerEU: 1
; AccumOffset: 4
; Occupancy: 8
; WaveLimiterHint : 0
; COMPUTE_PGM_RSRC2:SCRATCH_EN: 0
; COMPUTE_PGM_RSRC2:USER_SGPR: 6
; COMPUTE_PGM_RSRC2:TRAP_HANDLER: 0
; COMPUTE_PGM_RSRC2:TGID_X_EN: 1
; COMPUTE_PGM_RSRC2:TGID_Y_EN: 0
; COMPUTE_PGM_RSRC2:TGID_Z_EN: 0
; COMPUTE_PGM_RSRC2:TIDIG_COMP_CNT: 0
; COMPUTE_PGM_RSRC3_GFX90A:ACCUM_OFFSET: 0
; COMPUTE_PGM_RSRC3_GFX90A:TG_SPLIT: 0
	.section	.text._ZN7rocprim17ROCPRIM_400000_NS6detail17trampoline_kernelINS0_14default_configENS1_25partition_config_selectorILNS1_17partition_subalgoE5EiNS0_10empty_typeEbEEZZNS1_14partition_implILS5_5ELb0ES3_mPiPS6_N6thrust23THRUST_200600_302600_NS18transform_iteratorINSC_6detail9not_fun_tIN6dUtils8isNotOneIiEEEES9_NSC_11use_defaultESK_EENS0_5tupleIJS9_S6_EEENSM_IJSA_SA_EEES6_PlJS6_EEE10hipError_tPvRmT3_T4_T5_T6_T7_T9_mT8_P12ihipStream_tbDpT10_ENKUlT_T0_E_clISt17integral_constantIbLb0EES18_IbLb1EEEEDaS14_S15_EUlS14_E_NS1_11comp_targetILNS1_3genE2ELNS1_11target_archE906ELNS1_3gpuE6ELNS1_3repE0EEENS1_30default_config_static_selectorELNS0_4arch9wavefront6targetE1EEEvT1_,"axG",@progbits,_ZN7rocprim17ROCPRIM_400000_NS6detail17trampoline_kernelINS0_14default_configENS1_25partition_config_selectorILNS1_17partition_subalgoE5EiNS0_10empty_typeEbEEZZNS1_14partition_implILS5_5ELb0ES3_mPiPS6_N6thrust23THRUST_200600_302600_NS18transform_iteratorINSC_6detail9not_fun_tIN6dUtils8isNotOneIiEEEES9_NSC_11use_defaultESK_EENS0_5tupleIJS9_S6_EEENSM_IJSA_SA_EEES6_PlJS6_EEE10hipError_tPvRmT3_T4_T5_T6_T7_T9_mT8_P12ihipStream_tbDpT10_ENKUlT_T0_E_clISt17integral_constantIbLb0EES18_IbLb1EEEEDaS14_S15_EUlS14_E_NS1_11comp_targetILNS1_3genE2ELNS1_11target_archE906ELNS1_3gpuE6ELNS1_3repE0EEENS1_30default_config_static_selectorELNS0_4arch9wavefront6targetE1EEEvT1_,comdat
	.protected	_ZN7rocprim17ROCPRIM_400000_NS6detail17trampoline_kernelINS0_14default_configENS1_25partition_config_selectorILNS1_17partition_subalgoE5EiNS0_10empty_typeEbEEZZNS1_14partition_implILS5_5ELb0ES3_mPiPS6_N6thrust23THRUST_200600_302600_NS18transform_iteratorINSC_6detail9not_fun_tIN6dUtils8isNotOneIiEEEES9_NSC_11use_defaultESK_EENS0_5tupleIJS9_S6_EEENSM_IJSA_SA_EEES6_PlJS6_EEE10hipError_tPvRmT3_T4_T5_T6_T7_T9_mT8_P12ihipStream_tbDpT10_ENKUlT_T0_E_clISt17integral_constantIbLb0EES18_IbLb1EEEEDaS14_S15_EUlS14_E_NS1_11comp_targetILNS1_3genE2ELNS1_11target_archE906ELNS1_3gpuE6ELNS1_3repE0EEENS1_30default_config_static_selectorELNS0_4arch9wavefront6targetE1EEEvT1_ ; -- Begin function _ZN7rocprim17ROCPRIM_400000_NS6detail17trampoline_kernelINS0_14default_configENS1_25partition_config_selectorILNS1_17partition_subalgoE5EiNS0_10empty_typeEbEEZZNS1_14partition_implILS5_5ELb0ES3_mPiPS6_N6thrust23THRUST_200600_302600_NS18transform_iteratorINSC_6detail9not_fun_tIN6dUtils8isNotOneIiEEEES9_NSC_11use_defaultESK_EENS0_5tupleIJS9_S6_EEENSM_IJSA_SA_EEES6_PlJS6_EEE10hipError_tPvRmT3_T4_T5_T6_T7_T9_mT8_P12ihipStream_tbDpT10_ENKUlT_T0_E_clISt17integral_constantIbLb0EES18_IbLb1EEEEDaS14_S15_EUlS14_E_NS1_11comp_targetILNS1_3genE2ELNS1_11target_archE906ELNS1_3gpuE6ELNS1_3repE0EEENS1_30default_config_static_selectorELNS0_4arch9wavefront6targetE1EEEvT1_
	.globl	_ZN7rocprim17ROCPRIM_400000_NS6detail17trampoline_kernelINS0_14default_configENS1_25partition_config_selectorILNS1_17partition_subalgoE5EiNS0_10empty_typeEbEEZZNS1_14partition_implILS5_5ELb0ES3_mPiPS6_N6thrust23THRUST_200600_302600_NS18transform_iteratorINSC_6detail9not_fun_tIN6dUtils8isNotOneIiEEEES9_NSC_11use_defaultESK_EENS0_5tupleIJS9_S6_EEENSM_IJSA_SA_EEES6_PlJS6_EEE10hipError_tPvRmT3_T4_T5_T6_T7_T9_mT8_P12ihipStream_tbDpT10_ENKUlT_T0_E_clISt17integral_constantIbLb0EES18_IbLb1EEEEDaS14_S15_EUlS14_E_NS1_11comp_targetILNS1_3genE2ELNS1_11target_archE906ELNS1_3gpuE6ELNS1_3repE0EEENS1_30default_config_static_selectorELNS0_4arch9wavefront6targetE1EEEvT1_
	.p2align	8
	.type	_ZN7rocprim17ROCPRIM_400000_NS6detail17trampoline_kernelINS0_14default_configENS1_25partition_config_selectorILNS1_17partition_subalgoE5EiNS0_10empty_typeEbEEZZNS1_14partition_implILS5_5ELb0ES3_mPiPS6_N6thrust23THRUST_200600_302600_NS18transform_iteratorINSC_6detail9not_fun_tIN6dUtils8isNotOneIiEEEES9_NSC_11use_defaultESK_EENS0_5tupleIJS9_S6_EEENSM_IJSA_SA_EEES6_PlJS6_EEE10hipError_tPvRmT3_T4_T5_T6_T7_T9_mT8_P12ihipStream_tbDpT10_ENKUlT_T0_E_clISt17integral_constantIbLb0EES18_IbLb1EEEEDaS14_S15_EUlS14_E_NS1_11comp_targetILNS1_3genE2ELNS1_11target_archE906ELNS1_3gpuE6ELNS1_3repE0EEENS1_30default_config_static_selectorELNS0_4arch9wavefront6targetE1EEEvT1_,@function
_ZN7rocprim17ROCPRIM_400000_NS6detail17trampoline_kernelINS0_14default_configENS1_25partition_config_selectorILNS1_17partition_subalgoE5EiNS0_10empty_typeEbEEZZNS1_14partition_implILS5_5ELb0ES3_mPiPS6_N6thrust23THRUST_200600_302600_NS18transform_iteratorINSC_6detail9not_fun_tIN6dUtils8isNotOneIiEEEES9_NSC_11use_defaultESK_EENS0_5tupleIJS9_S6_EEENSM_IJSA_SA_EEES6_PlJS6_EEE10hipError_tPvRmT3_T4_T5_T6_T7_T9_mT8_P12ihipStream_tbDpT10_ENKUlT_T0_E_clISt17integral_constantIbLb0EES18_IbLb1EEEEDaS14_S15_EUlS14_E_NS1_11comp_targetILNS1_3genE2ELNS1_11target_archE906ELNS1_3gpuE6ELNS1_3repE0EEENS1_30default_config_static_selectorELNS0_4arch9wavefront6targetE1EEEvT1_: ; @_ZN7rocprim17ROCPRIM_400000_NS6detail17trampoline_kernelINS0_14default_configENS1_25partition_config_selectorILNS1_17partition_subalgoE5EiNS0_10empty_typeEbEEZZNS1_14partition_implILS5_5ELb0ES3_mPiPS6_N6thrust23THRUST_200600_302600_NS18transform_iteratorINSC_6detail9not_fun_tIN6dUtils8isNotOneIiEEEES9_NSC_11use_defaultESK_EENS0_5tupleIJS9_S6_EEENSM_IJSA_SA_EEES6_PlJS6_EEE10hipError_tPvRmT3_T4_T5_T6_T7_T9_mT8_P12ihipStream_tbDpT10_ENKUlT_T0_E_clISt17integral_constantIbLb0EES18_IbLb1EEEEDaS14_S15_EUlS14_E_NS1_11comp_targetILNS1_3genE2ELNS1_11target_archE906ELNS1_3gpuE6ELNS1_3repE0EEENS1_30default_config_static_selectorELNS0_4arch9wavefront6targetE1EEEvT1_
; %bb.0:
	.section	.rodata,"a",@progbits
	.p2align	6, 0x0
	.amdhsa_kernel _ZN7rocprim17ROCPRIM_400000_NS6detail17trampoline_kernelINS0_14default_configENS1_25partition_config_selectorILNS1_17partition_subalgoE5EiNS0_10empty_typeEbEEZZNS1_14partition_implILS5_5ELb0ES3_mPiPS6_N6thrust23THRUST_200600_302600_NS18transform_iteratorINSC_6detail9not_fun_tIN6dUtils8isNotOneIiEEEES9_NSC_11use_defaultESK_EENS0_5tupleIJS9_S6_EEENSM_IJSA_SA_EEES6_PlJS6_EEE10hipError_tPvRmT3_T4_T5_T6_T7_T9_mT8_P12ihipStream_tbDpT10_ENKUlT_T0_E_clISt17integral_constantIbLb0EES18_IbLb1EEEEDaS14_S15_EUlS14_E_NS1_11comp_targetILNS1_3genE2ELNS1_11target_archE906ELNS1_3gpuE6ELNS1_3repE0EEENS1_30default_config_static_selectorELNS0_4arch9wavefront6targetE1EEEvT1_
		.amdhsa_group_segment_fixed_size 0
		.amdhsa_private_segment_fixed_size 0
		.amdhsa_kernarg_size 136
		.amdhsa_user_sgpr_count 6
		.amdhsa_user_sgpr_private_segment_buffer 1
		.amdhsa_user_sgpr_dispatch_ptr 0
		.amdhsa_user_sgpr_queue_ptr 0
		.amdhsa_user_sgpr_kernarg_segment_ptr 1
		.amdhsa_user_sgpr_dispatch_id 0
		.amdhsa_user_sgpr_flat_scratch_init 0
		.amdhsa_user_sgpr_kernarg_preload_length 0
		.amdhsa_user_sgpr_kernarg_preload_offset 0
		.amdhsa_user_sgpr_private_segment_size 0
		.amdhsa_uses_dynamic_stack 0
		.amdhsa_system_sgpr_private_segment_wavefront_offset 0
		.amdhsa_system_sgpr_workgroup_id_x 1
		.amdhsa_system_sgpr_workgroup_id_y 0
		.amdhsa_system_sgpr_workgroup_id_z 0
		.amdhsa_system_sgpr_workgroup_info 0
		.amdhsa_system_vgpr_workitem_id 0
		.amdhsa_next_free_vgpr 1
		.amdhsa_next_free_sgpr 0
		.amdhsa_accum_offset 4
		.amdhsa_reserve_vcc 0
		.amdhsa_reserve_flat_scratch 0
		.amdhsa_float_round_mode_32 0
		.amdhsa_float_round_mode_16_64 0
		.amdhsa_float_denorm_mode_32 3
		.amdhsa_float_denorm_mode_16_64 3
		.amdhsa_dx10_clamp 1
		.amdhsa_ieee_mode 1
		.amdhsa_fp16_overflow 0
		.amdhsa_tg_split 0
		.amdhsa_exception_fp_ieee_invalid_op 0
		.amdhsa_exception_fp_denorm_src 0
		.amdhsa_exception_fp_ieee_div_zero 0
		.amdhsa_exception_fp_ieee_overflow 0
		.amdhsa_exception_fp_ieee_underflow 0
		.amdhsa_exception_fp_ieee_inexact 0
		.amdhsa_exception_int_div_zero 0
	.end_amdhsa_kernel
	.section	.text._ZN7rocprim17ROCPRIM_400000_NS6detail17trampoline_kernelINS0_14default_configENS1_25partition_config_selectorILNS1_17partition_subalgoE5EiNS0_10empty_typeEbEEZZNS1_14partition_implILS5_5ELb0ES3_mPiPS6_N6thrust23THRUST_200600_302600_NS18transform_iteratorINSC_6detail9not_fun_tIN6dUtils8isNotOneIiEEEES9_NSC_11use_defaultESK_EENS0_5tupleIJS9_S6_EEENSM_IJSA_SA_EEES6_PlJS6_EEE10hipError_tPvRmT3_T4_T5_T6_T7_T9_mT8_P12ihipStream_tbDpT10_ENKUlT_T0_E_clISt17integral_constantIbLb0EES18_IbLb1EEEEDaS14_S15_EUlS14_E_NS1_11comp_targetILNS1_3genE2ELNS1_11target_archE906ELNS1_3gpuE6ELNS1_3repE0EEENS1_30default_config_static_selectorELNS0_4arch9wavefront6targetE1EEEvT1_,"axG",@progbits,_ZN7rocprim17ROCPRIM_400000_NS6detail17trampoline_kernelINS0_14default_configENS1_25partition_config_selectorILNS1_17partition_subalgoE5EiNS0_10empty_typeEbEEZZNS1_14partition_implILS5_5ELb0ES3_mPiPS6_N6thrust23THRUST_200600_302600_NS18transform_iteratorINSC_6detail9not_fun_tIN6dUtils8isNotOneIiEEEES9_NSC_11use_defaultESK_EENS0_5tupleIJS9_S6_EEENSM_IJSA_SA_EEES6_PlJS6_EEE10hipError_tPvRmT3_T4_T5_T6_T7_T9_mT8_P12ihipStream_tbDpT10_ENKUlT_T0_E_clISt17integral_constantIbLb0EES18_IbLb1EEEEDaS14_S15_EUlS14_E_NS1_11comp_targetILNS1_3genE2ELNS1_11target_archE906ELNS1_3gpuE6ELNS1_3repE0EEENS1_30default_config_static_selectorELNS0_4arch9wavefront6targetE1EEEvT1_,comdat
.Lfunc_end143:
	.size	_ZN7rocprim17ROCPRIM_400000_NS6detail17trampoline_kernelINS0_14default_configENS1_25partition_config_selectorILNS1_17partition_subalgoE5EiNS0_10empty_typeEbEEZZNS1_14partition_implILS5_5ELb0ES3_mPiPS6_N6thrust23THRUST_200600_302600_NS18transform_iteratorINSC_6detail9not_fun_tIN6dUtils8isNotOneIiEEEES9_NSC_11use_defaultESK_EENS0_5tupleIJS9_S6_EEENSM_IJSA_SA_EEES6_PlJS6_EEE10hipError_tPvRmT3_T4_T5_T6_T7_T9_mT8_P12ihipStream_tbDpT10_ENKUlT_T0_E_clISt17integral_constantIbLb0EES18_IbLb1EEEEDaS14_S15_EUlS14_E_NS1_11comp_targetILNS1_3genE2ELNS1_11target_archE906ELNS1_3gpuE6ELNS1_3repE0EEENS1_30default_config_static_selectorELNS0_4arch9wavefront6targetE1EEEvT1_, .Lfunc_end143-_ZN7rocprim17ROCPRIM_400000_NS6detail17trampoline_kernelINS0_14default_configENS1_25partition_config_selectorILNS1_17partition_subalgoE5EiNS0_10empty_typeEbEEZZNS1_14partition_implILS5_5ELb0ES3_mPiPS6_N6thrust23THRUST_200600_302600_NS18transform_iteratorINSC_6detail9not_fun_tIN6dUtils8isNotOneIiEEEES9_NSC_11use_defaultESK_EENS0_5tupleIJS9_S6_EEENSM_IJSA_SA_EEES6_PlJS6_EEE10hipError_tPvRmT3_T4_T5_T6_T7_T9_mT8_P12ihipStream_tbDpT10_ENKUlT_T0_E_clISt17integral_constantIbLb0EES18_IbLb1EEEEDaS14_S15_EUlS14_E_NS1_11comp_targetILNS1_3genE2ELNS1_11target_archE906ELNS1_3gpuE6ELNS1_3repE0EEENS1_30default_config_static_selectorELNS0_4arch9wavefront6targetE1EEEvT1_
                                        ; -- End function
	.section	.AMDGPU.csdata,"",@progbits
; Kernel info:
; codeLenInByte = 0
; NumSgprs: 4
; NumVgprs: 0
; NumAgprs: 0
; TotalNumVgprs: 0
; ScratchSize: 0
; MemoryBound: 0
; FloatMode: 240
; IeeeMode: 1
; LDSByteSize: 0 bytes/workgroup (compile time only)
; SGPRBlocks: 0
; VGPRBlocks: 0
; NumSGPRsForWavesPerEU: 4
; NumVGPRsForWavesPerEU: 1
; AccumOffset: 4
; Occupancy: 8
; WaveLimiterHint : 0
; COMPUTE_PGM_RSRC2:SCRATCH_EN: 0
; COMPUTE_PGM_RSRC2:USER_SGPR: 6
; COMPUTE_PGM_RSRC2:TRAP_HANDLER: 0
; COMPUTE_PGM_RSRC2:TGID_X_EN: 1
; COMPUTE_PGM_RSRC2:TGID_Y_EN: 0
; COMPUTE_PGM_RSRC2:TGID_Z_EN: 0
; COMPUTE_PGM_RSRC2:TIDIG_COMP_CNT: 0
; COMPUTE_PGM_RSRC3_GFX90A:ACCUM_OFFSET: 0
; COMPUTE_PGM_RSRC3_GFX90A:TG_SPLIT: 0
	.section	.text._ZN7rocprim17ROCPRIM_400000_NS6detail17trampoline_kernelINS0_14default_configENS1_25partition_config_selectorILNS1_17partition_subalgoE5EiNS0_10empty_typeEbEEZZNS1_14partition_implILS5_5ELb0ES3_mPiPS6_N6thrust23THRUST_200600_302600_NS18transform_iteratorINSC_6detail9not_fun_tIN6dUtils8isNotOneIiEEEES9_NSC_11use_defaultESK_EENS0_5tupleIJS9_S6_EEENSM_IJSA_SA_EEES6_PlJS6_EEE10hipError_tPvRmT3_T4_T5_T6_T7_T9_mT8_P12ihipStream_tbDpT10_ENKUlT_T0_E_clISt17integral_constantIbLb0EES18_IbLb1EEEEDaS14_S15_EUlS14_E_NS1_11comp_targetILNS1_3genE10ELNS1_11target_archE1200ELNS1_3gpuE4ELNS1_3repE0EEENS1_30default_config_static_selectorELNS0_4arch9wavefront6targetE1EEEvT1_,"axG",@progbits,_ZN7rocprim17ROCPRIM_400000_NS6detail17trampoline_kernelINS0_14default_configENS1_25partition_config_selectorILNS1_17partition_subalgoE5EiNS0_10empty_typeEbEEZZNS1_14partition_implILS5_5ELb0ES3_mPiPS6_N6thrust23THRUST_200600_302600_NS18transform_iteratorINSC_6detail9not_fun_tIN6dUtils8isNotOneIiEEEES9_NSC_11use_defaultESK_EENS0_5tupleIJS9_S6_EEENSM_IJSA_SA_EEES6_PlJS6_EEE10hipError_tPvRmT3_T4_T5_T6_T7_T9_mT8_P12ihipStream_tbDpT10_ENKUlT_T0_E_clISt17integral_constantIbLb0EES18_IbLb1EEEEDaS14_S15_EUlS14_E_NS1_11comp_targetILNS1_3genE10ELNS1_11target_archE1200ELNS1_3gpuE4ELNS1_3repE0EEENS1_30default_config_static_selectorELNS0_4arch9wavefront6targetE1EEEvT1_,comdat
	.protected	_ZN7rocprim17ROCPRIM_400000_NS6detail17trampoline_kernelINS0_14default_configENS1_25partition_config_selectorILNS1_17partition_subalgoE5EiNS0_10empty_typeEbEEZZNS1_14partition_implILS5_5ELb0ES3_mPiPS6_N6thrust23THRUST_200600_302600_NS18transform_iteratorINSC_6detail9not_fun_tIN6dUtils8isNotOneIiEEEES9_NSC_11use_defaultESK_EENS0_5tupleIJS9_S6_EEENSM_IJSA_SA_EEES6_PlJS6_EEE10hipError_tPvRmT3_T4_T5_T6_T7_T9_mT8_P12ihipStream_tbDpT10_ENKUlT_T0_E_clISt17integral_constantIbLb0EES18_IbLb1EEEEDaS14_S15_EUlS14_E_NS1_11comp_targetILNS1_3genE10ELNS1_11target_archE1200ELNS1_3gpuE4ELNS1_3repE0EEENS1_30default_config_static_selectorELNS0_4arch9wavefront6targetE1EEEvT1_ ; -- Begin function _ZN7rocprim17ROCPRIM_400000_NS6detail17trampoline_kernelINS0_14default_configENS1_25partition_config_selectorILNS1_17partition_subalgoE5EiNS0_10empty_typeEbEEZZNS1_14partition_implILS5_5ELb0ES3_mPiPS6_N6thrust23THRUST_200600_302600_NS18transform_iteratorINSC_6detail9not_fun_tIN6dUtils8isNotOneIiEEEES9_NSC_11use_defaultESK_EENS0_5tupleIJS9_S6_EEENSM_IJSA_SA_EEES6_PlJS6_EEE10hipError_tPvRmT3_T4_T5_T6_T7_T9_mT8_P12ihipStream_tbDpT10_ENKUlT_T0_E_clISt17integral_constantIbLb0EES18_IbLb1EEEEDaS14_S15_EUlS14_E_NS1_11comp_targetILNS1_3genE10ELNS1_11target_archE1200ELNS1_3gpuE4ELNS1_3repE0EEENS1_30default_config_static_selectorELNS0_4arch9wavefront6targetE1EEEvT1_
	.globl	_ZN7rocprim17ROCPRIM_400000_NS6detail17trampoline_kernelINS0_14default_configENS1_25partition_config_selectorILNS1_17partition_subalgoE5EiNS0_10empty_typeEbEEZZNS1_14partition_implILS5_5ELb0ES3_mPiPS6_N6thrust23THRUST_200600_302600_NS18transform_iteratorINSC_6detail9not_fun_tIN6dUtils8isNotOneIiEEEES9_NSC_11use_defaultESK_EENS0_5tupleIJS9_S6_EEENSM_IJSA_SA_EEES6_PlJS6_EEE10hipError_tPvRmT3_T4_T5_T6_T7_T9_mT8_P12ihipStream_tbDpT10_ENKUlT_T0_E_clISt17integral_constantIbLb0EES18_IbLb1EEEEDaS14_S15_EUlS14_E_NS1_11comp_targetILNS1_3genE10ELNS1_11target_archE1200ELNS1_3gpuE4ELNS1_3repE0EEENS1_30default_config_static_selectorELNS0_4arch9wavefront6targetE1EEEvT1_
	.p2align	8
	.type	_ZN7rocprim17ROCPRIM_400000_NS6detail17trampoline_kernelINS0_14default_configENS1_25partition_config_selectorILNS1_17partition_subalgoE5EiNS0_10empty_typeEbEEZZNS1_14partition_implILS5_5ELb0ES3_mPiPS6_N6thrust23THRUST_200600_302600_NS18transform_iteratorINSC_6detail9not_fun_tIN6dUtils8isNotOneIiEEEES9_NSC_11use_defaultESK_EENS0_5tupleIJS9_S6_EEENSM_IJSA_SA_EEES6_PlJS6_EEE10hipError_tPvRmT3_T4_T5_T6_T7_T9_mT8_P12ihipStream_tbDpT10_ENKUlT_T0_E_clISt17integral_constantIbLb0EES18_IbLb1EEEEDaS14_S15_EUlS14_E_NS1_11comp_targetILNS1_3genE10ELNS1_11target_archE1200ELNS1_3gpuE4ELNS1_3repE0EEENS1_30default_config_static_selectorELNS0_4arch9wavefront6targetE1EEEvT1_,@function
_ZN7rocprim17ROCPRIM_400000_NS6detail17trampoline_kernelINS0_14default_configENS1_25partition_config_selectorILNS1_17partition_subalgoE5EiNS0_10empty_typeEbEEZZNS1_14partition_implILS5_5ELb0ES3_mPiPS6_N6thrust23THRUST_200600_302600_NS18transform_iteratorINSC_6detail9not_fun_tIN6dUtils8isNotOneIiEEEES9_NSC_11use_defaultESK_EENS0_5tupleIJS9_S6_EEENSM_IJSA_SA_EEES6_PlJS6_EEE10hipError_tPvRmT3_T4_T5_T6_T7_T9_mT8_P12ihipStream_tbDpT10_ENKUlT_T0_E_clISt17integral_constantIbLb0EES18_IbLb1EEEEDaS14_S15_EUlS14_E_NS1_11comp_targetILNS1_3genE10ELNS1_11target_archE1200ELNS1_3gpuE4ELNS1_3repE0EEENS1_30default_config_static_selectorELNS0_4arch9wavefront6targetE1EEEvT1_: ; @_ZN7rocprim17ROCPRIM_400000_NS6detail17trampoline_kernelINS0_14default_configENS1_25partition_config_selectorILNS1_17partition_subalgoE5EiNS0_10empty_typeEbEEZZNS1_14partition_implILS5_5ELb0ES3_mPiPS6_N6thrust23THRUST_200600_302600_NS18transform_iteratorINSC_6detail9not_fun_tIN6dUtils8isNotOneIiEEEES9_NSC_11use_defaultESK_EENS0_5tupleIJS9_S6_EEENSM_IJSA_SA_EEES6_PlJS6_EEE10hipError_tPvRmT3_T4_T5_T6_T7_T9_mT8_P12ihipStream_tbDpT10_ENKUlT_T0_E_clISt17integral_constantIbLb0EES18_IbLb1EEEEDaS14_S15_EUlS14_E_NS1_11comp_targetILNS1_3genE10ELNS1_11target_archE1200ELNS1_3gpuE4ELNS1_3repE0EEENS1_30default_config_static_selectorELNS0_4arch9wavefront6targetE1EEEvT1_
; %bb.0:
	.section	.rodata,"a",@progbits
	.p2align	6, 0x0
	.amdhsa_kernel _ZN7rocprim17ROCPRIM_400000_NS6detail17trampoline_kernelINS0_14default_configENS1_25partition_config_selectorILNS1_17partition_subalgoE5EiNS0_10empty_typeEbEEZZNS1_14partition_implILS5_5ELb0ES3_mPiPS6_N6thrust23THRUST_200600_302600_NS18transform_iteratorINSC_6detail9not_fun_tIN6dUtils8isNotOneIiEEEES9_NSC_11use_defaultESK_EENS0_5tupleIJS9_S6_EEENSM_IJSA_SA_EEES6_PlJS6_EEE10hipError_tPvRmT3_T4_T5_T6_T7_T9_mT8_P12ihipStream_tbDpT10_ENKUlT_T0_E_clISt17integral_constantIbLb0EES18_IbLb1EEEEDaS14_S15_EUlS14_E_NS1_11comp_targetILNS1_3genE10ELNS1_11target_archE1200ELNS1_3gpuE4ELNS1_3repE0EEENS1_30default_config_static_selectorELNS0_4arch9wavefront6targetE1EEEvT1_
		.amdhsa_group_segment_fixed_size 0
		.amdhsa_private_segment_fixed_size 0
		.amdhsa_kernarg_size 136
		.amdhsa_user_sgpr_count 6
		.amdhsa_user_sgpr_private_segment_buffer 1
		.amdhsa_user_sgpr_dispatch_ptr 0
		.amdhsa_user_sgpr_queue_ptr 0
		.amdhsa_user_sgpr_kernarg_segment_ptr 1
		.amdhsa_user_sgpr_dispatch_id 0
		.amdhsa_user_sgpr_flat_scratch_init 0
		.amdhsa_user_sgpr_kernarg_preload_length 0
		.amdhsa_user_sgpr_kernarg_preload_offset 0
		.amdhsa_user_sgpr_private_segment_size 0
		.amdhsa_uses_dynamic_stack 0
		.amdhsa_system_sgpr_private_segment_wavefront_offset 0
		.amdhsa_system_sgpr_workgroup_id_x 1
		.amdhsa_system_sgpr_workgroup_id_y 0
		.amdhsa_system_sgpr_workgroup_id_z 0
		.amdhsa_system_sgpr_workgroup_info 0
		.amdhsa_system_vgpr_workitem_id 0
		.amdhsa_next_free_vgpr 1
		.amdhsa_next_free_sgpr 0
		.amdhsa_accum_offset 4
		.amdhsa_reserve_vcc 0
		.amdhsa_reserve_flat_scratch 0
		.amdhsa_float_round_mode_32 0
		.amdhsa_float_round_mode_16_64 0
		.amdhsa_float_denorm_mode_32 3
		.amdhsa_float_denorm_mode_16_64 3
		.amdhsa_dx10_clamp 1
		.amdhsa_ieee_mode 1
		.amdhsa_fp16_overflow 0
		.amdhsa_tg_split 0
		.amdhsa_exception_fp_ieee_invalid_op 0
		.amdhsa_exception_fp_denorm_src 0
		.amdhsa_exception_fp_ieee_div_zero 0
		.amdhsa_exception_fp_ieee_overflow 0
		.amdhsa_exception_fp_ieee_underflow 0
		.amdhsa_exception_fp_ieee_inexact 0
		.amdhsa_exception_int_div_zero 0
	.end_amdhsa_kernel
	.section	.text._ZN7rocprim17ROCPRIM_400000_NS6detail17trampoline_kernelINS0_14default_configENS1_25partition_config_selectorILNS1_17partition_subalgoE5EiNS0_10empty_typeEbEEZZNS1_14partition_implILS5_5ELb0ES3_mPiPS6_N6thrust23THRUST_200600_302600_NS18transform_iteratorINSC_6detail9not_fun_tIN6dUtils8isNotOneIiEEEES9_NSC_11use_defaultESK_EENS0_5tupleIJS9_S6_EEENSM_IJSA_SA_EEES6_PlJS6_EEE10hipError_tPvRmT3_T4_T5_T6_T7_T9_mT8_P12ihipStream_tbDpT10_ENKUlT_T0_E_clISt17integral_constantIbLb0EES18_IbLb1EEEEDaS14_S15_EUlS14_E_NS1_11comp_targetILNS1_3genE10ELNS1_11target_archE1200ELNS1_3gpuE4ELNS1_3repE0EEENS1_30default_config_static_selectorELNS0_4arch9wavefront6targetE1EEEvT1_,"axG",@progbits,_ZN7rocprim17ROCPRIM_400000_NS6detail17trampoline_kernelINS0_14default_configENS1_25partition_config_selectorILNS1_17partition_subalgoE5EiNS0_10empty_typeEbEEZZNS1_14partition_implILS5_5ELb0ES3_mPiPS6_N6thrust23THRUST_200600_302600_NS18transform_iteratorINSC_6detail9not_fun_tIN6dUtils8isNotOneIiEEEES9_NSC_11use_defaultESK_EENS0_5tupleIJS9_S6_EEENSM_IJSA_SA_EEES6_PlJS6_EEE10hipError_tPvRmT3_T4_T5_T6_T7_T9_mT8_P12ihipStream_tbDpT10_ENKUlT_T0_E_clISt17integral_constantIbLb0EES18_IbLb1EEEEDaS14_S15_EUlS14_E_NS1_11comp_targetILNS1_3genE10ELNS1_11target_archE1200ELNS1_3gpuE4ELNS1_3repE0EEENS1_30default_config_static_selectorELNS0_4arch9wavefront6targetE1EEEvT1_,comdat
.Lfunc_end144:
	.size	_ZN7rocprim17ROCPRIM_400000_NS6detail17trampoline_kernelINS0_14default_configENS1_25partition_config_selectorILNS1_17partition_subalgoE5EiNS0_10empty_typeEbEEZZNS1_14partition_implILS5_5ELb0ES3_mPiPS6_N6thrust23THRUST_200600_302600_NS18transform_iteratorINSC_6detail9not_fun_tIN6dUtils8isNotOneIiEEEES9_NSC_11use_defaultESK_EENS0_5tupleIJS9_S6_EEENSM_IJSA_SA_EEES6_PlJS6_EEE10hipError_tPvRmT3_T4_T5_T6_T7_T9_mT8_P12ihipStream_tbDpT10_ENKUlT_T0_E_clISt17integral_constantIbLb0EES18_IbLb1EEEEDaS14_S15_EUlS14_E_NS1_11comp_targetILNS1_3genE10ELNS1_11target_archE1200ELNS1_3gpuE4ELNS1_3repE0EEENS1_30default_config_static_selectorELNS0_4arch9wavefront6targetE1EEEvT1_, .Lfunc_end144-_ZN7rocprim17ROCPRIM_400000_NS6detail17trampoline_kernelINS0_14default_configENS1_25partition_config_selectorILNS1_17partition_subalgoE5EiNS0_10empty_typeEbEEZZNS1_14partition_implILS5_5ELb0ES3_mPiPS6_N6thrust23THRUST_200600_302600_NS18transform_iteratorINSC_6detail9not_fun_tIN6dUtils8isNotOneIiEEEES9_NSC_11use_defaultESK_EENS0_5tupleIJS9_S6_EEENSM_IJSA_SA_EEES6_PlJS6_EEE10hipError_tPvRmT3_T4_T5_T6_T7_T9_mT8_P12ihipStream_tbDpT10_ENKUlT_T0_E_clISt17integral_constantIbLb0EES18_IbLb1EEEEDaS14_S15_EUlS14_E_NS1_11comp_targetILNS1_3genE10ELNS1_11target_archE1200ELNS1_3gpuE4ELNS1_3repE0EEENS1_30default_config_static_selectorELNS0_4arch9wavefront6targetE1EEEvT1_
                                        ; -- End function
	.section	.AMDGPU.csdata,"",@progbits
; Kernel info:
; codeLenInByte = 0
; NumSgprs: 4
; NumVgprs: 0
; NumAgprs: 0
; TotalNumVgprs: 0
; ScratchSize: 0
; MemoryBound: 0
; FloatMode: 240
; IeeeMode: 1
; LDSByteSize: 0 bytes/workgroup (compile time only)
; SGPRBlocks: 0
; VGPRBlocks: 0
; NumSGPRsForWavesPerEU: 4
; NumVGPRsForWavesPerEU: 1
; AccumOffset: 4
; Occupancy: 8
; WaveLimiterHint : 0
; COMPUTE_PGM_RSRC2:SCRATCH_EN: 0
; COMPUTE_PGM_RSRC2:USER_SGPR: 6
; COMPUTE_PGM_RSRC2:TRAP_HANDLER: 0
; COMPUTE_PGM_RSRC2:TGID_X_EN: 1
; COMPUTE_PGM_RSRC2:TGID_Y_EN: 0
; COMPUTE_PGM_RSRC2:TGID_Z_EN: 0
; COMPUTE_PGM_RSRC2:TIDIG_COMP_CNT: 0
; COMPUTE_PGM_RSRC3_GFX90A:ACCUM_OFFSET: 0
; COMPUTE_PGM_RSRC3_GFX90A:TG_SPLIT: 0
	.section	.text._ZN7rocprim17ROCPRIM_400000_NS6detail17trampoline_kernelINS0_14default_configENS1_25partition_config_selectorILNS1_17partition_subalgoE5EiNS0_10empty_typeEbEEZZNS1_14partition_implILS5_5ELb0ES3_mPiPS6_N6thrust23THRUST_200600_302600_NS18transform_iteratorINSC_6detail9not_fun_tIN6dUtils8isNotOneIiEEEES9_NSC_11use_defaultESK_EENS0_5tupleIJS9_S6_EEENSM_IJSA_SA_EEES6_PlJS6_EEE10hipError_tPvRmT3_T4_T5_T6_T7_T9_mT8_P12ihipStream_tbDpT10_ENKUlT_T0_E_clISt17integral_constantIbLb0EES18_IbLb1EEEEDaS14_S15_EUlS14_E_NS1_11comp_targetILNS1_3genE9ELNS1_11target_archE1100ELNS1_3gpuE3ELNS1_3repE0EEENS1_30default_config_static_selectorELNS0_4arch9wavefront6targetE1EEEvT1_,"axG",@progbits,_ZN7rocprim17ROCPRIM_400000_NS6detail17trampoline_kernelINS0_14default_configENS1_25partition_config_selectorILNS1_17partition_subalgoE5EiNS0_10empty_typeEbEEZZNS1_14partition_implILS5_5ELb0ES3_mPiPS6_N6thrust23THRUST_200600_302600_NS18transform_iteratorINSC_6detail9not_fun_tIN6dUtils8isNotOneIiEEEES9_NSC_11use_defaultESK_EENS0_5tupleIJS9_S6_EEENSM_IJSA_SA_EEES6_PlJS6_EEE10hipError_tPvRmT3_T4_T5_T6_T7_T9_mT8_P12ihipStream_tbDpT10_ENKUlT_T0_E_clISt17integral_constantIbLb0EES18_IbLb1EEEEDaS14_S15_EUlS14_E_NS1_11comp_targetILNS1_3genE9ELNS1_11target_archE1100ELNS1_3gpuE3ELNS1_3repE0EEENS1_30default_config_static_selectorELNS0_4arch9wavefront6targetE1EEEvT1_,comdat
	.protected	_ZN7rocprim17ROCPRIM_400000_NS6detail17trampoline_kernelINS0_14default_configENS1_25partition_config_selectorILNS1_17partition_subalgoE5EiNS0_10empty_typeEbEEZZNS1_14partition_implILS5_5ELb0ES3_mPiPS6_N6thrust23THRUST_200600_302600_NS18transform_iteratorINSC_6detail9not_fun_tIN6dUtils8isNotOneIiEEEES9_NSC_11use_defaultESK_EENS0_5tupleIJS9_S6_EEENSM_IJSA_SA_EEES6_PlJS6_EEE10hipError_tPvRmT3_T4_T5_T6_T7_T9_mT8_P12ihipStream_tbDpT10_ENKUlT_T0_E_clISt17integral_constantIbLb0EES18_IbLb1EEEEDaS14_S15_EUlS14_E_NS1_11comp_targetILNS1_3genE9ELNS1_11target_archE1100ELNS1_3gpuE3ELNS1_3repE0EEENS1_30default_config_static_selectorELNS0_4arch9wavefront6targetE1EEEvT1_ ; -- Begin function _ZN7rocprim17ROCPRIM_400000_NS6detail17trampoline_kernelINS0_14default_configENS1_25partition_config_selectorILNS1_17partition_subalgoE5EiNS0_10empty_typeEbEEZZNS1_14partition_implILS5_5ELb0ES3_mPiPS6_N6thrust23THRUST_200600_302600_NS18transform_iteratorINSC_6detail9not_fun_tIN6dUtils8isNotOneIiEEEES9_NSC_11use_defaultESK_EENS0_5tupleIJS9_S6_EEENSM_IJSA_SA_EEES6_PlJS6_EEE10hipError_tPvRmT3_T4_T5_T6_T7_T9_mT8_P12ihipStream_tbDpT10_ENKUlT_T0_E_clISt17integral_constantIbLb0EES18_IbLb1EEEEDaS14_S15_EUlS14_E_NS1_11comp_targetILNS1_3genE9ELNS1_11target_archE1100ELNS1_3gpuE3ELNS1_3repE0EEENS1_30default_config_static_selectorELNS0_4arch9wavefront6targetE1EEEvT1_
	.globl	_ZN7rocprim17ROCPRIM_400000_NS6detail17trampoline_kernelINS0_14default_configENS1_25partition_config_selectorILNS1_17partition_subalgoE5EiNS0_10empty_typeEbEEZZNS1_14partition_implILS5_5ELb0ES3_mPiPS6_N6thrust23THRUST_200600_302600_NS18transform_iteratorINSC_6detail9not_fun_tIN6dUtils8isNotOneIiEEEES9_NSC_11use_defaultESK_EENS0_5tupleIJS9_S6_EEENSM_IJSA_SA_EEES6_PlJS6_EEE10hipError_tPvRmT3_T4_T5_T6_T7_T9_mT8_P12ihipStream_tbDpT10_ENKUlT_T0_E_clISt17integral_constantIbLb0EES18_IbLb1EEEEDaS14_S15_EUlS14_E_NS1_11comp_targetILNS1_3genE9ELNS1_11target_archE1100ELNS1_3gpuE3ELNS1_3repE0EEENS1_30default_config_static_selectorELNS0_4arch9wavefront6targetE1EEEvT1_
	.p2align	8
	.type	_ZN7rocprim17ROCPRIM_400000_NS6detail17trampoline_kernelINS0_14default_configENS1_25partition_config_selectorILNS1_17partition_subalgoE5EiNS0_10empty_typeEbEEZZNS1_14partition_implILS5_5ELb0ES3_mPiPS6_N6thrust23THRUST_200600_302600_NS18transform_iteratorINSC_6detail9not_fun_tIN6dUtils8isNotOneIiEEEES9_NSC_11use_defaultESK_EENS0_5tupleIJS9_S6_EEENSM_IJSA_SA_EEES6_PlJS6_EEE10hipError_tPvRmT3_T4_T5_T6_T7_T9_mT8_P12ihipStream_tbDpT10_ENKUlT_T0_E_clISt17integral_constantIbLb0EES18_IbLb1EEEEDaS14_S15_EUlS14_E_NS1_11comp_targetILNS1_3genE9ELNS1_11target_archE1100ELNS1_3gpuE3ELNS1_3repE0EEENS1_30default_config_static_selectorELNS0_4arch9wavefront6targetE1EEEvT1_,@function
_ZN7rocprim17ROCPRIM_400000_NS6detail17trampoline_kernelINS0_14default_configENS1_25partition_config_selectorILNS1_17partition_subalgoE5EiNS0_10empty_typeEbEEZZNS1_14partition_implILS5_5ELb0ES3_mPiPS6_N6thrust23THRUST_200600_302600_NS18transform_iteratorINSC_6detail9not_fun_tIN6dUtils8isNotOneIiEEEES9_NSC_11use_defaultESK_EENS0_5tupleIJS9_S6_EEENSM_IJSA_SA_EEES6_PlJS6_EEE10hipError_tPvRmT3_T4_T5_T6_T7_T9_mT8_P12ihipStream_tbDpT10_ENKUlT_T0_E_clISt17integral_constantIbLb0EES18_IbLb1EEEEDaS14_S15_EUlS14_E_NS1_11comp_targetILNS1_3genE9ELNS1_11target_archE1100ELNS1_3gpuE3ELNS1_3repE0EEENS1_30default_config_static_selectorELNS0_4arch9wavefront6targetE1EEEvT1_: ; @_ZN7rocprim17ROCPRIM_400000_NS6detail17trampoline_kernelINS0_14default_configENS1_25partition_config_selectorILNS1_17partition_subalgoE5EiNS0_10empty_typeEbEEZZNS1_14partition_implILS5_5ELb0ES3_mPiPS6_N6thrust23THRUST_200600_302600_NS18transform_iteratorINSC_6detail9not_fun_tIN6dUtils8isNotOneIiEEEES9_NSC_11use_defaultESK_EENS0_5tupleIJS9_S6_EEENSM_IJSA_SA_EEES6_PlJS6_EEE10hipError_tPvRmT3_T4_T5_T6_T7_T9_mT8_P12ihipStream_tbDpT10_ENKUlT_T0_E_clISt17integral_constantIbLb0EES18_IbLb1EEEEDaS14_S15_EUlS14_E_NS1_11comp_targetILNS1_3genE9ELNS1_11target_archE1100ELNS1_3gpuE3ELNS1_3repE0EEENS1_30default_config_static_selectorELNS0_4arch9wavefront6targetE1EEEvT1_
; %bb.0:
	.section	.rodata,"a",@progbits
	.p2align	6, 0x0
	.amdhsa_kernel _ZN7rocprim17ROCPRIM_400000_NS6detail17trampoline_kernelINS0_14default_configENS1_25partition_config_selectorILNS1_17partition_subalgoE5EiNS0_10empty_typeEbEEZZNS1_14partition_implILS5_5ELb0ES3_mPiPS6_N6thrust23THRUST_200600_302600_NS18transform_iteratorINSC_6detail9not_fun_tIN6dUtils8isNotOneIiEEEES9_NSC_11use_defaultESK_EENS0_5tupleIJS9_S6_EEENSM_IJSA_SA_EEES6_PlJS6_EEE10hipError_tPvRmT3_T4_T5_T6_T7_T9_mT8_P12ihipStream_tbDpT10_ENKUlT_T0_E_clISt17integral_constantIbLb0EES18_IbLb1EEEEDaS14_S15_EUlS14_E_NS1_11comp_targetILNS1_3genE9ELNS1_11target_archE1100ELNS1_3gpuE3ELNS1_3repE0EEENS1_30default_config_static_selectorELNS0_4arch9wavefront6targetE1EEEvT1_
		.amdhsa_group_segment_fixed_size 0
		.amdhsa_private_segment_fixed_size 0
		.amdhsa_kernarg_size 136
		.amdhsa_user_sgpr_count 6
		.amdhsa_user_sgpr_private_segment_buffer 1
		.amdhsa_user_sgpr_dispatch_ptr 0
		.amdhsa_user_sgpr_queue_ptr 0
		.amdhsa_user_sgpr_kernarg_segment_ptr 1
		.amdhsa_user_sgpr_dispatch_id 0
		.amdhsa_user_sgpr_flat_scratch_init 0
		.amdhsa_user_sgpr_kernarg_preload_length 0
		.amdhsa_user_sgpr_kernarg_preload_offset 0
		.amdhsa_user_sgpr_private_segment_size 0
		.amdhsa_uses_dynamic_stack 0
		.amdhsa_system_sgpr_private_segment_wavefront_offset 0
		.amdhsa_system_sgpr_workgroup_id_x 1
		.amdhsa_system_sgpr_workgroup_id_y 0
		.amdhsa_system_sgpr_workgroup_id_z 0
		.amdhsa_system_sgpr_workgroup_info 0
		.amdhsa_system_vgpr_workitem_id 0
		.amdhsa_next_free_vgpr 1
		.amdhsa_next_free_sgpr 0
		.amdhsa_accum_offset 4
		.amdhsa_reserve_vcc 0
		.amdhsa_reserve_flat_scratch 0
		.amdhsa_float_round_mode_32 0
		.amdhsa_float_round_mode_16_64 0
		.amdhsa_float_denorm_mode_32 3
		.amdhsa_float_denorm_mode_16_64 3
		.amdhsa_dx10_clamp 1
		.amdhsa_ieee_mode 1
		.amdhsa_fp16_overflow 0
		.amdhsa_tg_split 0
		.amdhsa_exception_fp_ieee_invalid_op 0
		.amdhsa_exception_fp_denorm_src 0
		.amdhsa_exception_fp_ieee_div_zero 0
		.amdhsa_exception_fp_ieee_overflow 0
		.amdhsa_exception_fp_ieee_underflow 0
		.amdhsa_exception_fp_ieee_inexact 0
		.amdhsa_exception_int_div_zero 0
	.end_amdhsa_kernel
	.section	.text._ZN7rocprim17ROCPRIM_400000_NS6detail17trampoline_kernelINS0_14default_configENS1_25partition_config_selectorILNS1_17partition_subalgoE5EiNS0_10empty_typeEbEEZZNS1_14partition_implILS5_5ELb0ES3_mPiPS6_N6thrust23THRUST_200600_302600_NS18transform_iteratorINSC_6detail9not_fun_tIN6dUtils8isNotOneIiEEEES9_NSC_11use_defaultESK_EENS0_5tupleIJS9_S6_EEENSM_IJSA_SA_EEES6_PlJS6_EEE10hipError_tPvRmT3_T4_T5_T6_T7_T9_mT8_P12ihipStream_tbDpT10_ENKUlT_T0_E_clISt17integral_constantIbLb0EES18_IbLb1EEEEDaS14_S15_EUlS14_E_NS1_11comp_targetILNS1_3genE9ELNS1_11target_archE1100ELNS1_3gpuE3ELNS1_3repE0EEENS1_30default_config_static_selectorELNS0_4arch9wavefront6targetE1EEEvT1_,"axG",@progbits,_ZN7rocprim17ROCPRIM_400000_NS6detail17trampoline_kernelINS0_14default_configENS1_25partition_config_selectorILNS1_17partition_subalgoE5EiNS0_10empty_typeEbEEZZNS1_14partition_implILS5_5ELb0ES3_mPiPS6_N6thrust23THRUST_200600_302600_NS18transform_iteratorINSC_6detail9not_fun_tIN6dUtils8isNotOneIiEEEES9_NSC_11use_defaultESK_EENS0_5tupleIJS9_S6_EEENSM_IJSA_SA_EEES6_PlJS6_EEE10hipError_tPvRmT3_T4_T5_T6_T7_T9_mT8_P12ihipStream_tbDpT10_ENKUlT_T0_E_clISt17integral_constantIbLb0EES18_IbLb1EEEEDaS14_S15_EUlS14_E_NS1_11comp_targetILNS1_3genE9ELNS1_11target_archE1100ELNS1_3gpuE3ELNS1_3repE0EEENS1_30default_config_static_selectorELNS0_4arch9wavefront6targetE1EEEvT1_,comdat
.Lfunc_end145:
	.size	_ZN7rocprim17ROCPRIM_400000_NS6detail17trampoline_kernelINS0_14default_configENS1_25partition_config_selectorILNS1_17partition_subalgoE5EiNS0_10empty_typeEbEEZZNS1_14partition_implILS5_5ELb0ES3_mPiPS6_N6thrust23THRUST_200600_302600_NS18transform_iteratorINSC_6detail9not_fun_tIN6dUtils8isNotOneIiEEEES9_NSC_11use_defaultESK_EENS0_5tupleIJS9_S6_EEENSM_IJSA_SA_EEES6_PlJS6_EEE10hipError_tPvRmT3_T4_T5_T6_T7_T9_mT8_P12ihipStream_tbDpT10_ENKUlT_T0_E_clISt17integral_constantIbLb0EES18_IbLb1EEEEDaS14_S15_EUlS14_E_NS1_11comp_targetILNS1_3genE9ELNS1_11target_archE1100ELNS1_3gpuE3ELNS1_3repE0EEENS1_30default_config_static_selectorELNS0_4arch9wavefront6targetE1EEEvT1_, .Lfunc_end145-_ZN7rocprim17ROCPRIM_400000_NS6detail17trampoline_kernelINS0_14default_configENS1_25partition_config_selectorILNS1_17partition_subalgoE5EiNS0_10empty_typeEbEEZZNS1_14partition_implILS5_5ELb0ES3_mPiPS6_N6thrust23THRUST_200600_302600_NS18transform_iteratorINSC_6detail9not_fun_tIN6dUtils8isNotOneIiEEEES9_NSC_11use_defaultESK_EENS0_5tupleIJS9_S6_EEENSM_IJSA_SA_EEES6_PlJS6_EEE10hipError_tPvRmT3_T4_T5_T6_T7_T9_mT8_P12ihipStream_tbDpT10_ENKUlT_T0_E_clISt17integral_constantIbLb0EES18_IbLb1EEEEDaS14_S15_EUlS14_E_NS1_11comp_targetILNS1_3genE9ELNS1_11target_archE1100ELNS1_3gpuE3ELNS1_3repE0EEENS1_30default_config_static_selectorELNS0_4arch9wavefront6targetE1EEEvT1_
                                        ; -- End function
	.section	.AMDGPU.csdata,"",@progbits
; Kernel info:
; codeLenInByte = 0
; NumSgprs: 4
; NumVgprs: 0
; NumAgprs: 0
; TotalNumVgprs: 0
; ScratchSize: 0
; MemoryBound: 0
; FloatMode: 240
; IeeeMode: 1
; LDSByteSize: 0 bytes/workgroup (compile time only)
; SGPRBlocks: 0
; VGPRBlocks: 0
; NumSGPRsForWavesPerEU: 4
; NumVGPRsForWavesPerEU: 1
; AccumOffset: 4
; Occupancy: 8
; WaveLimiterHint : 0
; COMPUTE_PGM_RSRC2:SCRATCH_EN: 0
; COMPUTE_PGM_RSRC2:USER_SGPR: 6
; COMPUTE_PGM_RSRC2:TRAP_HANDLER: 0
; COMPUTE_PGM_RSRC2:TGID_X_EN: 1
; COMPUTE_PGM_RSRC2:TGID_Y_EN: 0
; COMPUTE_PGM_RSRC2:TGID_Z_EN: 0
; COMPUTE_PGM_RSRC2:TIDIG_COMP_CNT: 0
; COMPUTE_PGM_RSRC3_GFX90A:ACCUM_OFFSET: 0
; COMPUTE_PGM_RSRC3_GFX90A:TG_SPLIT: 0
	.section	.text._ZN7rocprim17ROCPRIM_400000_NS6detail17trampoline_kernelINS0_14default_configENS1_25partition_config_selectorILNS1_17partition_subalgoE5EiNS0_10empty_typeEbEEZZNS1_14partition_implILS5_5ELb0ES3_mPiPS6_N6thrust23THRUST_200600_302600_NS18transform_iteratorINSC_6detail9not_fun_tIN6dUtils8isNotOneIiEEEES9_NSC_11use_defaultESK_EENS0_5tupleIJS9_S6_EEENSM_IJSA_SA_EEES6_PlJS6_EEE10hipError_tPvRmT3_T4_T5_T6_T7_T9_mT8_P12ihipStream_tbDpT10_ENKUlT_T0_E_clISt17integral_constantIbLb0EES18_IbLb1EEEEDaS14_S15_EUlS14_E_NS1_11comp_targetILNS1_3genE8ELNS1_11target_archE1030ELNS1_3gpuE2ELNS1_3repE0EEENS1_30default_config_static_selectorELNS0_4arch9wavefront6targetE1EEEvT1_,"axG",@progbits,_ZN7rocprim17ROCPRIM_400000_NS6detail17trampoline_kernelINS0_14default_configENS1_25partition_config_selectorILNS1_17partition_subalgoE5EiNS0_10empty_typeEbEEZZNS1_14partition_implILS5_5ELb0ES3_mPiPS6_N6thrust23THRUST_200600_302600_NS18transform_iteratorINSC_6detail9not_fun_tIN6dUtils8isNotOneIiEEEES9_NSC_11use_defaultESK_EENS0_5tupleIJS9_S6_EEENSM_IJSA_SA_EEES6_PlJS6_EEE10hipError_tPvRmT3_T4_T5_T6_T7_T9_mT8_P12ihipStream_tbDpT10_ENKUlT_T0_E_clISt17integral_constantIbLb0EES18_IbLb1EEEEDaS14_S15_EUlS14_E_NS1_11comp_targetILNS1_3genE8ELNS1_11target_archE1030ELNS1_3gpuE2ELNS1_3repE0EEENS1_30default_config_static_selectorELNS0_4arch9wavefront6targetE1EEEvT1_,comdat
	.protected	_ZN7rocprim17ROCPRIM_400000_NS6detail17trampoline_kernelINS0_14default_configENS1_25partition_config_selectorILNS1_17partition_subalgoE5EiNS0_10empty_typeEbEEZZNS1_14partition_implILS5_5ELb0ES3_mPiPS6_N6thrust23THRUST_200600_302600_NS18transform_iteratorINSC_6detail9not_fun_tIN6dUtils8isNotOneIiEEEES9_NSC_11use_defaultESK_EENS0_5tupleIJS9_S6_EEENSM_IJSA_SA_EEES6_PlJS6_EEE10hipError_tPvRmT3_T4_T5_T6_T7_T9_mT8_P12ihipStream_tbDpT10_ENKUlT_T0_E_clISt17integral_constantIbLb0EES18_IbLb1EEEEDaS14_S15_EUlS14_E_NS1_11comp_targetILNS1_3genE8ELNS1_11target_archE1030ELNS1_3gpuE2ELNS1_3repE0EEENS1_30default_config_static_selectorELNS0_4arch9wavefront6targetE1EEEvT1_ ; -- Begin function _ZN7rocprim17ROCPRIM_400000_NS6detail17trampoline_kernelINS0_14default_configENS1_25partition_config_selectorILNS1_17partition_subalgoE5EiNS0_10empty_typeEbEEZZNS1_14partition_implILS5_5ELb0ES3_mPiPS6_N6thrust23THRUST_200600_302600_NS18transform_iteratorINSC_6detail9not_fun_tIN6dUtils8isNotOneIiEEEES9_NSC_11use_defaultESK_EENS0_5tupleIJS9_S6_EEENSM_IJSA_SA_EEES6_PlJS6_EEE10hipError_tPvRmT3_T4_T5_T6_T7_T9_mT8_P12ihipStream_tbDpT10_ENKUlT_T0_E_clISt17integral_constantIbLb0EES18_IbLb1EEEEDaS14_S15_EUlS14_E_NS1_11comp_targetILNS1_3genE8ELNS1_11target_archE1030ELNS1_3gpuE2ELNS1_3repE0EEENS1_30default_config_static_selectorELNS0_4arch9wavefront6targetE1EEEvT1_
	.globl	_ZN7rocprim17ROCPRIM_400000_NS6detail17trampoline_kernelINS0_14default_configENS1_25partition_config_selectorILNS1_17partition_subalgoE5EiNS0_10empty_typeEbEEZZNS1_14partition_implILS5_5ELb0ES3_mPiPS6_N6thrust23THRUST_200600_302600_NS18transform_iteratorINSC_6detail9not_fun_tIN6dUtils8isNotOneIiEEEES9_NSC_11use_defaultESK_EENS0_5tupleIJS9_S6_EEENSM_IJSA_SA_EEES6_PlJS6_EEE10hipError_tPvRmT3_T4_T5_T6_T7_T9_mT8_P12ihipStream_tbDpT10_ENKUlT_T0_E_clISt17integral_constantIbLb0EES18_IbLb1EEEEDaS14_S15_EUlS14_E_NS1_11comp_targetILNS1_3genE8ELNS1_11target_archE1030ELNS1_3gpuE2ELNS1_3repE0EEENS1_30default_config_static_selectorELNS0_4arch9wavefront6targetE1EEEvT1_
	.p2align	8
	.type	_ZN7rocprim17ROCPRIM_400000_NS6detail17trampoline_kernelINS0_14default_configENS1_25partition_config_selectorILNS1_17partition_subalgoE5EiNS0_10empty_typeEbEEZZNS1_14partition_implILS5_5ELb0ES3_mPiPS6_N6thrust23THRUST_200600_302600_NS18transform_iteratorINSC_6detail9not_fun_tIN6dUtils8isNotOneIiEEEES9_NSC_11use_defaultESK_EENS0_5tupleIJS9_S6_EEENSM_IJSA_SA_EEES6_PlJS6_EEE10hipError_tPvRmT3_T4_T5_T6_T7_T9_mT8_P12ihipStream_tbDpT10_ENKUlT_T0_E_clISt17integral_constantIbLb0EES18_IbLb1EEEEDaS14_S15_EUlS14_E_NS1_11comp_targetILNS1_3genE8ELNS1_11target_archE1030ELNS1_3gpuE2ELNS1_3repE0EEENS1_30default_config_static_selectorELNS0_4arch9wavefront6targetE1EEEvT1_,@function
_ZN7rocprim17ROCPRIM_400000_NS6detail17trampoline_kernelINS0_14default_configENS1_25partition_config_selectorILNS1_17partition_subalgoE5EiNS0_10empty_typeEbEEZZNS1_14partition_implILS5_5ELb0ES3_mPiPS6_N6thrust23THRUST_200600_302600_NS18transform_iteratorINSC_6detail9not_fun_tIN6dUtils8isNotOneIiEEEES9_NSC_11use_defaultESK_EENS0_5tupleIJS9_S6_EEENSM_IJSA_SA_EEES6_PlJS6_EEE10hipError_tPvRmT3_T4_T5_T6_T7_T9_mT8_P12ihipStream_tbDpT10_ENKUlT_T0_E_clISt17integral_constantIbLb0EES18_IbLb1EEEEDaS14_S15_EUlS14_E_NS1_11comp_targetILNS1_3genE8ELNS1_11target_archE1030ELNS1_3gpuE2ELNS1_3repE0EEENS1_30default_config_static_selectorELNS0_4arch9wavefront6targetE1EEEvT1_: ; @_ZN7rocprim17ROCPRIM_400000_NS6detail17trampoline_kernelINS0_14default_configENS1_25partition_config_selectorILNS1_17partition_subalgoE5EiNS0_10empty_typeEbEEZZNS1_14partition_implILS5_5ELb0ES3_mPiPS6_N6thrust23THRUST_200600_302600_NS18transform_iteratorINSC_6detail9not_fun_tIN6dUtils8isNotOneIiEEEES9_NSC_11use_defaultESK_EENS0_5tupleIJS9_S6_EEENSM_IJSA_SA_EEES6_PlJS6_EEE10hipError_tPvRmT3_T4_T5_T6_T7_T9_mT8_P12ihipStream_tbDpT10_ENKUlT_T0_E_clISt17integral_constantIbLb0EES18_IbLb1EEEEDaS14_S15_EUlS14_E_NS1_11comp_targetILNS1_3genE8ELNS1_11target_archE1030ELNS1_3gpuE2ELNS1_3repE0EEENS1_30default_config_static_selectorELNS0_4arch9wavefront6targetE1EEEvT1_
; %bb.0:
	.section	.rodata,"a",@progbits
	.p2align	6, 0x0
	.amdhsa_kernel _ZN7rocprim17ROCPRIM_400000_NS6detail17trampoline_kernelINS0_14default_configENS1_25partition_config_selectorILNS1_17partition_subalgoE5EiNS0_10empty_typeEbEEZZNS1_14partition_implILS5_5ELb0ES3_mPiPS6_N6thrust23THRUST_200600_302600_NS18transform_iteratorINSC_6detail9not_fun_tIN6dUtils8isNotOneIiEEEES9_NSC_11use_defaultESK_EENS0_5tupleIJS9_S6_EEENSM_IJSA_SA_EEES6_PlJS6_EEE10hipError_tPvRmT3_T4_T5_T6_T7_T9_mT8_P12ihipStream_tbDpT10_ENKUlT_T0_E_clISt17integral_constantIbLb0EES18_IbLb1EEEEDaS14_S15_EUlS14_E_NS1_11comp_targetILNS1_3genE8ELNS1_11target_archE1030ELNS1_3gpuE2ELNS1_3repE0EEENS1_30default_config_static_selectorELNS0_4arch9wavefront6targetE1EEEvT1_
		.amdhsa_group_segment_fixed_size 0
		.amdhsa_private_segment_fixed_size 0
		.amdhsa_kernarg_size 136
		.amdhsa_user_sgpr_count 6
		.amdhsa_user_sgpr_private_segment_buffer 1
		.amdhsa_user_sgpr_dispatch_ptr 0
		.amdhsa_user_sgpr_queue_ptr 0
		.amdhsa_user_sgpr_kernarg_segment_ptr 1
		.amdhsa_user_sgpr_dispatch_id 0
		.amdhsa_user_sgpr_flat_scratch_init 0
		.amdhsa_user_sgpr_kernarg_preload_length 0
		.amdhsa_user_sgpr_kernarg_preload_offset 0
		.amdhsa_user_sgpr_private_segment_size 0
		.amdhsa_uses_dynamic_stack 0
		.amdhsa_system_sgpr_private_segment_wavefront_offset 0
		.amdhsa_system_sgpr_workgroup_id_x 1
		.amdhsa_system_sgpr_workgroup_id_y 0
		.amdhsa_system_sgpr_workgroup_id_z 0
		.amdhsa_system_sgpr_workgroup_info 0
		.amdhsa_system_vgpr_workitem_id 0
		.amdhsa_next_free_vgpr 1
		.amdhsa_next_free_sgpr 0
		.amdhsa_accum_offset 4
		.amdhsa_reserve_vcc 0
		.amdhsa_reserve_flat_scratch 0
		.amdhsa_float_round_mode_32 0
		.amdhsa_float_round_mode_16_64 0
		.amdhsa_float_denorm_mode_32 3
		.amdhsa_float_denorm_mode_16_64 3
		.amdhsa_dx10_clamp 1
		.amdhsa_ieee_mode 1
		.amdhsa_fp16_overflow 0
		.amdhsa_tg_split 0
		.amdhsa_exception_fp_ieee_invalid_op 0
		.amdhsa_exception_fp_denorm_src 0
		.amdhsa_exception_fp_ieee_div_zero 0
		.amdhsa_exception_fp_ieee_overflow 0
		.amdhsa_exception_fp_ieee_underflow 0
		.amdhsa_exception_fp_ieee_inexact 0
		.amdhsa_exception_int_div_zero 0
	.end_amdhsa_kernel
	.section	.text._ZN7rocprim17ROCPRIM_400000_NS6detail17trampoline_kernelINS0_14default_configENS1_25partition_config_selectorILNS1_17partition_subalgoE5EiNS0_10empty_typeEbEEZZNS1_14partition_implILS5_5ELb0ES3_mPiPS6_N6thrust23THRUST_200600_302600_NS18transform_iteratorINSC_6detail9not_fun_tIN6dUtils8isNotOneIiEEEES9_NSC_11use_defaultESK_EENS0_5tupleIJS9_S6_EEENSM_IJSA_SA_EEES6_PlJS6_EEE10hipError_tPvRmT3_T4_T5_T6_T7_T9_mT8_P12ihipStream_tbDpT10_ENKUlT_T0_E_clISt17integral_constantIbLb0EES18_IbLb1EEEEDaS14_S15_EUlS14_E_NS1_11comp_targetILNS1_3genE8ELNS1_11target_archE1030ELNS1_3gpuE2ELNS1_3repE0EEENS1_30default_config_static_selectorELNS0_4arch9wavefront6targetE1EEEvT1_,"axG",@progbits,_ZN7rocprim17ROCPRIM_400000_NS6detail17trampoline_kernelINS0_14default_configENS1_25partition_config_selectorILNS1_17partition_subalgoE5EiNS0_10empty_typeEbEEZZNS1_14partition_implILS5_5ELb0ES3_mPiPS6_N6thrust23THRUST_200600_302600_NS18transform_iteratorINSC_6detail9not_fun_tIN6dUtils8isNotOneIiEEEES9_NSC_11use_defaultESK_EENS0_5tupleIJS9_S6_EEENSM_IJSA_SA_EEES6_PlJS6_EEE10hipError_tPvRmT3_T4_T5_T6_T7_T9_mT8_P12ihipStream_tbDpT10_ENKUlT_T0_E_clISt17integral_constantIbLb0EES18_IbLb1EEEEDaS14_S15_EUlS14_E_NS1_11comp_targetILNS1_3genE8ELNS1_11target_archE1030ELNS1_3gpuE2ELNS1_3repE0EEENS1_30default_config_static_selectorELNS0_4arch9wavefront6targetE1EEEvT1_,comdat
.Lfunc_end146:
	.size	_ZN7rocprim17ROCPRIM_400000_NS6detail17trampoline_kernelINS0_14default_configENS1_25partition_config_selectorILNS1_17partition_subalgoE5EiNS0_10empty_typeEbEEZZNS1_14partition_implILS5_5ELb0ES3_mPiPS6_N6thrust23THRUST_200600_302600_NS18transform_iteratorINSC_6detail9not_fun_tIN6dUtils8isNotOneIiEEEES9_NSC_11use_defaultESK_EENS0_5tupleIJS9_S6_EEENSM_IJSA_SA_EEES6_PlJS6_EEE10hipError_tPvRmT3_T4_T5_T6_T7_T9_mT8_P12ihipStream_tbDpT10_ENKUlT_T0_E_clISt17integral_constantIbLb0EES18_IbLb1EEEEDaS14_S15_EUlS14_E_NS1_11comp_targetILNS1_3genE8ELNS1_11target_archE1030ELNS1_3gpuE2ELNS1_3repE0EEENS1_30default_config_static_selectorELNS0_4arch9wavefront6targetE1EEEvT1_, .Lfunc_end146-_ZN7rocprim17ROCPRIM_400000_NS6detail17trampoline_kernelINS0_14default_configENS1_25partition_config_selectorILNS1_17partition_subalgoE5EiNS0_10empty_typeEbEEZZNS1_14partition_implILS5_5ELb0ES3_mPiPS6_N6thrust23THRUST_200600_302600_NS18transform_iteratorINSC_6detail9not_fun_tIN6dUtils8isNotOneIiEEEES9_NSC_11use_defaultESK_EENS0_5tupleIJS9_S6_EEENSM_IJSA_SA_EEES6_PlJS6_EEE10hipError_tPvRmT3_T4_T5_T6_T7_T9_mT8_P12ihipStream_tbDpT10_ENKUlT_T0_E_clISt17integral_constantIbLb0EES18_IbLb1EEEEDaS14_S15_EUlS14_E_NS1_11comp_targetILNS1_3genE8ELNS1_11target_archE1030ELNS1_3gpuE2ELNS1_3repE0EEENS1_30default_config_static_selectorELNS0_4arch9wavefront6targetE1EEEvT1_
                                        ; -- End function
	.section	.AMDGPU.csdata,"",@progbits
; Kernel info:
; codeLenInByte = 0
; NumSgprs: 4
; NumVgprs: 0
; NumAgprs: 0
; TotalNumVgprs: 0
; ScratchSize: 0
; MemoryBound: 0
; FloatMode: 240
; IeeeMode: 1
; LDSByteSize: 0 bytes/workgroup (compile time only)
; SGPRBlocks: 0
; VGPRBlocks: 0
; NumSGPRsForWavesPerEU: 4
; NumVGPRsForWavesPerEU: 1
; AccumOffset: 4
; Occupancy: 8
; WaveLimiterHint : 0
; COMPUTE_PGM_RSRC2:SCRATCH_EN: 0
; COMPUTE_PGM_RSRC2:USER_SGPR: 6
; COMPUTE_PGM_RSRC2:TRAP_HANDLER: 0
; COMPUTE_PGM_RSRC2:TGID_X_EN: 1
; COMPUTE_PGM_RSRC2:TGID_Y_EN: 0
; COMPUTE_PGM_RSRC2:TGID_Z_EN: 0
; COMPUTE_PGM_RSRC2:TIDIG_COMP_CNT: 0
; COMPUTE_PGM_RSRC3_GFX90A:ACCUM_OFFSET: 0
; COMPUTE_PGM_RSRC3_GFX90A:TG_SPLIT: 0
	.section	.text._ZN6thrust23THRUST_200600_302600_NS11hip_rocprim14__parallel_for6kernelILj256ENS1_10__tabulate7functorIPiNS0_6system6detail7generic6detail22compute_sequence_valueIivEElEElLj1EEEvT0_T1_SF_,"axG",@progbits,_ZN6thrust23THRUST_200600_302600_NS11hip_rocprim14__parallel_for6kernelILj256ENS1_10__tabulate7functorIPiNS0_6system6detail7generic6detail22compute_sequence_valueIivEElEElLj1EEEvT0_T1_SF_,comdat
	.protected	_ZN6thrust23THRUST_200600_302600_NS11hip_rocprim14__parallel_for6kernelILj256ENS1_10__tabulate7functorIPiNS0_6system6detail7generic6detail22compute_sequence_valueIivEElEElLj1EEEvT0_T1_SF_ ; -- Begin function _ZN6thrust23THRUST_200600_302600_NS11hip_rocprim14__parallel_for6kernelILj256ENS1_10__tabulate7functorIPiNS0_6system6detail7generic6detail22compute_sequence_valueIivEElEElLj1EEEvT0_T1_SF_
	.globl	_ZN6thrust23THRUST_200600_302600_NS11hip_rocprim14__parallel_for6kernelILj256ENS1_10__tabulate7functorIPiNS0_6system6detail7generic6detail22compute_sequence_valueIivEElEElLj1EEEvT0_T1_SF_
	.p2align	8
	.type	_ZN6thrust23THRUST_200600_302600_NS11hip_rocprim14__parallel_for6kernelILj256ENS1_10__tabulate7functorIPiNS0_6system6detail7generic6detail22compute_sequence_valueIivEElEElLj1EEEvT0_T1_SF_,@function
_ZN6thrust23THRUST_200600_302600_NS11hip_rocprim14__parallel_for6kernelILj256ENS1_10__tabulate7functorIPiNS0_6system6detail7generic6detail22compute_sequence_valueIivEElEElLj1EEEvT0_T1_SF_: ; @_ZN6thrust23THRUST_200600_302600_NS11hip_rocprim14__parallel_for6kernelILj256ENS1_10__tabulate7functorIPiNS0_6system6detail7generic6detail22compute_sequence_valueIivEElEElLj1EEEvT0_T1_SF_
; %bb.0:
	s_load_dwordx4 s[8:11], s[4:5], 0x10
	s_lshl_b32 s0, s6, 8
	v_mov_b32_e32 v2, 0x100
	v_mov_b32_e32 v3, 0
	s_waitcnt lgkmcnt(0)
	s_add_u32 s0, s0, s10
	s_addc_u32 s1, 0, s11
	s_sub_u32 s2, s8, s0
	s_subb_u32 s3, s9, s1
	v_cmp_lt_i64_e32 vcc, s[2:3], v[2:3]
	s_and_b64 s[6:7], vcc, exec
	s_cselect_b32 s6, s2, 0x100
	s_cmpk_eq_i32 s6, 0x100
	s_cselect_b64 s[2:3], -1, 0
	v_cmp_gt_u32_e32 vcc, s6, v0
	s_or_b64 s[2:3], s[2:3], vcc
	s_and_saveexec_b64 s[6:7], s[2:3]
	s_cbranch_execz .LBB147_2
; %bb.1:
	s_load_dwordx4 s[4:7], s[4:5], 0x0
	v_mov_b32_e32 v1, s1
	v_add_co_u32_e32 v0, vcc, s0, v0
	v_addc_co_u32_e32 v1, vcc, 0, v1, vcc
	s_waitcnt lgkmcnt(0)
	v_mul_lo_u32 v2, s7, v0
	v_lshlrev_b64 v[0:1], 2, v[0:1]
	v_mov_b32_e32 v3, s5
	v_add_co_u32_e32 v0, vcc, s4, v0
	v_add_u32_e32 v2, s6, v2
	v_addc_co_u32_e32 v1, vcc, v3, v1, vcc
	global_store_dword v[0:1], v2, off
.LBB147_2:
	s_endpgm
	.section	.rodata,"a",@progbits
	.p2align	6, 0x0
	.amdhsa_kernel _ZN6thrust23THRUST_200600_302600_NS11hip_rocprim14__parallel_for6kernelILj256ENS1_10__tabulate7functorIPiNS0_6system6detail7generic6detail22compute_sequence_valueIivEElEElLj1EEEvT0_T1_SF_
		.amdhsa_group_segment_fixed_size 0
		.amdhsa_private_segment_fixed_size 0
		.amdhsa_kernarg_size 32
		.amdhsa_user_sgpr_count 6
		.amdhsa_user_sgpr_private_segment_buffer 1
		.amdhsa_user_sgpr_dispatch_ptr 0
		.amdhsa_user_sgpr_queue_ptr 0
		.amdhsa_user_sgpr_kernarg_segment_ptr 1
		.amdhsa_user_sgpr_dispatch_id 0
		.amdhsa_user_sgpr_flat_scratch_init 0
		.amdhsa_user_sgpr_kernarg_preload_length 0
		.amdhsa_user_sgpr_kernarg_preload_offset 0
		.amdhsa_user_sgpr_private_segment_size 0
		.amdhsa_uses_dynamic_stack 0
		.amdhsa_system_sgpr_private_segment_wavefront_offset 0
		.amdhsa_system_sgpr_workgroup_id_x 1
		.amdhsa_system_sgpr_workgroup_id_y 0
		.amdhsa_system_sgpr_workgroup_id_z 0
		.amdhsa_system_sgpr_workgroup_info 0
		.amdhsa_system_vgpr_workitem_id 0
		.amdhsa_next_free_vgpr 4
		.amdhsa_next_free_sgpr 12
		.amdhsa_accum_offset 4
		.amdhsa_reserve_vcc 1
		.amdhsa_reserve_flat_scratch 0
		.amdhsa_float_round_mode_32 0
		.amdhsa_float_round_mode_16_64 0
		.amdhsa_float_denorm_mode_32 3
		.amdhsa_float_denorm_mode_16_64 3
		.amdhsa_dx10_clamp 1
		.amdhsa_ieee_mode 1
		.amdhsa_fp16_overflow 0
		.amdhsa_tg_split 0
		.amdhsa_exception_fp_ieee_invalid_op 0
		.amdhsa_exception_fp_denorm_src 0
		.amdhsa_exception_fp_ieee_div_zero 0
		.amdhsa_exception_fp_ieee_overflow 0
		.amdhsa_exception_fp_ieee_underflow 0
		.amdhsa_exception_fp_ieee_inexact 0
		.amdhsa_exception_int_div_zero 0
	.end_amdhsa_kernel
	.section	.text._ZN6thrust23THRUST_200600_302600_NS11hip_rocprim14__parallel_for6kernelILj256ENS1_10__tabulate7functorIPiNS0_6system6detail7generic6detail22compute_sequence_valueIivEElEElLj1EEEvT0_T1_SF_,"axG",@progbits,_ZN6thrust23THRUST_200600_302600_NS11hip_rocprim14__parallel_for6kernelILj256ENS1_10__tabulate7functorIPiNS0_6system6detail7generic6detail22compute_sequence_valueIivEElEElLj1EEEvT0_T1_SF_,comdat
.Lfunc_end147:
	.size	_ZN6thrust23THRUST_200600_302600_NS11hip_rocprim14__parallel_for6kernelILj256ENS1_10__tabulate7functorIPiNS0_6system6detail7generic6detail22compute_sequence_valueIivEElEElLj1EEEvT0_T1_SF_, .Lfunc_end147-_ZN6thrust23THRUST_200600_302600_NS11hip_rocprim14__parallel_for6kernelILj256ENS1_10__tabulate7functorIPiNS0_6system6detail7generic6detail22compute_sequence_valueIivEElEElLj1EEEvT0_T1_SF_
                                        ; -- End function
	.section	.AMDGPU.csdata,"",@progbits
; Kernel info:
; codeLenInByte = 152
; NumSgprs: 16
; NumVgprs: 4
; NumAgprs: 0
; TotalNumVgprs: 4
; ScratchSize: 0
; MemoryBound: 0
; FloatMode: 240
; IeeeMode: 1
; LDSByteSize: 0 bytes/workgroup (compile time only)
; SGPRBlocks: 1
; VGPRBlocks: 0
; NumSGPRsForWavesPerEU: 16
; NumVGPRsForWavesPerEU: 4
; AccumOffset: 4
; Occupancy: 8
; WaveLimiterHint : 0
; COMPUTE_PGM_RSRC2:SCRATCH_EN: 0
; COMPUTE_PGM_RSRC2:USER_SGPR: 6
; COMPUTE_PGM_RSRC2:TRAP_HANDLER: 0
; COMPUTE_PGM_RSRC2:TGID_X_EN: 1
; COMPUTE_PGM_RSRC2:TGID_Y_EN: 0
; COMPUTE_PGM_RSRC2:TGID_Z_EN: 0
; COMPUTE_PGM_RSRC2:TIDIG_COMP_CNT: 0
; COMPUTE_PGM_RSRC3_GFX90A:ACCUM_OFFSET: 0
; COMPUTE_PGM_RSRC3_GFX90A:TG_SPLIT: 0
	.section	.text._ZN7rocprim17ROCPRIM_400000_NS6detail17trampoline_kernelINS0_14default_configENS1_25partition_config_selectorILNS1_17partition_subalgoE5EiNS0_10empty_typeEbEEZZNS1_14partition_implILS5_5ELb0ES3_mPiPS6_N6thrust23THRUST_200600_302600_NS18transform_iteratorIN6dUtils5isOneIiEES9_NSC_11use_defaultESH_EENS0_5tupleIJS9_S6_EEENSJ_IJSA_SA_EEES6_PlJS6_EEE10hipError_tPvRmT3_T4_T5_T6_T7_T9_mT8_P12ihipStream_tbDpT10_ENKUlT_T0_E_clISt17integral_constantIbLb0EES16_EEDaS11_S12_EUlS11_E_NS1_11comp_targetILNS1_3genE0ELNS1_11target_archE4294967295ELNS1_3gpuE0ELNS1_3repE0EEENS1_30default_config_static_selectorELNS0_4arch9wavefront6targetE1EEEvT1_,"axG",@progbits,_ZN7rocprim17ROCPRIM_400000_NS6detail17trampoline_kernelINS0_14default_configENS1_25partition_config_selectorILNS1_17partition_subalgoE5EiNS0_10empty_typeEbEEZZNS1_14partition_implILS5_5ELb0ES3_mPiPS6_N6thrust23THRUST_200600_302600_NS18transform_iteratorIN6dUtils5isOneIiEES9_NSC_11use_defaultESH_EENS0_5tupleIJS9_S6_EEENSJ_IJSA_SA_EEES6_PlJS6_EEE10hipError_tPvRmT3_T4_T5_T6_T7_T9_mT8_P12ihipStream_tbDpT10_ENKUlT_T0_E_clISt17integral_constantIbLb0EES16_EEDaS11_S12_EUlS11_E_NS1_11comp_targetILNS1_3genE0ELNS1_11target_archE4294967295ELNS1_3gpuE0ELNS1_3repE0EEENS1_30default_config_static_selectorELNS0_4arch9wavefront6targetE1EEEvT1_,comdat
	.protected	_ZN7rocprim17ROCPRIM_400000_NS6detail17trampoline_kernelINS0_14default_configENS1_25partition_config_selectorILNS1_17partition_subalgoE5EiNS0_10empty_typeEbEEZZNS1_14partition_implILS5_5ELb0ES3_mPiPS6_N6thrust23THRUST_200600_302600_NS18transform_iteratorIN6dUtils5isOneIiEES9_NSC_11use_defaultESH_EENS0_5tupleIJS9_S6_EEENSJ_IJSA_SA_EEES6_PlJS6_EEE10hipError_tPvRmT3_T4_T5_T6_T7_T9_mT8_P12ihipStream_tbDpT10_ENKUlT_T0_E_clISt17integral_constantIbLb0EES16_EEDaS11_S12_EUlS11_E_NS1_11comp_targetILNS1_3genE0ELNS1_11target_archE4294967295ELNS1_3gpuE0ELNS1_3repE0EEENS1_30default_config_static_selectorELNS0_4arch9wavefront6targetE1EEEvT1_ ; -- Begin function _ZN7rocprim17ROCPRIM_400000_NS6detail17trampoline_kernelINS0_14default_configENS1_25partition_config_selectorILNS1_17partition_subalgoE5EiNS0_10empty_typeEbEEZZNS1_14partition_implILS5_5ELb0ES3_mPiPS6_N6thrust23THRUST_200600_302600_NS18transform_iteratorIN6dUtils5isOneIiEES9_NSC_11use_defaultESH_EENS0_5tupleIJS9_S6_EEENSJ_IJSA_SA_EEES6_PlJS6_EEE10hipError_tPvRmT3_T4_T5_T6_T7_T9_mT8_P12ihipStream_tbDpT10_ENKUlT_T0_E_clISt17integral_constantIbLb0EES16_EEDaS11_S12_EUlS11_E_NS1_11comp_targetILNS1_3genE0ELNS1_11target_archE4294967295ELNS1_3gpuE0ELNS1_3repE0EEENS1_30default_config_static_selectorELNS0_4arch9wavefront6targetE1EEEvT1_
	.globl	_ZN7rocprim17ROCPRIM_400000_NS6detail17trampoline_kernelINS0_14default_configENS1_25partition_config_selectorILNS1_17partition_subalgoE5EiNS0_10empty_typeEbEEZZNS1_14partition_implILS5_5ELb0ES3_mPiPS6_N6thrust23THRUST_200600_302600_NS18transform_iteratorIN6dUtils5isOneIiEES9_NSC_11use_defaultESH_EENS0_5tupleIJS9_S6_EEENSJ_IJSA_SA_EEES6_PlJS6_EEE10hipError_tPvRmT3_T4_T5_T6_T7_T9_mT8_P12ihipStream_tbDpT10_ENKUlT_T0_E_clISt17integral_constantIbLb0EES16_EEDaS11_S12_EUlS11_E_NS1_11comp_targetILNS1_3genE0ELNS1_11target_archE4294967295ELNS1_3gpuE0ELNS1_3repE0EEENS1_30default_config_static_selectorELNS0_4arch9wavefront6targetE1EEEvT1_
	.p2align	8
	.type	_ZN7rocprim17ROCPRIM_400000_NS6detail17trampoline_kernelINS0_14default_configENS1_25partition_config_selectorILNS1_17partition_subalgoE5EiNS0_10empty_typeEbEEZZNS1_14partition_implILS5_5ELb0ES3_mPiPS6_N6thrust23THRUST_200600_302600_NS18transform_iteratorIN6dUtils5isOneIiEES9_NSC_11use_defaultESH_EENS0_5tupleIJS9_S6_EEENSJ_IJSA_SA_EEES6_PlJS6_EEE10hipError_tPvRmT3_T4_T5_T6_T7_T9_mT8_P12ihipStream_tbDpT10_ENKUlT_T0_E_clISt17integral_constantIbLb0EES16_EEDaS11_S12_EUlS11_E_NS1_11comp_targetILNS1_3genE0ELNS1_11target_archE4294967295ELNS1_3gpuE0ELNS1_3repE0EEENS1_30default_config_static_selectorELNS0_4arch9wavefront6targetE1EEEvT1_,@function
_ZN7rocprim17ROCPRIM_400000_NS6detail17trampoline_kernelINS0_14default_configENS1_25partition_config_selectorILNS1_17partition_subalgoE5EiNS0_10empty_typeEbEEZZNS1_14partition_implILS5_5ELb0ES3_mPiPS6_N6thrust23THRUST_200600_302600_NS18transform_iteratorIN6dUtils5isOneIiEES9_NSC_11use_defaultESH_EENS0_5tupleIJS9_S6_EEENSJ_IJSA_SA_EEES6_PlJS6_EEE10hipError_tPvRmT3_T4_T5_T6_T7_T9_mT8_P12ihipStream_tbDpT10_ENKUlT_T0_E_clISt17integral_constantIbLb0EES16_EEDaS11_S12_EUlS11_E_NS1_11comp_targetILNS1_3genE0ELNS1_11target_archE4294967295ELNS1_3gpuE0ELNS1_3repE0EEENS1_30default_config_static_selectorELNS0_4arch9wavefront6targetE1EEEvT1_: ; @_ZN7rocprim17ROCPRIM_400000_NS6detail17trampoline_kernelINS0_14default_configENS1_25partition_config_selectorILNS1_17partition_subalgoE5EiNS0_10empty_typeEbEEZZNS1_14partition_implILS5_5ELb0ES3_mPiPS6_N6thrust23THRUST_200600_302600_NS18transform_iteratorIN6dUtils5isOneIiEES9_NSC_11use_defaultESH_EENS0_5tupleIJS9_S6_EEENSJ_IJSA_SA_EEES6_PlJS6_EEE10hipError_tPvRmT3_T4_T5_T6_T7_T9_mT8_P12ihipStream_tbDpT10_ENKUlT_T0_E_clISt17integral_constantIbLb0EES16_EEDaS11_S12_EUlS11_E_NS1_11comp_targetILNS1_3genE0ELNS1_11target_archE4294967295ELNS1_3gpuE0ELNS1_3repE0EEENS1_30default_config_static_selectorELNS0_4arch9wavefront6targetE1EEEvT1_
; %bb.0:
	.section	.rodata,"a",@progbits
	.p2align	6, 0x0
	.amdhsa_kernel _ZN7rocprim17ROCPRIM_400000_NS6detail17trampoline_kernelINS0_14default_configENS1_25partition_config_selectorILNS1_17partition_subalgoE5EiNS0_10empty_typeEbEEZZNS1_14partition_implILS5_5ELb0ES3_mPiPS6_N6thrust23THRUST_200600_302600_NS18transform_iteratorIN6dUtils5isOneIiEES9_NSC_11use_defaultESH_EENS0_5tupleIJS9_S6_EEENSJ_IJSA_SA_EEES6_PlJS6_EEE10hipError_tPvRmT3_T4_T5_T6_T7_T9_mT8_P12ihipStream_tbDpT10_ENKUlT_T0_E_clISt17integral_constantIbLb0EES16_EEDaS11_S12_EUlS11_E_NS1_11comp_targetILNS1_3genE0ELNS1_11target_archE4294967295ELNS1_3gpuE0ELNS1_3repE0EEENS1_30default_config_static_selectorELNS0_4arch9wavefront6targetE1EEEvT1_
		.amdhsa_group_segment_fixed_size 0
		.amdhsa_private_segment_fixed_size 0
		.amdhsa_kernarg_size 120
		.amdhsa_user_sgpr_count 6
		.amdhsa_user_sgpr_private_segment_buffer 1
		.amdhsa_user_sgpr_dispatch_ptr 0
		.amdhsa_user_sgpr_queue_ptr 0
		.amdhsa_user_sgpr_kernarg_segment_ptr 1
		.amdhsa_user_sgpr_dispatch_id 0
		.amdhsa_user_sgpr_flat_scratch_init 0
		.amdhsa_user_sgpr_kernarg_preload_length 0
		.amdhsa_user_sgpr_kernarg_preload_offset 0
		.amdhsa_user_sgpr_private_segment_size 0
		.amdhsa_uses_dynamic_stack 0
		.amdhsa_system_sgpr_private_segment_wavefront_offset 0
		.amdhsa_system_sgpr_workgroup_id_x 1
		.amdhsa_system_sgpr_workgroup_id_y 0
		.amdhsa_system_sgpr_workgroup_id_z 0
		.amdhsa_system_sgpr_workgroup_info 0
		.amdhsa_system_vgpr_workitem_id 0
		.amdhsa_next_free_vgpr 1
		.amdhsa_next_free_sgpr 0
		.amdhsa_accum_offset 4
		.amdhsa_reserve_vcc 0
		.amdhsa_reserve_flat_scratch 0
		.amdhsa_float_round_mode_32 0
		.amdhsa_float_round_mode_16_64 0
		.amdhsa_float_denorm_mode_32 3
		.amdhsa_float_denorm_mode_16_64 3
		.amdhsa_dx10_clamp 1
		.amdhsa_ieee_mode 1
		.amdhsa_fp16_overflow 0
		.amdhsa_tg_split 0
		.amdhsa_exception_fp_ieee_invalid_op 0
		.amdhsa_exception_fp_denorm_src 0
		.amdhsa_exception_fp_ieee_div_zero 0
		.amdhsa_exception_fp_ieee_overflow 0
		.amdhsa_exception_fp_ieee_underflow 0
		.amdhsa_exception_fp_ieee_inexact 0
		.amdhsa_exception_int_div_zero 0
	.end_amdhsa_kernel
	.section	.text._ZN7rocprim17ROCPRIM_400000_NS6detail17trampoline_kernelINS0_14default_configENS1_25partition_config_selectorILNS1_17partition_subalgoE5EiNS0_10empty_typeEbEEZZNS1_14partition_implILS5_5ELb0ES3_mPiPS6_N6thrust23THRUST_200600_302600_NS18transform_iteratorIN6dUtils5isOneIiEES9_NSC_11use_defaultESH_EENS0_5tupleIJS9_S6_EEENSJ_IJSA_SA_EEES6_PlJS6_EEE10hipError_tPvRmT3_T4_T5_T6_T7_T9_mT8_P12ihipStream_tbDpT10_ENKUlT_T0_E_clISt17integral_constantIbLb0EES16_EEDaS11_S12_EUlS11_E_NS1_11comp_targetILNS1_3genE0ELNS1_11target_archE4294967295ELNS1_3gpuE0ELNS1_3repE0EEENS1_30default_config_static_selectorELNS0_4arch9wavefront6targetE1EEEvT1_,"axG",@progbits,_ZN7rocprim17ROCPRIM_400000_NS6detail17trampoline_kernelINS0_14default_configENS1_25partition_config_selectorILNS1_17partition_subalgoE5EiNS0_10empty_typeEbEEZZNS1_14partition_implILS5_5ELb0ES3_mPiPS6_N6thrust23THRUST_200600_302600_NS18transform_iteratorIN6dUtils5isOneIiEES9_NSC_11use_defaultESH_EENS0_5tupleIJS9_S6_EEENSJ_IJSA_SA_EEES6_PlJS6_EEE10hipError_tPvRmT3_T4_T5_T6_T7_T9_mT8_P12ihipStream_tbDpT10_ENKUlT_T0_E_clISt17integral_constantIbLb0EES16_EEDaS11_S12_EUlS11_E_NS1_11comp_targetILNS1_3genE0ELNS1_11target_archE4294967295ELNS1_3gpuE0ELNS1_3repE0EEENS1_30default_config_static_selectorELNS0_4arch9wavefront6targetE1EEEvT1_,comdat
.Lfunc_end148:
	.size	_ZN7rocprim17ROCPRIM_400000_NS6detail17trampoline_kernelINS0_14default_configENS1_25partition_config_selectorILNS1_17partition_subalgoE5EiNS0_10empty_typeEbEEZZNS1_14partition_implILS5_5ELb0ES3_mPiPS6_N6thrust23THRUST_200600_302600_NS18transform_iteratorIN6dUtils5isOneIiEES9_NSC_11use_defaultESH_EENS0_5tupleIJS9_S6_EEENSJ_IJSA_SA_EEES6_PlJS6_EEE10hipError_tPvRmT3_T4_T5_T6_T7_T9_mT8_P12ihipStream_tbDpT10_ENKUlT_T0_E_clISt17integral_constantIbLb0EES16_EEDaS11_S12_EUlS11_E_NS1_11comp_targetILNS1_3genE0ELNS1_11target_archE4294967295ELNS1_3gpuE0ELNS1_3repE0EEENS1_30default_config_static_selectorELNS0_4arch9wavefront6targetE1EEEvT1_, .Lfunc_end148-_ZN7rocprim17ROCPRIM_400000_NS6detail17trampoline_kernelINS0_14default_configENS1_25partition_config_selectorILNS1_17partition_subalgoE5EiNS0_10empty_typeEbEEZZNS1_14partition_implILS5_5ELb0ES3_mPiPS6_N6thrust23THRUST_200600_302600_NS18transform_iteratorIN6dUtils5isOneIiEES9_NSC_11use_defaultESH_EENS0_5tupleIJS9_S6_EEENSJ_IJSA_SA_EEES6_PlJS6_EEE10hipError_tPvRmT3_T4_T5_T6_T7_T9_mT8_P12ihipStream_tbDpT10_ENKUlT_T0_E_clISt17integral_constantIbLb0EES16_EEDaS11_S12_EUlS11_E_NS1_11comp_targetILNS1_3genE0ELNS1_11target_archE4294967295ELNS1_3gpuE0ELNS1_3repE0EEENS1_30default_config_static_selectorELNS0_4arch9wavefront6targetE1EEEvT1_
                                        ; -- End function
	.section	.AMDGPU.csdata,"",@progbits
; Kernel info:
; codeLenInByte = 0
; NumSgprs: 4
; NumVgprs: 0
; NumAgprs: 0
; TotalNumVgprs: 0
; ScratchSize: 0
; MemoryBound: 0
; FloatMode: 240
; IeeeMode: 1
; LDSByteSize: 0 bytes/workgroup (compile time only)
; SGPRBlocks: 0
; VGPRBlocks: 0
; NumSGPRsForWavesPerEU: 4
; NumVGPRsForWavesPerEU: 1
; AccumOffset: 4
; Occupancy: 8
; WaveLimiterHint : 0
; COMPUTE_PGM_RSRC2:SCRATCH_EN: 0
; COMPUTE_PGM_RSRC2:USER_SGPR: 6
; COMPUTE_PGM_RSRC2:TRAP_HANDLER: 0
; COMPUTE_PGM_RSRC2:TGID_X_EN: 1
; COMPUTE_PGM_RSRC2:TGID_Y_EN: 0
; COMPUTE_PGM_RSRC2:TGID_Z_EN: 0
; COMPUTE_PGM_RSRC2:TIDIG_COMP_CNT: 0
; COMPUTE_PGM_RSRC3_GFX90A:ACCUM_OFFSET: 0
; COMPUTE_PGM_RSRC3_GFX90A:TG_SPLIT: 0
	.section	.text._ZN7rocprim17ROCPRIM_400000_NS6detail17trampoline_kernelINS0_14default_configENS1_25partition_config_selectorILNS1_17partition_subalgoE5EiNS0_10empty_typeEbEEZZNS1_14partition_implILS5_5ELb0ES3_mPiPS6_N6thrust23THRUST_200600_302600_NS18transform_iteratorIN6dUtils5isOneIiEES9_NSC_11use_defaultESH_EENS0_5tupleIJS9_S6_EEENSJ_IJSA_SA_EEES6_PlJS6_EEE10hipError_tPvRmT3_T4_T5_T6_T7_T9_mT8_P12ihipStream_tbDpT10_ENKUlT_T0_E_clISt17integral_constantIbLb0EES16_EEDaS11_S12_EUlS11_E_NS1_11comp_targetILNS1_3genE5ELNS1_11target_archE942ELNS1_3gpuE9ELNS1_3repE0EEENS1_30default_config_static_selectorELNS0_4arch9wavefront6targetE1EEEvT1_,"axG",@progbits,_ZN7rocprim17ROCPRIM_400000_NS6detail17trampoline_kernelINS0_14default_configENS1_25partition_config_selectorILNS1_17partition_subalgoE5EiNS0_10empty_typeEbEEZZNS1_14partition_implILS5_5ELb0ES3_mPiPS6_N6thrust23THRUST_200600_302600_NS18transform_iteratorIN6dUtils5isOneIiEES9_NSC_11use_defaultESH_EENS0_5tupleIJS9_S6_EEENSJ_IJSA_SA_EEES6_PlJS6_EEE10hipError_tPvRmT3_T4_T5_T6_T7_T9_mT8_P12ihipStream_tbDpT10_ENKUlT_T0_E_clISt17integral_constantIbLb0EES16_EEDaS11_S12_EUlS11_E_NS1_11comp_targetILNS1_3genE5ELNS1_11target_archE942ELNS1_3gpuE9ELNS1_3repE0EEENS1_30default_config_static_selectorELNS0_4arch9wavefront6targetE1EEEvT1_,comdat
	.protected	_ZN7rocprim17ROCPRIM_400000_NS6detail17trampoline_kernelINS0_14default_configENS1_25partition_config_selectorILNS1_17partition_subalgoE5EiNS0_10empty_typeEbEEZZNS1_14partition_implILS5_5ELb0ES3_mPiPS6_N6thrust23THRUST_200600_302600_NS18transform_iteratorIN6dUtils5isOneIiEES9_NSC_11use_defaultESH_EENS0_5tupleIJS9_S6_EEENSJ_IJSA_SA_EEES6_PlJS6_EEE10hipError_tPvRmT3_T4_T5_T6_T7_T9_mT8_P12ihipStream_tbDpT10_ENKUlT_T0_E_clISt17integral_constantIbLb0EES16_EEDaS11_S12_EUlS11_E_NS1_11comp_targetILNS1_3genE5ELNS1_11target_archE942ELNS1_3gpuE9ELNS1_3repE0EEENS1_30default_config_static_selectorELNS0_4arch9wavefront6targetE1EEEvT1_ ; -- Begin function _ZN7rocprim17ROCPRIM_400000_NS6detail17trampoline_kernelINS0_14default_configENS1_25partition_config_selectorILNS1_17partition_subalgoE5EiNS0_10empty_typeEbEEZZNS1_14partition_implILS5_5ELb0ES3_mPiPS6_N6thrust23THRUST_200600_302600_NS18transform_iteratorIN6dUtils5isOneIiEES9_NSC_11use_defaultESH_EENS0_5tupleIJS9_S6_EEENSJ_IJSA_SA_EEES6_PlJS6_EEE10hipError_tPvRmT3_T4_T5_T6_T7_T9_mT8_P12ihipStream_tbDpT10_ENKUlT_T0_E_clISt17integral_constantIbLb0EES16_EEDaS11_S12_EUlS11_E_NS1_11comp_targetILNS1_3genE5ELNS1_11target_archE942ELNS1_3gpuE9ELNS1_3repE0EEENS1_30default_config_static_selectorELNS0_4arch9wavefront6targetE1EEEvT1_
	.globl	_ZN7rocprim17ROCPRIM_400000_NS6detail17trampoline_kernelINS0_14default_configENS1_25partition_config_selectorILNS1_17partition_subalgoE5EiNS0_10empty_typeEbEEZZNS1_14partition_implILS5_5ELb0ES3_mPiPS6_N6thrust23THRUST_200600_302600_NS18transform_iteratorIN6dUtils5isOneIiEES9_NSC_11use_defaultESH_EENS0_5tupleIJS9_S6_EEENSJ_IJSA_SA_EEES6_PlJS6_EEE10hipError_tPvRmT3_T4_T5_T6_T7_T9_mT8_P12ihipStream_tbDpT10_ENKUlT_T0_E_clISt17integral_constantIbLb0EES16_EEDaS11_S12_EUlS11_E_NS1_11comp_targetILNS1_3genE5ELNS1_11target_archE942ELNS1_3gpuE9ELNS1_3repE0EEENS1_30default_config_static_selectorELNS0_4arch9wavefront6targetE1EEEvT1_
	.p2align	8
	.type	_ZN7rocprim17ROCPRIM_400000_NS6detail17trampoline_kernelINS0_14default_configENS1_25partition_config_selectorILNS1_17partition_subalgoE5EiNS0_10empty_typeEbEEZZNS1_14partition_implILS5_5ELb0ES3_mPiPS6_N6thrust23THRUST_200600_302600_NS18transform_iteratorIN6dUtils5isOneIiEES9_NSC_11use_defaultESH_EENS0_5tupleIJS9_S6_EEENSJ_IJSA_SA_EEES6_PlJS6_EEE10hipError_tPvRmT3_T4_T5_T6_T7_T9_mT8_P12ihipStream_tbDpT10_ENKUlT_T0_E_clISt17integral_constantIbLb0EES16_EEDaS11_S12_EUlS11_E_NS1_11comp_targetILNS1_3genE5ELNS1_11target_archE942ELNS1_3gpuE9ELNS1_3repE0EEENS1_30default_config_static_selectorELNS0_4arch9wavefront6targetE1EEEvT1_,@function
_ZN7rocprim17ROCPRIM_400000_NS6detail17trampoline_kernelINS0_14default_configENS1_25partition_config_selectorILNS1_17partition_subalgoE5EiNS0_10empty_typeEbEEZZNS1_14partition_implILS5_5ELb0ES3_mPiPS6_N6thrust23THRUST_200600_302600_NS18transform_iteratorIN6dUtils5isOneIiEES9_NSC_11use_defaultESH_EENS0_5tupleIJS9_S6_EEENSJ_IJSA_SA_EEES6_PlJS6_EEE10hipError_tPvRmT3_T4_T5_T6_T7_T9_mT8_P12ihipStream_tbDpT10_ENKUlT_T0_E_clISt17integral_constantIbLb0EES16_EEDaS11_S12_EUlS11_E_NS1_11comp_targetILNS1_3genE5ELNS1_11target_archE942ELNS1_3gpuE9ELNS1_3repE0EEENS1_30default_config_static_selectorELNS0_4arch9wavefront6targetE1EEEvT1_: ; @_ZN7rocprim17ROCPRIM_400000_NS6detail17trampoline_kernelINS0_14default_configENS1_25partition_config_selectorILNS1_17partition_subalgoE5EiNS0_10empty_typeEbEEZZNS1_14partition_implILS5_5ELb0ES3_mPiPS6_N6thrust23THRUST_200600_302600_NS18transform_iteratorIN6dUtils5isOneIiEES9_NSC_11use_defaultESH_EENS0_5tupleIJS9_S6_EEENSJ_IJSA_SA_EEES6_PlJS6_EEE10hipError_tPvRmT3_T4_T5_T6_T7_T9_mT8_P12ihipStream_tbDpT10_ENKUlT_T0_E_clISt17integral_constantIbLb0EES16_EEDaS11_S12_EUlS11_E_NS1_11comp_targetILNS1_3genE5ELNS1_11target_archE942ELNS1_3gpuE9ELNS1_3repE0EEENS1_30default_config_static_selectorELNS0_4arch9wavefront6targetE1EEEvT1_
; %bb.0:
	.section	.rodata,"a",@progbits
	.p2align	6, 0x0
	.amdhsa_kernel _ZN7rocprim17ROCPRIM_400000_NS6detail17trampoline_kernelINS0_14default_configENS1_25partition_config_selectorILNS1_17partition_subalgoE5EiNS0_10empty_typeEbEEZZNS1_14partition_implILS5_5ELb0ES3_mPiPS6_N6thrust23THRUST_200600_302600_NS18transform_iteratorIN6dUtils5isOneIiEES9_NSC_11use_defaultESH_EENS0_5tupleIJS9_S6_EEENSJ_IJSA_SA_EEES6_PlJS6_EEE10hipError_tPvRmT3_T4_T5_T6_T7_T9_mT8_P12ihipStream_tbDpT10_ENKUlT_T0_E_clISt17integral_constantIbLb0EES16_EEDaS11_S12_EUlS11_E_NS1_11comp_targetILNS1_3genE5ELNS1_11target_archE942ELNS1_3gpuE9ELNS1_3repE0EEENS1_30default_config_static_selectorELNS0_4arch9wavefront6targetE1EEEvT1_
		.amdhsa_group_segment_fixed_size 0
		.amdhsa_private_segment_fixed_size 0
		.amdhsa_kernarg_size 120
		.amdhsa_user_sgpr_count 6
		.amdhsa_user_sgpr_private_segment_buffer 1
		.amdhsa_user_sgpr_dispatch_ptr 0
		.amdhsa_user_sgpr_queue_ptr 0
		.amdhsa_user_sgpr_kernarg_segment_ptr 1
		.amdhsa_user_sgpr_dispatch_id 0
		.amdhsa_user_sgpr_flat_scratch_init 0
		.amdhsa_user_sgpr_kernarg_preload_length 0
		.amdhsa_user_sgpr_kernarg_preload_offset 0
		.amdhsa_user_sgpr_private_segment_size 0
		.amdhsa_uses_dynamic_stack 0
		.amdhsa_system_sgpr_private_segment_wavefront_offset 0
		.amdhsa_system_sgpr_workgroup_id_x 1
		.amdhsa_system_sgpr_workgroup_id_y 0
		.amdhsa_system_sgpr_workgroup_id_z 0
		.amdhsa_system_sgpr_workgroup_info 0
		.amdhsa_system_vgpr_workitem_id 0
		.amdhsa_next_free_vgpr 1
		.amdhsa_next_free_sgpr 0
		.amdhsa_accum_offset 4
		.amdhsa_reserve_vcc 0
		.amdhsa_reserve_flat_scratch 0
		.amdhsa_float_round_mode_32 0
		.amdhsa_float_round_mode_16_64 0
		.amdhsa_float_denorm_mode_32 3
		.amdhsa_float_denorm_mode_16_64 3
		.amdhsa_dx10_clamp 1
		.amdhsa_ieee_mode 1
		.amdhsa_fp16_overflow 0
		.amdhsa_tg_split 0
		.amdhsa_exception_fp_ieee_invalid_op 0
		.amdhsa_exception_fp_denorm_src 0
		.amdhsa_exception_fp_ieee_div_zero 0
		.amdhsa_exception_fp_ieee_overflow 0
		.amdhsa_exception_fp_ieee_underflow 0
		.amdhsa_exception_fp_ieee_inexact 0
		.amdhsa_exception_int_div_zero 0
	.end_amdhsa_kernel
	.section	.text._ZN7rocprim17ROCPRIM_400000_NS6detail17trampoline_kernelINS0_14default_configENS1_25partition_config_selectorILNS1_17partition_subalgoE5EiNS0_10empty_typeEbEEZZNS1_14partition_implILS5_5ELb0ES3_mPiPS6_N6thrust23THRUST_200600_302600_NS18transform_iteratorIN6dUtils5isOneIiEES9_NSC_11use_defaultESH_EENS0_5tupleIJS9_S6_EEENSJ_IJSA_SA_EEES6_PlJS6_EEE10hipError_tPvRmT3_T4_T5_T6_T7_T9_mT8_P12ihipStream_tbDpT10_ENKUlT_T0_E_clISt17integral_constantIbLb0EES16_EEDaS11_S12_EUlS11_E_NS1_11comp_targetILNS1_3genE5ELNS1_11target_archE942ELNS1_3gpuE9ELNS1_3repE0EEENS1_30default_config_static_selectorELNS0_4arch9wavefront6targetE1EEEvT1_,"axG",@progbits,_ZN7rocprim17ROCPRIM_400000_NS6detail17trampoline_kernelINS0_14default_configENS1_25partition_config_selectorILNS1_17partition_subalgoE5EiNS0_10empty_typeEbEEZZNS1_14partition_implILS5_5ELb0ES3_mPiPS6_N6thrust23THRUST_200600_302600_NS18transform_iteratorIN6dUtils5isOneIiEES9_NSC_11use_defaultESH_EENS0_5tupleIJS9_S6_EEENSJ_IJSA_SA_EEES6_PlJS6_EEE10hipError_tPvRmT3_T4_T5_T6_T7_T9_mT8_P12ihipStream_tbDpT10_ENKUlT_T0_E_clISt17integral_constantIbLb0EES16_EEDaS11_S12_EUlS11_E_NS1_11comp_targetILNS1_3genE5ELNS1_11target_archE942ELNS1_3gpuE9ELNS1_3repE0EEENS1_30default_config_static_selectorELNS0_4arch9wavefront6targetE1EEEvT1_,comdat
.Lfunc_end149:
	.size	_ZN7rocprim17ROCPRIM_400000_NS6detail17trampoline_kernelINS0_14default_configENS1_25partition_config_selectorILNS1_17partition_subalgoE5EiNS0_10empty_typeEbEEZZNS1_14partition_implILS5_5ELb0ES3_mPiPS6_N6thrust23THRUST_200600_302600_NS18transform_iteratorIN6dUtils5isOneIiEES9_NSC_11use_defaultESH_EENS0_5tupleIJS9_S6_EEENSJ_IJSA_SA_EEES6_PlJS6_EEE10hipError_tPvRmT3_T4_T5_T6_T7_T9_mT8_P12ihipStream_tbDpT10_ENKUlT_T0_E_clISt17integral_constantIbLb0EES16_EEDaS11_S12_EUlS11_E_NS1_11comp_targetILNS1_3genE5ELNS1_11target_archE942ELNS1_3gpuE9ELNS1_3repE0EEENS1_30default_config_static_selectorELNS0_4arch9wavefront6targetE1EEEvT1_, .Lfunc_end149-_ZN7rocprim17ROCPRIM_400000_NS6detail17trampoline_kernelINS0_14default_configENS1_25partition_config_selectorILNS1_17partition_subalgoE5EiNS0_10empty_typeEbEEZZNS1_14partition_implILS5_5ELb0ES3_mPiPS6_N6thrust23THRUST_200600_302600_NS18transform_iteratorIN6dUtils5isOneIiEES9_NSC_11use_defaultESH_EENS0_5tupleIJS9_S6_EEENSJ_IJSA_SA_EEES6_PlJS6_EEE10hipError_tPvRmT3_T4_T5_T6_T7_T9_mT8_P12ihipStream_tbDpT10_ENKUlT_T0_E_clISt17integral_constantIbLb0EES16_EEDaS11_S12_EUlS11_E_NS1_11comp_targetILNS1_3genE5ELNS1_11target_archE942ELNS1_3gpuE9ELNS1_3repE0EEENS1_30default_config_static_selectorELNS0_4arch9wavefront6targetE1EEEvT1_
                                        ; -- End function
	.section	.AMDGPU.csdata,"",@progbits
; Kernel info:
; codeLenInByte = 0
; NumSgprs: 4
; NumVgprs: 0
; NumAgprs: 0
; TotalNumVgprs: 0
; ScratchSize: 0
; MemoryBound: 0
; FloatMode: 240
; IeeeMode: 1
; LDSByteSize: 0 bytes/workgroup (compile time only)
; SGPRBlocks: 0
; VGPRBlocks: 0
; NumSGPRsForWavesPerEU: 4
; NumVGPRsForWavesPerEU: 1
; AccumOffset: 4
; Occupancy: 8
; WaveLimiterHint : 0
; COMPUTE_PGM_RSRC2:SCRATCH_EN: 0
; COMPUTE_PGM_RSRC2:USER_SGPR: 6
; COMPUTE_PGM_RSRC2:TRAP_HANDLER: 0
; COMPUTE_PGM_RSRC2:TGID_X_EN: 1
; COMPUTE_PGM_RSRC2:TGID_Y_EN: 0
; COMPUTE_PGM_RSRC2:TGID_Z_EN: 0
; COMPUTE_PGM_RSRC2:TIDIG_COMP_CNT: 0
; COMPUTE_PGM_RSRC3_GFX90A:ACCUM_OFFSET: 0
; COMPUTE_PGM_RSRC3_GFX90A:TG_SPLIT: 0
	.section	.text._ZN7rocprim17ROCPRIM_400000_NS6detail17trampoline_kernelINS0_14default_configENS1_25partition_config_selectorILNS1_17partition_subalgoE5EiNS0_10empty_typeEbEEZZNS1_14partition_implILS5_5ELb0ES3_mPiPS6_N6thrust23THRUST_200600_302600_NS18transform_iteratorIN6dUtils5isOneIiEES9_NSC_11use_defaultESH_EENS0_5tupleIJS9_S6_EEENSJ_IJSA_SA_EEES6_PlJS6_EEE10hipError_tPvRmT3_T4_T5_T6_T7_T9_mT8_P12ihipStream_tbDpT10_ENKUlT_T0_E_clISt17integral_constantIbLb0EES16_EEDaS11_S12_EUlS11_E_NS1_11comp_targetILNS1_3genE4ELNS1_11target_archE910ELNS1_3gpuE8ELNS1_3repE0EEENS1_30default_config_static_selectorELNS0_4arch9wavefront6targetE1EEEvT1_,"axG",@progbits,_ZN7rocprim17ROCPRIM_400000_NS6detail17trampoline_kernelINS0_14default_configENS1_25partition_config_selectorILNS1_17partition_subalgoE5EiNS0_10empty_typeEbEEZZNS1_14partition_implILS5_5ELb0ES3_mPiPS6_N6thrust23THRUST_200600_302600_NS18transform_iteratorIN6dUtils5isOneIiEES9_NSC_11use_defaultESH_EENS0_5tupleIJS9_S6_EEENSJ_IJSA_SA_EEES6_PlJS6_EEE10hipError_tPvRmT3_T4_T5_T6_T7_T9_mT8_P12ihipStream_tbDpT10_ENKUlT_T0_E_clISt17integral_constantIbLb0EES16_EEDaS11_S12_EUlS11_E_NS1_11comp_targetILNS1_3genE4ELNS1_11target_archE910ELNS1_3gpuE8ELNS1_3repE0EEENS1_30default_config_static_selectorELNS0_4arch9wavefront6targetE1EEEvT1_,comdat
	.protected	_ZN7rocprim17ROCPRIM_400000_NS6detail17trampoline_kernelINS0_14default_configENS1_25partition_config_selectorILNS1_17partition_subalgoE5EiNS0_10empty_typeEbEEZZNS1_14partition_implILS5_5ELb0ES3_mPiPS6_N6thrust23THRUST_200600_302600_NS18transform_iteratorIN6dUtils5isOneIiEES9_NSC_11use_defaultESH_EENS0_5tupleIJS9_S6_EEENSJ_IJSA_SA_EEES6_PlJS6_EEE10hipError_tPvRmT3_T4_T5_T6_T7_T9_mT8_P12ihipStream_tbDpT10_ENKUlT_T0_E_clISt17integral_constantIbLb0EES16_EEDaS11_S12_EUlS11_E_NS1_11comp_targetILNS1_3genE4ELNS1_11target_archE910ELNS1_3gpuE8ELNS1_3repE0EEENS1_30default_config_static_selectorELNS0_4arch9wavefront6targetE1EEEvT1_ ; -- Begin function _ZN7rocprim17ROCPRIM_400000_NS6detail17trampoline_kernelINS0_14default_configENS1_25partition_config_selectorILNS1_17partition_subalgoE5EiNS0_10empty_typeEbEEZZNS1_14partition_implILS5_5ELb0ES3_mPiPS6_N6thrust23THRUST_200600_302600_NS18transform_iteratorIN6dUtils5isOneIiEES9_NSC_11use_defaultESH_EENS0_5tupleIJS9_S6_EEENSJ_IJSA_SA_EEES6_PlJS6_EEE10hipError_tPvRmT3_T4_T5_T6_T7_T9_mT8_P12ihipStream_tbDpT10_ENKUlT_T0_E_clISt17integral_constantIbLb0EES16_EEDaS11_S12_EUlS11_E_NS1_11comp_targetILNS1_3genE4ELNS1_11target_archE910ELNS1_3gpuE8ELNS1_3repE0EEENS1_30default_config_static_selectorELNS0_4arch9wavefront6targetE1EEEvT1_
	.globl	_ZN7rocprim17ROCPRIM_400000_NS6detail17trampoline_kernelINS0_14default_configENS1_25partition_config_selectorILNS1_17partition_subalgoE5EiNS0_10empty_typeEbEEZZNS1_14partition_implILS5_5ELb0ES3_mPiPS6_N6thrust23THRUST_200600_302600_NS18transform_iteratorIN6dUtils5isOneIiEES9_NSC_11use_defaultESH_EENS0_5tupleIJS9_S6_EEENSJ_IJSA_SA_EEES6_PlJS6_EEE10hipError_tPvRmT3_T4_T5_T6_T7_T9_mT8_P12ihipStream_tbDpT10_ENKUlT_T0_E_clISt17integral_constantIbLb0EES16_EEDaS11_S12_EUlS11_E_NS1_11comp_targetILNS1_3genE4ELNS1_11target_archE910ELNS1_3gpuE8ELNS1_3repE0EEENS1_30default_config_static_selectorELNS0_4arch9wavefront6targetE1EEEvT1_
	.p2align	8
	.type	_ZN7rocprim17ROCPRIM_400000_NS6detail17trampoline_kernelINS0_14default_configENS1_25partition_config_selectorILNS1_17partition_subalgoE5EiNS0_10empty_typeEbEEZZNS1_14partition_implILS5_5ELb0ES3_mPiPS6_N6thrust23THRUST_200600_302600_NS18transform_iteratorIN6dUtils5isOneIiEES9_NSC_11use_defaultESH_EENS0_5tupleIJS9_S6_EEENSJ_IJSA_SA_EEES6_PlJS6_EEE10hipError_tPvRmT3_T4_T5_T6_T7_T9_mT8_P12ihipStream_tbDpT10_ENKUlT_T0_E_clISt17integral_constantIbLb0EES16_EEDaS11_S12_EUlS11_E_NS1_11comp_targetILNS1_3genE4ELNS1_11target_archE910ELNS1_3gpuE8ELNS1_3repE0EEENS1_30default_config_static_selectorELNS0_4arch9wavefront6targetE1EEEvT1_,@function
_ZN7rocprim17ROCPRIM_400000_NS6detail17trampoline_kernelINS0_14default_configENS1_25partition_config_selectorILNS1_17partition_subalgoE5EiNS0_10empty_typeEbEEZZNS1_14partition_implILS5_5ELb0ES3_mPiPS6_N6thrust23THRUST_200600_302600_NS18transform_iteratorIN6dUtils5isOneIiEES9_NSC_11use_defaultESH_EENS0_5tupleIJS9_S6_EEENSJ_IJSA_SA_EEES6_PlJS6_EEE10hipError_tPvRmT3_T4_T5_T6_T7_T9_mT8_P12ihipStream_tbDpT10_ENKUlT_T0_E_clISt17integral_constantIbLb0EES16_EEDaS11_S12_EUlS11_E_NS1_11comp_targetILNS1_3genE4ELNS1_11target_archE910ELNS1_3gpuE8ELNS1_3repE0EEENS1_30default_config_static_selectorELNS0_4arch9wavefront6targetE1EEEvT1_: ; @_ZN7rocprim17ROCPRIM_400000_NS6detail17trampoline_kernelINS0_14default_configENS1_25partition_config_selectorILNS1_17partition_subalgoE5EiNS0_10empty_typeEbEEZZNS1_14partition_implILS5_5ELb0ES3_mPiPS6_N6thrust23THRUST_200600_302600_NS18transform_iteratorIN6dUtils5isOneIiEES9_NSC_11use_defaultESH_EENS0_5tupleIJS9_S6_EEENSJ_IJSA_SA_EEES6_PlJS6_EEE10hipError_tPvRmT3_T4_T5_T6_T7_T9_mT8_P12ihipStream_tbDpT10_ENKUlT_T0_E_clISt17integral_constantIbLb0EES16_EEDaS11_S12_EUlS11_E_NS1_11comp_targetILNS1_3genE4ELNS1_11target_archE910ELNS1_3gpuE8ELNS1_3repE0EEENS1_30default_config_static_selectorELNS0_4arch9wavefront6targetE1EEEvT1_
; %bb.0:
	s_load_dwordx2 s[0:1], s[4:5], 0x58
	s_load_dwordx4 s[12:15], s[4:5], 0x8
	s_load_dwordx2 s[2:3], s[4:5], 0x20
	s_load_dwordx4 s[16:19], s[4:5], 0x48
	s_mul_i32 s10, s6, 0x700
	s_waitcnt lgkmcnt(0)
	v_mov_b32_e32 v3, s1
	s_load_dword s1, s[4:5], 0x70
	s_lshl_b64 s[8:9], s[14:15], 2
	s_add_u32 s24, s12, s8
	s_addc_u32 s25, s13, s9
	v_mov_b32_e32 v2, s0
	s_waitcnt lgkmcnt(0)
	s_add_i32 s12, s1, -1
	s_mulk_i32 s1, 0x700
	s_add_i32 s7, s1, s14
	s_sub_i32 s7, s0, s7
	s_addk_i32 s7, 0x700
	s_add_u32 s0, s14, s1
	s_addc_u32 s1, s15, 0
	s_cmp_eq_u32 s6, s12
	s_load_dwordx2 s[18:19], s[18:19], 0x0
	v_cmp_ge_u64_e32 vcc, s[0:1], v[2:3]
	s_cselect_b64 s[20:21], -1, 0
	s_mov_b32 s11, 0
	s_and_b64 s[12:13], s[20:21], vcc
	s_xor_b64 s[22:23], s[12:13], -1
	s_lshl_b64 s[10:11], s[10:11], 2
	s_add_u32 s12, s24, s10
	s_mov_b64 s[0:1], -1
	s_addc_u32 s13, s25, s11
	s_and_b64 vcc, exec, s[22:23]
	v_lshlrev_b32_e32 v1, 2, v0
	s_cbranch_vccz .LBB150_2
; %bb.1:
	v_mov_b32_e32 v2, s13
	v_add_co_u32_e32 v3, vcc, s12, v1
	v_addc_co_u32_e32 v4, vcc, 0, v2, vcc
	v_add_co_u32_e32 v2, vcc, 0x1000, v3
	v_addc_co_u32_e32 v3, vcc, 0, v4, vcc
	global_load_dword v5, v1, s[12:13]
	global_load_dword v6, v1, s[12:13] offset:1024
	global_load_dword v7, v1, s[12:13] offset:2048
	;; [unrolled: 1-line block ×3, first 2 shown]
	global_load_dword v4, v[2:3], off
	global_load_dword v9, v[2:3], off offset:1024
	global_load_dword v10, v[2:3], off offset:2048
	s_mov_b64 s[0:1], 0
	s_waitcnt vmcnt(5)
	ds_write2st64_b32 v1, v5, v6 offset1:4
	s_waitcnt vmcnt(3)
	ds_write2st64_b32 v1, v7, v8 offset0:8 offset1:12
	s_waitcnt vmcnt(1)
	ds_write2st64_b32 v1, v4, v9 offset0:16 offset1:20
	s_waitcnt vmcnt(0)
	ds_write_b32 v1, v10 offset:6144
	s_waitcnt lgkmcnt(0)
	s_barrier
.LBB150_2:
	s_andn2_b64 vcc, exec, s[0:1]
	v_cmp_gt_u32_e64 s[0:1], s7, v0
	s_cbranch_vccnz .LBB150_18
; %bb.3:
                                        ; implicit-def: $vgpr2_vgpr3_vgpr4_vgpr5_vgpr6_vgpr7_vgpr8
	s_and_saveexec_b64 s[14:15], s[0:1]
	s_cbranch_execz .LBB150_5
; %bb.4:
	global_load_dword v2, v1, s[12:13]
.LBB150_5:
	s_or_b64 exec, exec, s[14:15]
	v_or_b32_e32 v9, 0x100, v0
	v_cmp_gt_u32_e32 vcc, s7, v9
	s_and_saveexec_b64 s[0:1], vcc
	s_cbranch_execz .LBB150_7
; %bb.6:
	global_load_dword v3, v1, s[12:13] offset:1024
.LBB150_7:
	s_or_b64 exec, exec, s[0:1]
	v_or_b32_e32 v9, 0x200, v0
	v_cmp_gt_u32_e32 vcc, s7, v9
	s_and_saveexec_b64 s[0:1], vcc
	s_cbranch_execz .LBB150_9
; %bb.8:
	global_load_dword v4, v1, s[12:13] offset:2048
.LBB150_9:
	;; [unrolled: 8-line block ×3, first 2 shown]
	s_or_b64 exec, exec, s[0:1]
	v_or_b32_e32 v9, 0x400, v0
	v_cmp_gt_u32_e32 vcc, s7, v9
	s_and_saveexec_b64 s[0:1], vcc
	s_cbranch_execz .LBB150_13
; %bb.12:
	v_lshlrev_b32_e32 v6, 2, v9
	global_load_dword v6, v6, s[12:13]
.LBB150_13:
	s_or_b64 exec, exec, s[0:1]
	v_or_b32_e32 v9, 0x500, v0
	v_cmp_gt_u32_e32 vcc, s7, v9
	s_and_saveexec_b64 s[0:1], vcc
	s_cbranch_execz .LBB150_15
; %bb.14:
	v_lshlrev_b32_e32 v7, 2, v9
	global_load_dword v7, v7, s[12:13]
.LBB150_15:
	;; [unrolled: 9-line block ×3, first 2 shown]
	s_or_b64 exec, exec, s[0:1]
	s_waitcnt vmcnt(0)
	ds_write2st64_b32 v1, v2, v3 offset1:4
	ds_write2st64_b32 v1, v4, v5 offset0:8 offset1:12
	ds_write2st64_b32 v1, v6, v7 offset0:16 offset1:20
	ds_write_b32 v1, v8 offset:6144
	s_waitcnt lgkmcnt(0)
	s_barrier
.LBB150_18:
	v_mul_u32_u24_e32 v2, 7, v0
	v_lshlrev_b32_e32 v2, 2, v2
	s_waitcnt lgkmcnt(0)
	ds_read2_b32 v[14:15], v2 offset1:1
	ds_read2_b32 v[12:13], v2 offset0:2 offset1:3
	ds_read2_b32 v[10:11], v2 offset0:4 offset1:5
	ds_read_b32 v17, v2 offset:24
	s_add_u32 s0, s2, s8
	s_addc_u32 s1, s3, s9
	s_add_u32 s0, s0, s10
	s_addc_u32 s1, s1, s11
	s_mov_b64 s[2:3], -1
	s_and_b64 vcc, exec, s[22:23]
	s_waitcnt lgkmcnt(0)
	s_barrier
	s_cbranch_vccz .LBB150_20
; %bb.19:
	global_load_dword v6, v1, s[0:1]
	global_load_dword v7, v1, s[0:1] offset:1024
	v_mov_b32_e32 v3, s1
	v_add_co_u32_e32 v4, vcc, s0, v1
	v_addc_co_u32_e32 v3, vcc, 0, v3, vcc
	global_load_dword v8, v1, s[0:1] offset:2048
	global_load_dword v9, v1, s[0:1] offset:3072
	s_movk_i32 s2, 0x1000
	v_add_co_u32_e32 v4, vcc, s2, v4
	v_addc_co_u32_e32 v5, vcc, 0, v3, vcc
	global_load_dword v3, v[4:5], off
	global_load_dword v16, v[4:5], off offset:1024
	global_load_dword v18, v[4:5], off offset:2048
	s_mov_b64 s[2:3], 0
	s_waitcnt vmcnt(6)
	v_cmp_eq_u32_e32 vcc, 1, v6
	v_cndmask_b32_e64 v4, 0, 1, vcc
	s_waitcnt vmcnt(5)
	v_cmp_eq_u32_e32 vcc, 1, v7
	v_cndmask_b32_e64 v5, 0, 1, vcc
	;; [unrolled: 3-line block ×4, first 2 shown]
	ds_write_b8 v0, v4
	ds_write_b8 v0, v5 offset:256
	ds_write_b8 v0, v6 offset:512
	;; [unrolled: 1-line block ×3, first 2 shown]
	s_waitcnt vmcnt(2)
	v_cmp_eq_u32_e32 vcc, 1, v3
	v_cndmask_b32_e64 v3, 0, 1, vcc
	s_waitcnt vmcnt(1)
	v_cmp_eq_u32_e32 vcc, 1, v16
	v_cndmask_b32_e64 v4, 0, 1, vcc
	;; [unrolled: 3-line block ×3, first 2 shown]
	ds_write_b8 v0, v3 offset:1024
	ds_write_b8 v0, v4 offset:1280
	;; [unrolled: 1-line block ×3, first 2 shown]
	s_waitcnt lgkmcnt(0)
	s_barrier
.LBB150_20:
	s_load_dwordx2 s[24:25], s[4:5], 0x68
	s_andn2_b64 vcc, exec, s[2:3]
	s_cbranch_vccnz .LBB150_36
; %bb.21:
	v_cmp_gt_u32_e32 vcc, s7, v0
	v_mov_b32_e32 v3, 0
	v_mov_b32_e32 v4, 0
	s_and_saveexec_b64 s[2:3], vcc
	s_cbranch_execz .LBB150_23
; %bb.22:
	global_load_dword v4, v1, s[0:1]
	s_waitcnt vmcnt(0)
	v_cmp_eq_u32_e32 vcc, 1, v4
	v_cndmask_b32_e64 v4, 0, 1, vcc
.LBB150_23:
	s_or_b64 exec, exec, s[2:3]
	v_or_b32_e32 v5, 0x100, v0
	v_cmp_gt_u32_e32 vcc, s7, v5
	s_and_saveexec_b64 s[2:3], vcc
	s_cbranch_execz .LBB150_25
; %bb.24:
	global_load_dword v3, v1, s[0:1] offset:1024
	s_waitcnt vmcnt(0)
	v_cmp_eq_u32_e32 vcc, 1, v3
	v_cndmask_b32_e64 v3, 0, 1, vcc
.LBB150_25:
	s_or_b64 exec, exec, s[2:3]
	v_or_b32_e32 v5, 0x200, v0
	v_cmp_gt_u32_e32 vcc, s7, v5
	v_mov_b32_e32 v5, 0
	v_mov_b32_e32 v6, 0
	s_and_saveexec_b64 s[2:3], vcc
	s_cbranch_execz .LBB150_27
; %bb.26:
	global_load_dword v6, v1, s[0:1] offset:2048
	s_waitcnt vmcnt(0)
	v_cmp_eq_u32_e32 vcc, 1, v6
	v_cndmask_b32_e64 v6, 0, 1, vcc
.LBB150_27:
	s_or_b64 exec, exec, s[2:3]
	v_or_b32_e32 v7, 0x300, v0
	v_cmp_gt_u32_e32 vcc, s7, v7
	s_and_saveexec_b64 s[2:3], vcc
	s_cbranch_execz .LBB150_29
; %bb.28:
	global_load_dword v1, v1, s[0:1] offset:3072
	s_waitcnt vmcnt(0)
	v_cmp_eq_u32_e32 vcc, 1, v1
	v_cndmask_b32_e64 v5, 0, 1, vcc
.LBB150_29:
	s_or_b64 exec, exec, s[2:3]
	v_or_b32_e32 v8, 0x400, v0
	v_cmp_gt_u32_e32 vcc, s7, v8
	v_mov_b32_e32 v1, 0
	v_mov_b32_e32 v7, 0
	s_and_saveexec_b64 s[2:3], vcc
	s_cbranch_execz .LBB150_31
; %bb.30:
	v_lshlrev_b32_e32 v7, 2, v8
	global_load_dword v7, v7, s[0:1]
	s_waitcnt vmcnt(0)
	v_cmp_eq_u32_e32 vcc, 1, v7
	v_cndmask_b32_e64 v7, 0, 1, vcc
.LBB150_31:
	s_or_b64 exec, exec, s[2:3]
	v_or_b32_e32 v8, 0x500, v0
	v_cmp_gt_u32_e32 vcc, s7, v8
	s_and_saveexec_b64 s[2:3], vcc
	s_cbranch_execz .LBB150_33
; %bb.32:
	v_lshlrev_b32_e32 v1, 2, v8
	global_load_dword v1, v1, s[0:1]
	s_waitcnt vmcnt(0)
	v_cmp_eq_u32_e32 vcc, 1, v1
	v_cndmask_b32_e64 v1, 0, 1, vcc
.LBB150_33:
	s_or_b64 exec, exec, s[2:3]
	v_or_b32_e32 v9, 0x600, v0
	v_cmp_gt_u32_e32 vcc, s7, v9
	v_mov_b32_e32 v8, 0
	s_and_saveexec_b64 s[2:3], vcc
	s_cbranch_execz .LBB150_35
; %bb.34:
	v_lshlrev_b32_e32 v8, 2, v9
	global_load_dword v8, v8, s[0:1]
	s_waitcnt vmcnt(0)
	v_cmp_eq_u32_e32 vcc, 1, v8
	v_cndmask_b32_e64 v8, 0, 1, vcc
.LBB150_35:
	s_or_b64 exec, exec, s[2:3]
	ds_write_b8 v0, v4
	ds_write_b8 v0, v3 offset:256
	ds_write_b8 v0, v6 offset:512
	;; [unrolled: 1-line block ×6, first 2 shown]
	s_waitcnt lgkmcnt(0)
	s_barrier
.LBB150_36:
	s_movk_i32 s0, 0xffeb
	v_mad_i32_i24 v23, v0, s0, v2
	s_waitcnt lgkmcnt(0)
	ds_read_u8 v1, v23
	ds_read_u8 v2, v23 offset:1
	ds_read_u8 v3, v23 offset:2
	;; [unrolled: 1-line block ×6, first 2 shown]
	s_waitcnt lgkmcnt(6)
	v_and_b32_e32 v26, 1, v1
	s_waitcnt lgkmcnt(5)
	v_and_b32_e32 v24, 1, v2
	;; [unrolled: 2-line block ×3, first 2 shown]
	v_add_co_u32_e32 v2, vcc, v24, v26
	v_addc_co_u32_e64 v3, s[0:1], 0, 0, vcc
	v_add_co_u32_e32 v2, vcc, v2, v22
	s_waitcnt lgkmcnt(3)
	v_and_b32_e32 v20, 1, v4
	v_addc_co_u32_e32 v3, vcc, 0, v3, vcc
	v_add_co_u32_e32 v2, vcc, v2, v20
	s_waitcnt lgkmcnt(2)
	v_and_b32_e32 v18, 1, v5
	v_addc_co_u32_e32 v3, vcc, 0, v3, vcc
	v_add_co_u32_e32 v2, vcc, v2, v18
	s_waitcnt lgkmcnt(1)
	v_and_b32_e32 v16, 1, v6
	v_addc_co_u32_e32 v3, vcc, 0, v3, vcc
	v_add_co_u32_e32 v2, vcc, v2, v16
	s_waitcnt lgkmcnt(0)
	v_and_b32_e32 v19, 1, v7
	v_addc_co_u32_e32 v3, vcc, 0, v3, vcc
	v_add_co_u32_e32 v28, vcc, v2, v19
	v_mbcnt_lo_u32_b32 v2, -1, 0
	v_mbcnt_hi_u32_b32 v21, -1, v2
	v_addc_co_u32_e32 v29, vcc, 0, v3, vcc
	v_and_b32_e32 v27, 15, v21
	s_cmp_lg_u32 s6, 0
	v_mov_b32_e32 v1, 0
	v_cmp_eq_u32_e64 s[2:3], 0, v27
	v_cmp_lt_u32_e64 s[0:1], 1, v27
	v_cmp_lt_u32_e64 s[10:11], 3, v27
	;; [unrolled: 1-line block ×3, first 2 shown]
	v_and_b32_e32 v25, 16, v21
	v_cmp_eq_u32_e64 s[12:13], 0, v21
	v_cmp_ne_u32_e32 vcc, 0, v21
	s_barrier
	s_cbranch_scc0 .LBB150_65
; %bb.37:
	v_mov_b32_dpp v2, v28 row_shr:1 row_mask:0xf bank_mask:0xf
	v_add_co_u32_e64 v2, s[14:15], v28, v2
	v_addc_co_u32_e64 v3, s[14:15], 0, v29, s[14:15]
	v_mov_b32_dpp v1, v1 row_shr:1 row_mask:0xf bank_mask:0xf
	v_add_co_u32_e64 v4, s[14:15], 0, v2
	v_addc_co_u32_e64 v1, s[14:15], v1, v3, s[14:15]
	v_cndmask_b32_e64 v2, v2, v28, s[2:3]
	v_cndmask_b32_e64 v3, v1, 0, s[2:3]
	v_cndmask_b32_e64 v4, v4, v28, s[2:3]
	v_mov_b32_dpp v5, v2 row_shr:2 row_mask:0xf bank_mask:0xf
	v_cndmask_b32_e64 v1, v1, v29, s[2:3]
	v_mov_b32_dpp v6, v3 row_shr:2 row_mask:0xf bank_mask:0xf
	v_add_co_u32_e64 v5, s[14:15], v5, v4
	v_addc_co_u32_e64 v6, s[14:15], v6, v1, s[14:15]
	v_cndmask_b32_e64 v2, v2, v5, s[0:1]
	v_cndmask_b32_e64 v3, v3, v6, s[0:1]
	v_cndmask_b32_e64 v4, v4, v5, s[0:1]
	v_mov_b32_dpp v5, v2 row_shr:4 row_mask:0xf bank_mask:0xf
	v_cndmask_b32_e64 v1, v1, v6, s[0:1]
	;; [unrolled: 8-line block ×3, first 2 shown]
	v_mov_b32_dpp v6, v3 row_shr:8 row_mask:0xf bank_mask:0xf
	v_add_co_u32_e64 v5, s[10:11], v5, v4
	v_addc_co_u32_e64 v6, s[10:11], v6, v1, s[10:11]
	v_cndmask_b32_e64 v2, v2, v5, s[8:9]
	v_cndmask_b32_e64 v3, v3, v6, s[8:9]
	;; [unrolled: 1-line block ×3, first 2 shown]
	v_mov_b32_dpp v5, v2 row_bcast:15 row_mask:0xf bank_mask:0xf
	v_cndmask_b32_e64 v1, v1, v6, s[8:9]
	v_mov_b32_dpp v6, v3 row_bcast:15 row_mask:0xf bank_mask:0xf
	v_add_co_u32_e64 v5, s[8:9], v5, v4
	v_addc_co_u32_e64 v7, s[8:9], v6, v1, s[8:9]
	v_cmp_eq_u32_e64 s[8:9], 0, v25
	v_cndmask_b32_e64 v3, v7, v3, s[8:9]
	v_cndmask_b32_e64 v2, v5, v2, s[8:9]
	s_nop 0
	v_mov_b32_dpp v8, v3 row_bcast:31 row_mask:0xf bank_mask:0xf
	v_mov_b32_dpp v6, v2 row_bcast:31 row_mask:0xf bank_mask:0xf
	v_pk_mov_b32 v[2:3], v[28:29], v[28:29] op_sel:[0,1]
	s_and_saveexec_b64 s[10:11], vcc
; %bb.38:
	v_cmp_lt_u32_e32 vcc, 31, v21
	v_cndmask_b32_e64 v2, v5, v4, s[8:9]
	v_cndmask_b32_e32 v4, 0, v6, vcc
	v_cndmask_b32_e64 v1, v7, v1, s[8:9]
	v_cndmask_b32_e32 v3, 0, v8, vcc
	v_add_co_u32_e32 v2, vcc, v4, v2
	v_addc_co_u32_e32 v3, vcc, v3, v1, vcc
; %bb.39:
	s_or_b64 exec, exec, s[10:11]
	v_or_b32_e32 v4, 63, v0
	v_lshrrev_b32_e32 v1, 6, v0
	v_cmp_eq_u32_e32 vcc, v4, v0
	s_and_saveexec_b64 s[8:9], vcc
	s_cbranch_execz .LBB150_41
; %bb.40:
	v_lshlrev_b32_e32 v4, 3, v1
	ds_write_b64 v4, v[2:3]
.LBB150_41:
	s_or_b64 exec, exec, s[8:9]
	v_cmp_gt_u32_e32 vcc, 4, v0
	s_waitcnt lgkmcnt(0)
	s_barrier
	s_and_saveexec_b64 s[10:11], vcc
	s_cbranch_execz .LBB150_43
; %bb.42:
	v_lshlrev_b32_e32 v6, 3, v0
	ds_read_b64 v[4:5], v6
	v_and_b32_e32 v7, 3, v21
	v_cmp_ne_u32_e64 s[8:9], 1, v7
	s_waitcnt lgkmcnt(0)
	v_mov_b32_dpp v8, v4 row_shr:1 row_mask:0xf bank_mask:0xf
	v_add_co_u32_e32 v8, vcc, v4, v8
	v_addc_co_u32_e32 v30, vcc, 0, v5, vcc
	v_mov_b32_dpp v9, v5 row_shr:1 row_mask:0xf bank_mask:0xf
	v_add_co_u32_e32 v31, vcc, 0, v8
	v_addc_co_u32_e32 v9, vcc, v9, v30, vcc
	v_cmp_eq_u32_e32 vcc, 0, v7
	v_cndmask_b32_e32 v8, v8, v4, vcc
	v_cndmask_b32_e32 v30, v9, v5, vcc
	s_nop 0
	v_mov_b32_dpp v8, v8 row_shr:2 row_mask:0xf bank_mask:0xf
	v_mov_b32_dpp v30, v30 row_shr:2 row_mask:0xf bank_mask:0xf
	v_cndmask_b32_e64 v7, 0, v8, s[8:9]
	v_cndmask_b32_e64 v8, 0, v30, s[8:9]
	v_add_co_u32_e64 v7, s[8:9], v7, v31
	v_addc_co_u32_e64 v8, s[8:9], v8, v9, s[8:9]
	v_cndmask_b32_e32 v5, v8, v5, vcc
	v_cndmask_b32_e32 v4, v7, v4, vcc
	ds_write_b64 v6, v[4:5]
.LBB150_43:
	s_or_b64 exec, exec, s[10:11]
	v_cmp_gt_u32_e32 vcc, 64, v0
	v_cmp_lt_u32_e64 s[8:9], 63, v0
	s_waitcnt lgkmcnt(0)
	s_barrier
	s_waitcnt lgkmcnt(0)
                                        ; implicit-def: $vgpr30_vgpr31
	s_and_saveexec_b64 s[10:11], s[8:9]
	s_cbranch_execz .LBB150_45
; %bb.44:
	v_lshl_add_u32 v1, v1, 3, -8
	ds_read_b64 v[30:31], v1
	s_waitcnt lgkmcnt(0)
	v_add_co_u32_e64 v2, s[8:9], v30, v2
	v_addc_co_u32_e64 v3, s[8:9], v31, v3, s[8:9]
.LBB150_45:
	s_or_b64 exec, exec, s[10:11]
	v_add_u32_e32 v1, -1, v21
	v_and_b32_e32 v4, 64, v21
	v_cmp_lt_i32_e64 s[8:9], v1, v4
	v_cndmask_b32_e64 v1, v1, v21, s[8:9]
	v_lshlrev_b32_e32 v4, 2, v1
	ds_bpermute_b32 v1, v4, v2
	ds_bpermute_b32 v38, v4, v3
	s_and_saveexec_b64 s[14:15], vcc
	s_cbranch_execz .LBB150_64
; %bb.46:
	v_mov_b32_e32 v5, 0
	ds_read_b64 v[2:3], v5 offset:24
	s_and_saveexec_b64 s[8:9], s[12:13]
	s_cbranch_execz .LBB150_48
; %bb.47:
	s_add_i32 s10, s6, 64
	s_mov_b32 s11, 0
	s_lshl_b64 s[10:11], s[10:11], 4
	s_add_u32 s10, s24, s10
	s_addc_u32 s11, s25, s11
	v_mov_b32_e32 v4, 1
	v_pk_mov_b32 v[6:7], s[10:11], s[10:11] op_sel:[0,1]
	s_waitcnt lgkmcnt(0)
	;;#ASMSTART
	global_store_dwordx4 v[6:7], v[2:5] off	
s_waitcnt vmcnt(0)
	;;#ASMEND
.LBB150_48:
	s_or_b64 exec, exec, s[8:9]
	v_xad_u32 v32, v21, -1, s6
	v_add_u32_e32 v4, 64, v32
	v_lshlrev_b64 v[6:7], 4, v[4:5]
	v_mov_b32_e32 v4, s25
	v_add_co_u32_e32 v34, vcc, s24, v6
	v_addc_co_u32_e32 v35, vcc, v4, v7, vcc
	;;#ASMSTART
	global_load_dwordx4 v[6:9], v[34:35] off glc	
s_waitcnt vmcnt(0)
	;;#ASMEND
	v_and_b32_e32 v4, 0xff, v7
	v_and_b32_e32 v9, 0xff00, v7
	v_or3_b32 v4, 0, v4, v9
	v_or3_b32 v6, v6, 0, 0
	v_and_b32_e32 v9, 0xff000000, v7
	v_and_b32_e32 v7, 0xff0000, v7
	v_or3_b32 v7, v4, v7, v9
	v_or3_b32 v6, v6, 0, 0
	v_cmp_eq_u16_sdwa s[10:11], v8, v5 src0_sel:BYTE_0 src1_sel:DWORD
	s_and_saveexec_b64 s[8:9], s[10:11]
	s_cbranch_execz .LBB150_52
; %bb.49:
	s_mov_b64 s[10:11], 0
	v_mov_b32_e32 v4, 0
.LBB150_50:                             ; =>This Inner Loop Header: Depth=1
	;;#ASMSTART
	global_load_dwordx4 v[6:9], v[34:35] off glc	
s_waitcnt vmcnt(0)
	;;#ASMEND
	v_cmp_ne_u16_sdwa s[26:27], v8, v4 src0_sel:BYTE_0 src1_sel:DWORD
	s_or_b64 s[10:11], s[26:27], s[10:11]
	s_andn2_b64 exec, exec, s[10:11]
	s_cbranch_execnz .LBB150_50
; %bb.51:
	s_or_b64 exec, exec, s[10:11]
.LBB150_52:
	s_or_b64 exec, exec, s[8:9]
	v_and_b32_e32 v40, 63, v21
	v_mov_b32_e32 v39, 2
	v_cmp_ne_u32_e32 vcc, 63, v40
	v_cmp_eq_u16_sdwa s[8:9], v8, v39 src0_sel:BYTE_0 src1_sel:DWORD
	v_lshlrev_b64 v[34:35], v21, -1
	v_addc_co_u32_e32 v9, vcc, 0, v21, vcc
	v_and_b32_e32 v4, s9, v35
	v_lshlrev_b32_e32 v41, 2, v9
	v_or_b32_e32 v4, 0x80000000, v4
	ds_bpermute_b32 v9, v41, v6
	v_and_b32_e32 v5, s8, v34
	v_ffbl_b32_e32 v4, v4
	v_add_u32_e32 v4, 32, v4
	v_ffbl_b32_e32 v5, v5
	v_min_u32_e32 v4, v5, v4
	ds_bpermute_b32 v5, v41, v7
	s_waitcnt lgkmcnt(1)
	v_add_co_u32_e32 v9, vcc, v6, v9
	v_addc_co_u32_e32 v36, vcc, 0, v7, vcc
	v_add_co_u32_e32 v37, vcc, 0, v9
	v_cmp_gt_u32_e64 s[8:9], 62, v40
	s_waitcnt lgkmcnt(0)
	v_addc_co_u32_e32 v5, vcc, v5, v36, vcc
	v_cndmask_b32_e64 v36, 0, 1, s[8:9]
	v_cmp_lt_u32_e32 vcc, v40, v4
	v_lshlrev_b32_e32 v36, 1, v36
	v_cndmask_b32_e32 v9, v6, v9, vcc
	v_add_lshl_u32 v42, v36, v21, 2
	v_cndmask_b32_e32 v5, v7, v5, vcc
	ds_bpermute_b32 v36, v42, v9
	ds_bpermute_b32 v44, v42, v5
	v_cndmask_b32_e32 v37, v6, v37, vcc
	v_add_u32_e32 v43, 2, v40
	v_cmp_gt_u32_e64 s[10:11], 60, v40
	s_waitcnt lgkmcnt(1)
	v_add_co_u32_e64 v36, s[8:9], v36, v37
	s_waitcnt lgkmcnt(0)
	v_addc_co_u32_e64 v44, s[8:9], v44, v5, s[8:9]
	v_cmp_gt_u32_e64 s[8:9], v43, v4
	v_cndmask_b32_e64 v5, v44, v5, s[8:9]
	v_cndmask_b32_e64 v44, 0, 1, s[10:11]
	v_lshlrev_b32_e32 v44, 2, v44
	v_cndmask_b32_e64 v9, v36, v9, s[8:9]
	v_add_lshl_u32 v44, v44, v21, 2
	ds_bpermute_b32 v46, v44, v9
	v_cndmask_b32_e64 v36, v36, v37, s[8:9]
	ds_bpermute_b32 v37, v44, v5
	v_add_u32_e32 v45, 4, v40
	v_cmp_gt_u32_e64 s[10:11], 56, v40
	s_waitcnt lgkmcnt(1)
	v_add_co_u32_e64 v47, s[8:9], v46, v36
	s_waitcnt lgkmcnt(0)
	v_addc_co_u32_e64 v37, s[8:9], v37, v5, s[8:9]
	v_cmp_gt_u32_e64 s[8:9], v45, v4
	v_cndmask_b32_e64 v5, v37, v5, s[8:9]
	v_cndmask_b32_e64 v37, 0, 1, s[10:11]
	v_lshlrev_b32_e32 v37, 3, v37
	v_cndmask_b32_e64 v9, v47, v9, s[8:9]
	v_add_lshl_u32 v46, v37, v21, 2
	ds_bpermute_b32 v37, v46, v9
	ds_bpermute_b32 v48, v46, v5
	v_cndmask_b32_e64 v36, v47, v36, s[8:9]
	v_add_u32_e32 v47, 8, v40
	v_cmp_gt_u32_e64 s[10:11], 48, v40
	s_waitcnt lgkmcnt(1)
	v_add_co_u32_e64 v37, s[8:9], v37, v36
	s_waitcnt lgkmcnt(0)
	v_addc_co_u32_e64 v48, s[8:9], v48, v5, s[8:9]
	v_cmp_gt_u32_e64 s[8:9], v47, v4
	v_cndmask_b32_e64 v5, v48, v5, s[8:9]
	v_cndmask_b32_e64 v48, 0, 1, s[10:11]
	v_lshlrev_b32_e32 v48, 4, v48
	v_cndmask_b32_e64 v9, v37, v9, s[8:9]
	v_add_lshl_u32 v48, v48, v21, 2
	ds_bpermute_b32 v50, v48, v9
	v_cndmask_b32_e64 v36, v37, v36, s[8:9]
	ds_bpermute_b32 v37, v48, v5
	v_cmp_gt_u32_e64 s[10:11], 32, v40
	v_add_u32_e32 v49, 16, v40
	s_waitcnt lgkmcnt(1)
	v_add_co_u32_e64 v52, s[8:9], v50, v36
	s_waitcnt lgkmcnt(0)
	v_addc_co_u32_e64 v37, s[8:9], v37, v5, s[8:9]
	v_cndmask_b32_e64 v50, 0, 1, s[10:11]
	v_cmp_gt_u32_e64 s[8:9], v49, v4
	v_lshlrev_b32_e32 v50, 5, v50
	v_cndmask_b32_e64 v9, v52, v9, s[8:9]
	v_add_lshl_u32 v50, v50, v21, 2
	v_cndmask_b32_e64 v5, v37, v5, s[8:9]
	ds_bpermute_b32 v9, v50, v9
	ds_bpermute_b32 v37, v50, v5
	v_add_u32_e32 v51, 32, v40
	v_cndmask_b32_e64 v36, v52, v36, s[8:9]
	v_cmp_le_u32_e64 s[8:9], v51, v4
	s_waitcnt lgkmcnt(1)
	v_cndmask_b32_e64 v9, 0, v9, s[8:9]
	s_waitcnt lgkmcnt(0)
	v_cndmask_b32_e64 v4, 0, v37, s[8:9]
	v_add_co_u32_e64 v9, s[8:9], v9, v36
	v_addc_co_u32_e64 v4, s[8:9], v4, v5, s[8:9]
	v_mov_b32_e32 v33, 0
	v_cndmask_b32_e32 v7, v7, v4, vcc
	v_cndmask_b32_e32 v6, v6, v9, vcc
	s_branch .LBB150_54
.LBB150_53:                             ;   in Loop: Header=BB150_54 Depth=1
	s_or_b64 exec, exec, s[8:9]
	v_cmp_eq_u16_sdwa s[8:9], v8, v39 src0_sel:BYTE_0 src1_sel:DWORD
	v_and_b32_e32 v9, s9, v35
	v_or_b32_e32 v9, 0x80000000, v9
	ds_bpermute_b32 v37, v41, v6
	v_and_b32_e32 v36, s8, v34
	v_ffbl_b32_e32 v9, v9
	v_add_u32_e32 v9, 32, v9
	v_ffbl_b32_e32 v36, v36
	v_min_u32_e32 v9, v36, v9
	ds_bpermute_b32 v36, v41, v7
	s_waitcnt lgkmcnt(1)
	v_add_co_u32_e32 v37, vcc, v6, v37
	v_addc_co_u32_e32 v52, vcc, 0, v7, vcc
	v_add_co_u32_e32 v53, vcc, 0, v37
	s_waitcnt lgkmcnt(0)
	v_addc_co_u32_e32 v36, vcc, v36, v52, vcc
	v_cmp_lt_u32_e32 vcc, v40, v9
	v_cndmask_b32_e32 v37, v6, v37, vcc
	ds_bpermute_b32 v52, v42, v37
	v_cndmask_b32_e32 v36, v7, v36, vcc
	ds_bpermute_b32 v54, v42, v36
	v_cndmask_b32_e32 v53, v6, v53, vcc
	v_subrev_u32_e32 v32, 64, v32
	s_waitcnt lgkmcnt(1)
	v_add_co_u32_e64 v52, s[8:9], v52, v53
	s_waitcnt lgkmcnt(0)
	v_addc_co_u32_e64 v54, s[8:9], v54, v36, s[8:9]
	v_cmp_gt_u32_e64 s[8:9], v43, v9
	v_cndmask_b32_e64 v37, v52, v37, s[8:9]
	ds_bpermute_b32 v55, v44, v37
	v_cndmask_b32_e64 v36, v54, v36, s[8:9]
	ds_bpermute_b32 v54, v44, v36
	v_cndmask_b32_e64 v52, v52, v53, s[8:9]
	s_waitcnt lgkmcnt(1)
	v_add_co_u32_e64 v53, s[8:9], v55, v52
	s_waitcnt lgkmcnt(0)
	v_addc_co_u32_e64 v54, s[8:9], v54, v36, s[8:9]
	v_cmp_gt_u32_e64 s[8:9], v45, v9
	v_cndmask_b32_e64 v37, v53, v37, s[8:9]
	ds_bpermute_b32 v55, v46, v37
	v_cndmask_b32_e64 v36, v54, v36, s[8:9]
	ds_bpermute_b32 v54, v46, v36
	v_cndmask_b32_e64 v52, v53, v52, s[8:9]
	;; [unrolled: 10-line block ×3, first 2 shown]
	s_waitcnt lgkmcnt(1)
	v_add_co_u32_e64 v53, s[8:9], v55, v52
	s_waitcnt lgkmcnt(0)
	v_addc_co_u32_e64 v54, s[8:9], v54, v36, s[8:9]
	v_cmp_gt_u32_e64 s[8:9], v49, v9
	v_cndmask_b32_e64 v37, v53, v37, s[8:9]
	v_cndmask_b32_e64 v36, v54, v36, s[8:9]
	ds_bpermute_b32 v37, v50, v37
	ds_bpermute_b32 v54, v50, v36
	v_cndmask_b32_e64 v52, v53, v52, s[8:9]
	v_cmp_le_u32_e64 s[8:9], v51, v9
	s_waitcnt lgkmcnt(1)
	v_cndmask_b32_e64 v37, 0, v37, s[8:9]
	s_waitcnt lgkmcnt(0)
	v_cndmask_b32_e64 v9, 0, v54, s[8:9]
	v_add_co_u32_e64 v37, s[8:9], v37, v52
	v_addc_co_u32_e64 v9, s[8:9], v9, v36, s[8:9]
	v_cndmask_b32_e32 v6, v6, v37, vcc
	v_cndmask_b32_e32 v7, v7, v9, vcc
	v_add_co_u32_e32 v6, vcc, v6, v4
	v_addc_co_u32_e32 v7, vcc, v7, v5, vcc
.LBB150_54:                             ; =>This Loop Header: Depth=1
                                        ;     Child Loop BB150_57 Depth 2
	v_cmp_ne_u16_sdwa s[8:9], v8, v39 src0_sel:BYTE_0 src1_sel:DWORD
	v_cndmask_b32_e64 v4, 0, 1, s[8:9]
	;;#ASMSTART
	;;#ASMEND
	v_cmp_ne_u32_e32 vcc, 0, v4
	s_cmp_lg_u64 vcc, exec
	v_pk_mov_b32 v[4:5], v[6:7], v[6:7] op_sel:[0,1]
	s_cbranch_scc1 .LBB150_59
; %bb.55:                               ;   in Loop: Header=BB150_54 Depth=1
	v_lshlrev_b64 v[6:7], 4, v[32:33]
	v_mov_b32_e32 v8, s25
	v_add_co_u32_e32 v36, vcc, s24, v6
	v_addc_co_u32_e32 v37, vcc, v8, v7, vcc
	;;#ASMSTART
	global_load_dwordx4 v[6:9], v[36:37] off glc	
s_waitcnt vmcnt(0)
	;;#ASMEND
	v_and_b32_e32 v9, 0xff, v7
	v_and_b32_e32 v52, 0xff00, v7
	v_or3_b32 v9, 0, v9, v52
	v_or3_b32 v6, v6, 0, 0
	v_and_b32_e32 v52, 0xff000000, v7
	v_and_b32_e32 v7, 0xff0000, v7
	v_or3_b32 v7, v9, v7, v52
	v_or3_b32 v6, v6, 0, 0
	v_cmp_eq_u16_sdwa s[10:11], v8, v33 src0_sel:BYTE_0 src1_sel:DWORD
	s_and_saveexec_b64 s[8:9], s[10:11]
	s_cbranch_execz .LBB150_53
; %bb.56:                               ;   in Loop: Header=BB150_54 Depth=1
	s_mov_b64 s[10:11], 0
.LBB150_57:                             ;   Parent Loop BB150_54 Depth=1
                                        ; =>  This Inner Loop Header: Depth=2
	;;#ASMSTART
	global_load_dwordx4 v[6:9], v[36:37] off glc	
s_waitcnt vmcnt(0)
	;;#ASMEND
	v_cmp_ne_u16_sdwa s[26:27], v8, v33 src0_sel:BYTE_0 src1_sel:DWORD
	s_or_b64 s[10:11], s[26:27], s[10:11]
	s_andn2_b64 exec, exec, s[10:11]
	s_cbranch_execnz .LBB150_57
; %bb.58:                               ;   in Loop: Header=BB150_54 Depth=1
	s_or_b64 exec, exec, s[10:11]
	s_branch .LBB150_53
.LBB150_59:                             ;   in Loop: Header=BB150_54 Depth=1
                                        ; implicit-def: $vgpr6_vgpr7
                                        ; implicit-def: $vgpr8
	s_cbranch_execz .LBB150_54
; %bb.60:
	s_and_saveexec_b64 s[8:9], s[12:13]
	s_cbranch_execz .LBB150_62
; %bb.61:
	s_add_i32 s6, s6, 64
	s_mov_b32 s7, 0
	s_lshl_b64 s[6:7], s[6:7], 4
	s_add_u32 s6, s24, s6
	v_add_co_u32_e32 v6, vcc, v4, v2
	s_addc_u32 s7, s25, s7
	v_addc_co_u32_e32 v7, vcc, v5, v3, vcc
	v_mov_b32_e32 v8, 2
	v_mov_b32_e32 v9, 0
	v_pk_mov_b32 v[32:33], s[6:7], s[6:7] op_sel:[0,1]
	;;#ASMSTART
	global_store_dwordx4 v[32:33], v[6:9] off	
s_waitcnt vmcnt(0)
	;;#ASMEND
	ds_write_b128 v9, v[2:5] offset:7168
.LBB150_62:
	s_or_b64 exec, exec, s[8:9]
	v_cmp_eq_u32_e32 vcc, 0, v0
	s_and_b64 exec, exec, vcc
	s_cbranch_execz .LBB150_64
; %bb.63:
	v_mov_b32_e32 v2, 0
	ds_write_b64 v2, v[4:5] offset:24
.LBB150_64:
	s_or_b64 exec, exec, s[14:15]
	v_mov_b32_e32 v5, 0
	s_waitcnt lgkmcnt(0)
	s_barrier
	ds_read_b64 v[2:3], v5 offset:24
	v_cndmask_b32_e64 v1, v1, v30, s[12:13]
	v_cmp_ne_u32_e32 vcc, 0, v0
	v_cndmask_b32_e64 v4, v38, v31, s[12:13]
	v_cndmask_b32_e32 v1, 0, v1, vcc
	v_cndmask_b32_e32 v4, 0, v4, vcc
	s_waitcnt lgkmcnt(0)
	v_add_co_u32_e32 v38, vcc, v2, v1
	v_addc_co_u32_e32 v39, vcc, v3, v4, vcc
	v_add_co_u32_e32 v36, vcc, v38, v26
	v_addc_co_u32_e32 v37, vcc, 0, v39, vcc
	;; [unrolled: 2-line block ×4, first 2 shown]
	v_add_co_u32_e32 v30, vcc, v32, v20
	s_barrier
	ds_read_b128 v[4:7], v5 offset:7168
	v_addc_co_u32_e32 v31, vcc, 0, v33, vcc
	v_add_co_u32_e32 v2, vcc, v30, v18
	v_addc_co_u32_e32 v3, vcc, 0, v31, vcc
	v_add_co_u32_e32 v8, vcc, v2, v16
	v_addc_co_u32_e32 v9, vcc, 0, v3, vcc
	s_waitcnt lgkmcnt(0)
	v_readfirstlane_b32 s9, v7
	v_readfirstlane_b32 s8, v6
	s_load_dwordx2 s[6:7], s[4:5], 0x30
	s_branch .LBB150_77
.LBB150_65:
                                        ; implicit-def: $sgpr8_sgpr9
                                        ; implicit-def: $vgpr4_vgpr5
                                        ; implicit-def: $vgpr8_vgpr9
                                        ; implicit-def: $vgpr2_vgpr3
                                        ; implicit-def: $vgpr30_vgpr31
                                        ; implicit-def: $vgpr32_vgpr33
                                        ; implicit-def: $vgpr34_vgpr35
                                        ; implicit-def: $vgpr36_vgpr37
                                        ; implicit-def: $vgpr38_vgpr39
	s_load_dwordx2 s[6:7], s[4:5], 0x30
	s_cbranch_execz .LBB150_77
; %bb.66:
	v_mov_b32_dpp v1, v28 row_shr:1 row_mask:0xf bank_mask:0xf
	v_add_co_u32_e32 v1, vcc, v28, v1
	v_mov_b32_e32 v2, 0
	v_addc_co_u32_e32 v3, vcc, 0, v29, vcc
	s_nop 0
	v_mov_b32_dpp v2, v2 row_shr:1 row_mask:0xf bank_mask:0xf
	v_add_co_u32_e32 v4, vcc, 0, v1
	v_addc_co_u32_e32 v2, vcc, v2, v3, vcc
	v_cndmask_b32_e64 v1, v1, v28, s[2:3]
	v_cndmask_b32_e64 v3, v2, 0, s[2:3]
	;; [unrolled: 1-line block ×3, first 2 shown]
	v_mov_b32_dpp v5, v1 row_shr:2 row_mask:0xf bank_mask:0xf
	v_cndmask_b32_e64 v2, v2, v29, s[2:3]
	v_mov_b32_dpp v6, v3 row_shr:2 row_mask:0xf bank_mask:0xf
	v_add_co_u32_e32 v5, vcc, v5, v4
	v_addc_co_u32_e32 v6, vcc, v6, v2, vcc
	v_cndmask_b32_e64 v1, v1, v5, s[0:1]
	v_cndmask_b32_e64 v3, v3, v6, s[0:1]
	;; [unrolled: 1-line block ×3, first 2 shown]
	v_mov_b32_dpp v5, v1 row_shr:4 row_mask:0xf bank_mask:0xf
	v_cndmask_b32_e64 v2, v2, v6, s[0:1]
	v_mov_b32_dpp v6, v3 row_shr:4 row_mask:0xf bank_mask:0xf
	v_add_co_u32_e32 v5, vcc, v5, v4
	v_addc_co_u32_e32 v6, vcc, v6, v2, vcc
	v_cmp_lt_u32_e32 vcc, 3, v27
	v_cndmask_b32_e32 v1, v1, v5, vcc
	v_cndmask_b32_e32 v3, v3, v6, vcc
	;; [unrolled: 1-line block ×3, first 2 shown]
	v_mov_b32_dpp v5, v1 row_shr:8 row_mask:0xf bank_mask:0xf
	v_cndmask_b32_e32 v2, v2, v6, vcc
	v_mov_b32_dpp v6, v3 row_shr:8 row_mask:0xf bank_mask:0xf
	v_add_co_u32_e32 v5, vcc, v5, v4
	v_addc_co_u32_e32 v6, vcc, v6, v2, vcc
	v_cmp_lt_u32_e32 vcc, 7, v27
	v_cndmask_b32_e32 v8, v1, v5, vcc
	v_cndmask_b32_e32 v7, v3, v6, vcc
	;; [unrolled: 1-line block ×4, first 2 shown]
	v_mov_b32_dpp v3, v8 row_bcast:15 row_mask:0xf bank_mask:0xf
	v_mov_b32_dpp v4, v7 row_bcast:15 row_mask:0xf bank_mask:0xf
	v_add_co_u32_e32 v3, vcc, v3, v2
	v_addc_co_u32_e32 v5, vcc, v4, v1, vcc
	v_cmp_eq_u32_e64 s[0:1], 0, v25
	v_cndmask_b32_e64 v6, v5, v7, s[0:1]
	v_cndmask_b32_e64 v4, v3, v8, s[0:1]
	v_cmp_eq_u32_e32 vcc, 0, v21
	v_mov_b32_dpp v6, v6 row_bcast:31 row_mask:0xf bank_mask:0xf
	v_mov_b32_dpp v4, v4 row_bcast:31 row_mask:0xf bank_mask:0xf
	v_cmp_ne_u32_e64 s[2:3], 0, v21
	s_and_saveexec_b64 s[4:5], s[2:3]
; %bb.67:
	v_cndmask_b32_e64 v1, v5, v1, s[0:1]
	v_cndmask_b32_e64 v2, v3, v2, s[0:1]
	v_cmp_lt_u32_e64 s[0:1], 31, v21
	v_cndmask_b32_e64 v4, 0, v4, s[0:1]
	v_cndmask_b32_e64 v3, 0, v6, s[0:1]
	v_add_co_u32_e64 v28, s[0:1], v4, v2
	v_addc_co_u32_e64 v29, s[0:1], v3, v1, s[0:1]
; %bb.68:
	s_or_b64 exec, exec, s[4:5]
	v_or_b32_e32 v2, 63, v0
	v_lshrrev_b32_e32 v1, 6, v0
	v_cmp_eq_u32_e64 s[0:1], v2, v0
	s_and_saveexec_b64 s[2:3], s[0:1]
	s_cbranch_execz .LBB150_70
; %bb.69:
	v_lshlrev_b32_e32 v2, 3, v1
	ds_write_b64 v2, v[28:29]
.LBB150_70:
	s_or_b64 exec, exec, s[2:3]
	v_cmp_gt_u32_e64 s[0:1], 4, v0
	s_waitcnt lgkmcnt(0)
	s_barrier
	s_and_saveexec_b64 s[4:5], s[0:1]
	s_cbranch_execz .LBB150_72
; %bb.71:
	v_add_u32_e32 v4, v23, v0
	ds_read_b64 v[2:3], v4
	v_and_b32_e32 v5, 3, v21
	v_cmp_ne_u32_e64 s[2:3], 1, v5
	s_waitcnt lgkmcnt(0)
	v_mov_b32_dpp v6, v2 row_shr:1 row_mask:0xf bank_mask:0xf
	v_add_co_u32_e64 v6, s[0:1], v2, v6
	v_addc_co_u32_e64 v8, s[0:1], 0, v3, s[0:1]
	v_mov_b32_dpp v7, v3 row_shr:1 row_mask:0xf bank_mask:0xf
	v_add_co_u32_e64 v9, s[0:1], 0, v6
	v_addc_co_u32_e64 v7, s[0:1], v7, v8, s[0:1]
	v_cmp_eq_u32_e64 s[0:1], 0, v5
	v_cndmask_b32_e64 v6, v6, v2, s[0:1]
	v_cndmask_b32_e64 v8, v7, v3, s[0:1]
	s_nop 0
	v_mov_b32_dpp v6, v6 row_shr:2 row_mask:0xf bank_mask:0xf
	v_mov_b32_dpp v8, v8 row_shr:2 row_mask:0xf bank_mask:0xf
	v_cndmask_b32_e64 v5, 0, v6, s[2:3]
	v_cndmask_b32_e64 v6, 0, v8, s[2:3]
	v_add_co_u32_e64 v5, s[2:3], v5, v9
	v_addc_co_u32_e64 v6, s[2:3], v6, v7, s[2:3]
	v_cndmask_b32_e64 v3, v6, v3, s[0:1]
	v_cndmask_b32_e64 v2, v5, v2, s[0:1]
	ds_write_b64 v4, v[2:3]
.LBB150_72:
	s_or_b64 exec, exec, s[4:5]
	v_cmp_lt_u32_e64 s[0:1], 63, v0
	v_pk_mov_b32 v[2:3], 0, 0
	s_waitcnt lgkmcnt(0)
	s_barrier
	s_and_saveexec_b64 s[2:3], s[0:1]
	s_cbranch_execz .LBB150_74
; %bb.73:
	v_lshl_add_u32 v1, v1, 3, -8
	ds_read_b64 v[2:3], v1
.LBB150_74:
	s_or_b64 exec, exec, s[2:3]
	s_waitcnt lgkmcnt(0)
	v_add_co_u32_e64 v1, s[0:1], v2, v28
	v_addc_co_u32_e64 v4, s[0:1], v3, v29, s[0:1]
	v_add_u32_e32 v5, -1, v21
	v_and_b32_e32 v6, 64, v21
	v_cmp_lt_i32_e64 s[0:1], v5, v6
	v_cndmask_b32_e64 v5, v5, v21, s[0:1]
	v_lshlrev_b32_e32 v5, 2, v5
	v_mov_b32_e32 v7, 0
	ds_bpermute_b32 v1, v5, v1
	ds_bpermute_b32 v8, v5, v4
	ds_read_b64 v[4:5], v7 offset:24
	v_cmp_eq_u32_e64 s[0:1], 0, v0
	s_and_saveexec_b64 s[2:3], s[0:1]
	s_cbranch_execz .LBB150_76
; %bb.75:
	s_add_u32 s4, s24, 0x400
	s_addc_u32 s5, s25, 0
	v_mov_b32_e32 v6, 2
	v_pk_mov_b32 v[28:29], s[4:5], s[4:5] op_sel:[0,1]
	s_waitcnt lgkmcnt(0)
	;;#ASMSTART
	global_store_dwordx4 v[28:29], v[4:7] off	
s_waitcnt vmcnt(0)
	;;#ASMEND
.LBB150_76:
	s_or_b64 exec, exec, s[2:3]
	s_waitcnt lgkmcnt(2)
	v_cndmask_b32_e32 v1, v1, v2, vcc
	s_waitcnt lgkmcnt(1)
	v_cndmask_b32_e32 v2, v8, v3, vcc
	v_cndmask_b32_e64 v38, v1, 0, s[0:1]
	v_cndmask_b32_e64 v39, v2, 0, s[0:1]
	v_add_co_u32_e32 v36, vcc, v38, v26
	v_addc_co_u32_e32 v37, vcc, 0, v39, vcc
	v_add_co_u32_e32 v34, vcc, v36, v24
	v_addc_co_u32_e32 v35, vcc, 0, v37, vcc
	v_add_co_u32_e32 v32, vcc, v34, v22
	v_addc_co_u32_e32 v33, vcc, 0, v35, vcc
	v_add_co_u32_e32 v30, vcc, v32, v20
	v_addc_co_u32_e32 v31, vcc, 0, v33, vcc
	v_add_co_u32_e32 v2, vcc, v30, v18
	v_addc_co_u32_e32 v3, vcc, 0, v31, vcc
	v_add_co_u32_e32 v8, vcc, v2, v16
	v_addc_co_u32_e32 v9, vcc, 0, v3, vcc
	s_waitcnt lgkmcnt(0)
	s_barrier
	s_mov_b64 s[8:9], 0
.LBB150_77:
	s_mov_b64 s[0:1], 0x101
	v_cmp_gt_u64_e32 vcc, s[0:1], v[4:5]
	s_mov_b64 s[0:1], -1
	s_cbranch_vccnz .LBB150_81
; %bb.78:
	s_and_b64 vcc, exec, s[0:1]
	s_cbranch_vccnz .LBB150_103
.LBB150_79:
	v_cmp_eq_u32_e32 vcc, 0, v0
	s_and_b64 s[0:1], vcc, s[20:21]
	s_and_saveexec_b64 s[2:3], s[0:1]
	s_cbranch_execnz .LBB150_122
.LBB150_80:
	s_endpgm
.LBB150_81:
	v_mov_b32_e32 v1, s9
	v_add_co_u32_e32 v6, vcc, s8, v4
	v_addc_co_u32_e32 v7, vcc, v1, v5, vcc
	s_lshl_b64 s[0:1], s[18:19], 2
	s_waitcnt lgkmcnt(0)
	s_add_u32 s2, s6, s0
	v_cmp_lt_u64_e32 vcc, v[38:39], v[6:7]
	s_addc_u32 s3, s7, s1
	s_or_b64 s[4:5], s[22:23], vcc
	s_and_saveexec_b64 s[0:1], s[4:5]
	s_cbranch_execz .LBB150_84
; %bb.82:
	v_cmp_eq_u32_e32 vcc, 1, v26
	s_and_b64 exec, exec, vcc
	s_cbranch_execz .LBB150_84
; %bb.83:
	v_lshlrev_b64 v[28:29], 2, v[38:39]
	v_mov_b32_e32 v1, s3
	v_add_co_u32_e32 v28, vcc, s2, v28
	v_addc_co_u32_e32 v29, vcc, v1, v29, vcc
	global_store_dword v[28:29], v14, off
.LBB150_84:
	s_or_b64 exec, exec, s[0:1]
	v_cmp_lt_u64_e32 vcc, v[36:37], v[6:7]
	s_or_b64 s[4:5], s[22:23], vcc
	s_and_saveexec_b64 s[0:1], s[4:5]
	s_cbranch_execz .LBB150_87
; %bb.85:
	v_cmp_eq_u32_e32 vcc, 1, v24
	s_and_b64 exec, exec, vcc
	s_cbranch_execz .LBB150_87
; %bb.86:
	v_lshlrev_b64 v[28:29], 2, v[36:37]
	v_mov_b32_e32 v1, s3
	v_add_co_u32_e32 v28, vcc, s2, v28
	v_addc_co_u32_e32 v29, vcc, v1, v29, vcc
	global_store_dword v[28:29], v15, off
.LBB150_87:
	s_or_b64 exec, exec, s[0:1]
	v_cmp_lt_u64_e32 vcc, v[34:35], v[6:7]
	;; [unrolled: 16-line block ×6, first 2 shown]
	s_or_b64 s[4:5], s[22:23], vcc
	s_and_saveexec_b64 s[0:1], s[4:5]
	s_cbranch_execz .LBB150_102
; %bb.100:
	v_cmp_eq_u32_e32 vcc, 1, v19
	s_and_b64 exec, exec, vcc
	s_cbranch_execz .LBB150_102
; %bb.101:
	v_lshlrev_b64 v[6:7], 2, v[8:9]
	v_mov_b32_e32 v1, s3
	v_add_co_u32_e32 v6, vcc, s2, v6
	v_addc_co_u32_e32 v7, vcc, v1, v7, vcc
	global_store_dword v[6:7], v17, off
.LBB150_102:
	s_or_b64 exec, exec, s[0:1]
	s_branch .LBB150_79
.LBB150_103:
	v_cmp_eq_u32_e32 vcc, 1, v26
	s_and_saveexec_b64 s[0:1], vcc
	s_cbranch_execnz .LBB150_123
; %bb.104:
	s_or_b64 exec, exec, s[0:1]
	v_cmp_eq_u32_e32 vcc, 1, v24
	s_and_saveexec_b64 s[0:1], vcc
	s_cbranch_execnz .LBB150_124
.LBB150_105:
	s_or_b64 exec, exec, s[0:1]
	v_cmp_eq_u32_e32 vcc, 1, v22
	s_and_saveexec_b64 s[0:1], vcc
	s_cbranch_execnz .LBB150_125
.LBB150_106:
	s_or_b64 exec, exec, s[0:1]
	v_cmp_eq_u32_e32 vcc, 1, v20
	s_and_saveexec_b64 s[0:1], vcc
	s_cbranch_execnz .LBB150_126
.LBB150_107:
	s_or_b64 exec, exec, s[0:1]
	v_cmp_eq_u32_e32 vcc, 1, v18
	s_and_saveexec_b64 s[0:1], vcc
	s_cbranch_execnz .LBB150_127
.LBB150_108:
	s_or_b64 exec, exec, s[0:1]
	v_cmp_eq_u32_e32 vcc, 1, v16
	s_and_saveexec_b64 s[0:1], vcc
	s_cbranch_execnz .LBB150_128
.LBB150_109:
	s_or_b64 exec, exec, s[0:1]
	v_cmp_eq_u32_e32 vcc, 1, v19
	s_and_saveexec_b64 s[0:1], vcc
	s_cbranch_execz .LBB150_111
.LBB150_110:
	v_subrev_u32_e32 v1, s8, v8
	v_lshlrev_b32_e32 v1, 2, v1
	ds_write_b32 v1, v17
.LBB150_111:
	s_or_b64 exec, exec, s[0:1]
	v_mov_b32_e32 v1, 0
	v_cmp_gt_u64_e32 vcc, v[4:5], v[0:1]
	s_waitcnt lgkmcnt(0)
	s_barrier
	s_and_saveexec_b64 s[10:11], vcc
	s_cbranch_execz .LBB150_121
; %bb.112:
	v_not_b32_e32 v3, v0
	v_not_b32_e32 v2, 0
	v_add_co_u32_e32 v6, vcc, v4, v3
	v_addc_co_u32_e32 v7, vcc, v5, v2, vcc
	s_mov_b64 s[0:1], 0x2f00
	s_mov_b64 s[2:3], 0x2eff
	v_cmp_gt_u64_e64 s[0:1], s[0:1], v[6:7]
	v_cmp_lt_u64_e32 vcc, s[2:3], v[6:7]
	v_mov_b32_e32 v8, v0
	v_pk_mov_b32 v[2:3], v[0:1], v[0:1] op_sel:[0,1]
	s_and_saveexec_b64 s[12:13], vcc
	s_cbranch_execz .LBB150_118
; %bb.113:
	v_alignbit_b32 v2, v7, v6, 8
	s_mov_b32 s2, 0xffffff
	s_mov_b32 s4, -1
	v_lshlrev_b32_e32 v3, 8, v2
	v_cmp_lt_u32_e32 vcc, s2, v2
	v_not_b32_e32 v2, v0
	s_movk_i32 s5, 0xff
	v_cmp_gt_u32_e64 s[2:3], v3, v2
	v_xor_b32_e32 v2, 0xfffffeff, v0
	v_cmp_lt_u64_e64 s[4:5], s[4:5], v[6:7]
	s_or_b64 s[14:15], s[2:3], vcc
	v_cmp_lt_u32_e64 s[2:3], v2, v3
	s_or_b64 s[4:5], vcc, s[4:5]
	s_or_b64 s[2:3], s[4:5], s[2:3]
	s_or_b64 s[4:5], s[14:15], s[2:3]
	s_mov_b64 s[2:3], -1
	s_xor_b64 s[14:15], s[4:5], -1
	v_mov_b32_e32 v8, v0
	v_pk_mov_b32 v[2:3], v[0:1], v[0:1] op_sel:[0,1]
	s_and_saveexec_b64 s[4:5], s[14:15]
	s_cbranch_execz .LBB150_117
; %bb.114:
	s_lshl_b64 s[2:3], s[8:9], 2
	s_lshl_b64 s[14:15], s[18:19], 2
	s_add_u32 s2, s2, s14
	v_lshrrev_b64 v[2:3], 8, v[6:7]
	s_addc_u32 s3, s3, s15
	v_add_co_u32_e32 v10, vcc, 1, v2
	s_add_u32 s2, s6, s2
	v_addc_co_u32_e32 v11, vcc, 0, v3, vcc
	v_lshlrev_b32_e32 v6, 2, v0
	s_addc_u32 s3, s7, s3
	v_mov_b32_e32 v7, s3
	v_add_co_u32_e32 v6, vcc, s2, v6
	v_addc_co_u32_e32 v7, vcc, 0, v7, vcc
	s_movk_i32 s2, 0x400
	v_or_b32_e32 v2, 0x100, v0
	v_mov_b32_e32 v3, v1
	v_add_co_u32_e32 v14, vcc, s2, v6
	v_and_b32_e32 v12, -2, v10
	v_mov_b32_e32 v13, v11
	v_addc_co_u32_e32 v15, vcc, 0, v7, vcc
	v_pk_mov_b32 v[8:9], v[2:3], v[2:3] op_sel:[0,1]
	s_mov_b64 s[14:15], 0
	v_pk_mov_b32 v[16:17], v[12:13], v[12:13] op_sel:[0,1]
	v_pk_mov_b32 v[6:7], v[0:1], v[0:1] op_sel:[0,1]
.LBB150_115:                            ; =>This Inner Loop Header: Depth=1
	v_lshlrev_b32_e32 v1, 2, v6
	v_lshlrev_b32_e32 v2, 2, v8
	ds_read_b32 v1, v1
	ds_read_b32 v2, v2
	v_add_co_u32_e32 v8, vcc, 0x200, v8
	v_addc_co_u32_e32 v9, vcc, 0, v9, vcc
	v_add_co_u32_e64 v16, s[2:3], -2, v16
	v_add_co_u32_e32 v6, vcc, 0x200, v6
	v_addc_co_u32_e64 v17, s[2:3], -1, v17, s[2:3]
	v_addc_co_u32_e32 v7, vcc, 0, v7, vcc
	v_cmp_eq_u64_e64 s[2:3], 0, v[16:17]
	s_waitcnt lgkmcnt(1)
	global_store_dword v[14:15], v1, off offset:-1024
	s_waitcnt lgkmcnt(0)
	global_store_dword v[14:15], v2, off
	v_add_co_u32_e32 v14, vcc, 0x800, v14
	s_or_b64 s[14:15], s[2:3], s[14:15]
	v_addc_co_u32_e32 v15, vcc, 0, v15, vcc
	s_andn2_b64 exec, exec, s[14:15]
	s_cbranch_execnz .LBB150_115
; %bb.116:
	s_or_b64 exec, exec, s[14:15]
	v_lshlrev_b64 v[2:3], 8, v[12:13]
	v_cmp_ne_u64_e32 vcc, v[10:11], v[12:13]
	v_or_b32_e32 v3, 0, v3
	v_or_b32_e32 v2, v2, v0
	v_lshl_or_b32 v8, v12, 8, v0
	s_orn2_b64 s[2:3], vcc, exec
.LBB150_117:
	s_or_b64 exec, exec, s[4:5]
	s_andn2_b64 s[0:1], s[0:1], exec
	s_and_b64 s[2:3], s[2:3], exec
	s_or_b64 s[0:1], s[0:1], s[2:3]
.LBB150_118:
	s_or_b64 exec, exec, s[12:13]
	s_and_b64 exec, exec, s[0:1]
	s_cbranch_execz .LBB150_121
; %bb.119:
	s_lshl_b64 s[0:1], s[8:9], 2
	s_add_u32 s2, s6, s0
	s_addc_u32 s3, s7, s1
	s_lshl_b64 s[0:1], s[18:19], 2
	s_add_u32 s4, s2, s0
	s_addc_u32 s0, s3, s1
	v_add_u32_e32 v6, 0x100, v8
	s_mov_b64 s[2:3], 0
	v_mov_b32_e32 v1, s0
	v_mov_b32_e32 v7, 0
.LBB150_120:                            ; =>This Inner Loop Header: Depth=1
	v_lshlrev_b32_e32 v10, 2, v2
	ds_read_b32 v10, v10
	v_lshlrev_b64 v[8:9], 2, v[2:3]
	v_cmp_le_u64_e32 vcc, v[4:5], v[6:7]
	v_add_co_u32_e64 v8, s[0:1], s4, v8
	v_pk_mov_b32 v[2:3], v[6:7], v[6:7] op_sel:[0,1]
	v_add_u32_e32 v6, 0x100, v6
	v_addc_co_u32_e64 v9, s[0:1], v1, v9, s[0:1]
	s_or_b64 s[2:3], vcc, s[2:3]
	s_waitcnt lgkmcnt(0)
	global_store_dword v[8:9], v10, off
	s_andn2_b64 exec, exec, s[2:3]
	s_cbranch_execnz .LBB150_120
.LBB150_121:
	s_or_b64 exec, exec, s[10:11]
	v_cmp_eq_u32_e32 vcc, 0, v0
	s_and_b64 s[0:1], vcc, s[20:21]
	s_and_saveexec_b64 s[2:3], s[0:1]
	s_cbranch_execz .LBB150_80
.LBB150_122:
	v_mov_b32_e32 v0, s9
	v_add_co_u32_e32 v1, vcc, s8, v4
	v_addc_co_u32_e32 v3, vcc, v0, v5, vcc
	v_mov_b32_e32 v4, s19
	v_add_co_u32_e32 v0, vcc, s18, v1
	v_mov_b32_e32 v2, 0
	v_addc_co_u32_e32 v1, vcc, v3, v4, vcc
	global_store_dwordx2 v2, v[0:1], s[16:17]
	s_endpgm
.LBB150_123:
	v_subrev_u32_e32 v1, s8, v38
	v_lshlrev_b32_e32 v1, 2, v1
	ds_write_b32 v1, v14
	s_or_b64 exec, exec, s[0:1]
	v_cmp_eq_u32_e32 vcc, 1, v24
	s_and_saveexec_b64 s[0:1], vcc
	s_cbranch_execz .LBB150_105
.LBB150_124:
	v_subrev_u32_e32 v1, s8, v36
	v_lshlrev_b32_e32 v1, 2, v1
	ds_write_b32 v1, v15
	s_or_b64 exec, exec, s[0:1]
	v_cmp_eq_u32_e32 vcc, 1, v22
	s_and_saveexec_b64 s[0:1], vcc
	s_cbranch_execz .LBB150_106
.LBB150_125:
	v_subrev_u32_e32 v1, s8, v34
	v_lshlrev_b32_e32 v1, 2, v1
	ds_write_b32 v1, v12
	s_or_b64 exec, exec, s[0:1]
	v_cmp_eq_u32_e32 vcc, 1, v20
	s_and_saveexec_b64 s[0:1], vcc
	s_cbranch_execz .LBB150_107
.LBB150_126:
	v_subrev_u32_e32 v1, s8, v32
	v_lshlrev_b32_e32 v1, 2, v1
	ds_write_b32 v1, v13
	s_or_b64 exec, exec, s[0:1]
	v_cmp_eq_u32_e32 vcc, 1, v18
	s_and_saveexec_b64 s[0:1], vcc
	s_cbranch_execz .LBB150_108
.LBB150_127:
	v_subrev_u32_e32 v1, s8, v30
	v_lshlrev_b32_e32 v1, 2, v1
	ds_write_b32 v1, v10
	s_or_b64 exec, exec, s[0:1]
	v_cmp_eq_u32_e32 vcc, 1, v16
	s_and_saveexec_b64 s[0:1], vcc
	s_cbranch_execz .LBB150_109
.LBB150_128:
	v_subrev_u32_e32 v1, s8, v2
	v_lshlrev_b32_e32 v1, 2, v1
	ds_write_b32 v1, v11
	s_or_b64 exec, exec, s[0:1]
	v_cmp_eq_u32_e32 vcc, 1, v19
	s_and_saveexec_b64 s[0:1], vcc
	s_cbranch_execnz .LBB150_110
	s_branch .LBB150_111
	.section	.rodata,"a",@progbits
	.p2align	6, 0x0
	.amdhsa_kernel _ZN7rocprim17ROCPRIM_400000_NS6detail17trampoline_kernelINS0_14default_configENS1_25partition_config_selectorILNS1_17partition_subalgoE5EiNS0_10empty_typeEbEEZZNS1_14partition_implILS5_5ELb0ES3_mPiPS6_N6thrust23THRUST_200600_302600_NS18transform_iteratorIN6dUtils5isOneIiEES9_NSC_11use_defaultESH_EENS0_5tupleIJS9_S6_EEENSJ_IJSA_SA_EEES6_PlJS6_EEE10hipError_tPvRmT3_T4_T5_T6_T7_T9_mT8_P12ihipStream_tbDpT10_ENKUlT_T0_E_clISt17integral_constantIbLb0EES16_EEDaS11_S12_EUlS11_E_NS1_11comp_targetILNS1_3genE4ELNS1_11target_archE910ELNS1_3gpuE8ELNS1_3repE0EEENS1_30default_config_static_selectorELNS0_4arch9wavefront6targetE1EEEvT1_
		.amdhsa_group_segment_fixed_size 7184
		.amdhsa_private_segment_fixed_size 0
		.amdhsa_kernarg_size 120
		.amdhsa_user_sgpr_count 6
		.amdhsa_user_sgpr_private_segment_buffer 1
		.amdhsa_user_sgpr_dispatch_ptr 0
		.amdhsa_user_sgpr_queue_ptr 0
		.amdhsa_user_sgpr_kernarg_segment_ptr 1
		.amdhsa_user_sgpr_dispatch_id 0
		.amdhsa_user_sgpr_flat_scratch_init 0
		.amdhsa_user_sgpr_kernarg_preload_length 0
		.amdhsa_user_sgpr_kernarg_preload_offset 0
		.amdhsa_user_sgpr_private_segment_size 0
		.amdhsa_uses_dynamic_stack 0
		.amdhsa_system_sgpr_private_segment_wavefront_offset 0
		.amdhsa_system_sgpr_workgroup_id_x 1
		.amdhsa_system_sgpr_workgroup_id_y 0
		.amdhsa_system_sgpr_workgroup_id_z 0
		.amdhsa_system_sgpr_workgroup_info 0
		.amdhsa_system_vgpr_workitem_id 0
		.amdhsa_next_free_vgpr 56
		.amdhsa_next_free_sgpr 28
		.amdhsa_accum_offset 56
		.amdhsa_reserve_vcc 1
		.amdhsa_reserve_flat_scratch 0
		.amdhsa_float_round_mode_32 0
		.amdhsa_float_round_mode_16_64 0
		.amdhsa_float_denorm_mode_32 3
		.amdhsa_float_denorm_mode_16_64 3
		.amdhsa_dx10_clamp 1
		.amdhsa_ieee_mode 1
		.amdhsa_fp16_overflow 0
		.amdhsa_tg_split 0
		.amdhsa_exception_fp_ieee_invalid_op 0
		.amdhsa_exception_fp_denorm_src 0
		.amdhsa_exception_fp_ieee_div_zero 0
		.amdhsa_exception_fp_ieee_overflow 0
		.amdhsa_exception_fp_ieee_underflow 0
		.amdhsa_exception_fp_ieee_inexact 0
		.amdhsa_exception_int_div_zero 0
	.end_amdhsa_kernel
	.section	.text._ZN7rocprim17ROCPRIM_400000_NS6detail17trampoline_kernelINS0_14default_configENS1_25partition_config_selectorILNS1_17partition_subalgoE5EiNS0_10empty_typeEbEEZZNS1_14partition_implILS5_5ELb0ES3_mPiPS6_N6thrust23THRUST_200600_302600_NS18transform_iteratorIN6dUtils5isOneIiEES9_NSC_11use_defaultESH_EENS0_5tupleIJS9_S6_EEENSJ_IJSA_SA_EEES6_PlJS6_EEE10hipError_tPvRmT3_T4_T5_T6_T7_T9_mT8_P12ihipStream_tbDpT10_ENKUlT_T0_E_clISt17integral_constantIbLb0EES16_EEDaS11_S12_EUlS11_E_NS1_11comp_targetILNS1_3genE4ELNS1_11target_archE910ELNS1_3gpuE8ELNS1_3repE0EEENS1_30default_config_static_selectorELNS0_4arch9wavefront6targetE1EEEvT1_,"axG",@progbits,_ZN7rocprim17ROCPRIM_400000_NS6detail17trampoline_kernelINS0_14default_configENS1_25partition_config_selectorILNS1_17partition_subalgoE5EiNS0_10empty_typeEbEEZZNS1_14partition_implILS5_5ELb0ES3_mPiPS6_N6thrust23THRUST_200600_302600_NS18transform_iteratorIN6dUtils5isOneIiEES9_NSC_11use_defaultESH_EENS0_5tupleIJS9_S6_EEENSJ_IJSA_SA_EEES6_PlJS6_EEE10hipError_tPvRmT3_T4_T5_T6_T7_T9_mT8_P12ihipStream_tbDpT10_ENKUlT_T0_E_clISt17integral_constantIbLb0EES16_EEDaS11_S12_EUlS11_E_NS1_11comp_targetILNS1_3genE4ELNS1_11target_archE910ELNS1_3gpuE8ELNS1_3repE0EEENS1_30default_config_static_selectorELNS0_4arch9wavefront6targetE1EEEvT1_,comdat
.Lfunc_end150:
	.size	_ZN7rocprim17ROCPRIM_400000_NS6detail17trampoline_kernelINS0_14default_configENS1_25partition_config_selectorILNS1_17partition_subalgoE5EiNS0_10empty_typeEbEEZZNS1_14partition_implILS5_5ELb0ES3_mPiPS6_N6thrust23THRUST_200600_302600_NS18transform_iteratorIN6dUtils5isOneIiEES9_NSC_11use_defaultESH_EENS0_5tupleIJS9_S6_EEENSJ_IJSA_SA_EEES6_PlJS6_EEE10hipError_tPvRmT3_T4_T5_T6_T7_T9_mT8_P12ihipStream_tbDpT10_ENKUlT_T0_E_clISt17integral_constantIbLb0EES16_EEDaS11_S12_EUlS11_E_NS1_11comp_targetILNS1_3genE4ELNS1_11target_archE910ELNS1_3gpuE8ELNS1_3repE0EEENS1_30default_config_static_selectorELNS0_4arch9wavefront6targetE1EEEvT1_, .Lfunc_end150-_ZN7rocprim17ROCPRIM_400000_NS6detail17trampoline_kernelINS0_14default_configENS1_25partition_config_selectorILNS1_17partition_subalgoE5EiNS0_10empty_typeEbEEZZNS1_14partition_implILS5_5ELb0ES3_mPiPS6_N6thrust23THRUST_200600_302600_NS18transform_iteratorIN6dUtils5isOneIiEES9_NSC_11use_defaultESH_EENS0_5tupleIJS9_S6_EEENSJ_IJSA_SA_EEES6_PlJS6_EEE10hipError_tPvRmT3_T4_T5_T6_T7_T9_mT8_P12ihipStream_tbDpT10_ENKUlT_T0_E_clISt17integral_constantIbLb0EES16_EEDaS11_S12_EUlS11_E_NS1_11comp_targetILNS1_3genE4ELNS1_11target_archE910ELNS1_3gpuE8ELNS1_3repE0EEENS1_30default_config_static_selectorELNS0_4arch9wavefront6targetE1EEEvT1_
                                        ; -- End function
	.section	.AMDGPU.csdata,"",@progbits
; Kernel info:
; codeLenInByte = 6604
; NumSgprs: 32
; NumVgprs: 56
; NumAgprs: 0
; TotalNumVgprs: 56
; ScratchSize: 0
; MemoryBound: 0
; FloatMode: 240
; IeeeMode: 1
; LDSByteSize: 7184 bytes/workgroup (compile time only)
; SGPRBlocks: 3
; VGPRBlocks: 6
; NumSGPRsForWavesPerEU: 32
; NumVGPRsForWavesPerEU: 56
; AccumOffset: 56
; Occupancy: 8
; WaveLimiterHint : 1
; COMPUTE_PGM_RSRC2:SCRATCH_EN: 0
; COMPUTE_PGM_RSRC2:USER_SGPR: 6
; COMPUTE_PGM_RSRC2:TRAP_HANDLER: 0
; COMPUTE_PGM_RSRC2:TGID_X_EN: 1
; COMPUTE_PGM_RSRC2:TGID_Y_EN: 0
; COMPUTE_PGM_RSRC2:TGID_Z_EN: 0
; COMPUTE_PGM_RSRC2:TIDIG_COMP_CNT: 0
; COMPUTE_PGM_RSRC3_GFX90A:ACCUM_OFFSET: 13
; COMPUTE_PGM_RSRC3_GFX90A:TG_SPLIT: 0
	.section	.text._ZN7rocprim17ROCPRIM_400000_NS6detail17trampoline_kernelINS0_14default_configENS1_25partition_config_selectorILNS1_17partition_subalgoE5EiNS0_10empty_typeEbEEZZNS1_14partition_implILS5_5ELb0ES3_mPiPS6_N6thrust23THRUST_200600_302600_NS18transform_iteratorIN6dUtils5isOneIiEES9_NSC_11use_defaultESH_EENS0_5tupleIJS9_S6_EEENSJ_IJSA_SA_EEES6_PlJS6_EEE10hipError_tPvRmT3_T4_T5_T6_T7_T9_mT8_P12ihipStream_tbDpT10_ENKUlT_T0_E_clISt17integral_constantIbLb0EES16_EEDaS11_S12_EUlS11_E_NS1_11comp_targetILNS1_3genE3ELNS1_11target_archE908ELNS1_3gpuE7ELNS1_3repE0EEENS1_30default_config_static_selectorELNS0_4arch9wavefront6targetE1EEEvT1_,"axG",@progbits,_ZN7rocprim17ROCPRIM_400000_NS6detail17trampoline_kernelINS0_14default_configENS1_25partition_config_selectorILNS1_17partition_subalgoE5EiNS0_10empty_typeEbEEZZNS1_14partition_implILS5_5ELb0ES3_mPiPS6_N6thrust23THRUST_200600_302600_NS18transform_iteratorIN6dUtils5isOneIiEES9_NSC_11use_defaultESH_EENS0_5tupleIJS9_S6_EEENSJ_IJSA_SA_EEES6_PlJS6_EEE10hipError_tPvRmT3_T4_T5_T6_T7_T9_mT8_P12ihipStream_tbDpT10_ENKUlT_T0_E_clISt17integral_constantIbLb0EES16_EEDaS11_S12_EUlS11_E_NS1_11comp_targetILNS1_3genE3ELNS1_11target_archE908ELNS1_3gpuE7ELNS1_3repE0EEENS1_30default_config_static_selectorELNS0_4arch9wavefront6targetE1EEEvT1_,comdat
	.protected	_ZN7rocprim17ROCPRIM_400000_NS6detail17trampoline_kernelINS0_14default_configENS1_25partition_config_selectorILNS1_17partition_subalgoE5EiNS0_10empty_typeEbEEZZNS1_14partition_implILS5_5ELb0ES3_mPiPS6_N6thrust23THRUST_200600_302600_NS18transform_iteratorIN6dUtils5isOneIiEES9_NSC_11use_defaultESH_EENS0_5tupleIJS9_S6_EEENSJ_IJSA_SA_EEES6_PlJS6_EEE10hipError_tPvRmT3_T4_T5_T6_T7_T9_mT8_P12ihipStream_tbDpT10_ENKUlT_T0_E_clISt17integral_constantIbLb0EES16_EEDaS11_S12_EUlS11_E_NS1_11comp_targetILNS1_3genE3ELNS1_11target_archE908ELNS1_3gpuE7ELNS1_3repE0EEENS1_30default_config_static_selectorELNS0_4arch9wavefront6targetE1EEEvT1_ ; -- Begin function _ZN7rocprim17ROCPRIM_400000_NS6detail17trampoline_kernelINS0_14default_configENS1_25partition_config_selectorILNS1_17partition_subalgoE5EiNS0_10empty_typeEbEEZZNS1_14partition_implILS5_5ELb0ES3_mPiPS6_N6thrust23THRUST_200600_302600_NS18transform_iteratorIN6dUtils5isOneIiEES9_NSC_11use_defaultESH_EENS0_5tupleIJS9_S6_EEENSJ_IJSA_SA_EEES6_PlJS6_EEE10hipError_tPvRmT3_T4_T5_T6_T7_T9_mT8_P12ihipStream_tbDpT10_ENKUlT_T0_E_clISt17integral_constantIbLb0EES16_EEDaS11_S12_EUlS11_E_NS1_11comp_targetILNS1_3genE3ELNS1_11target_archE908ELNS1_3gpuE7ELNS1_3repE0EEENS1_30default_config_static_selectorELNS0_4arch9wavefront6targetE1EEEvT1_
	.globl	_ZN7rocprim17ROCPRIM_400000_NS6detail17trampoline_kernelINS0_14default_configENS1_25partition_config_selectorILNS1_17partition_subalgoE5EiNS0_10empty_typeEbEEZZNS1_14partition_implILS5_5ELb0ES3_mPiPS6_N6thrust23THRUST_200600_302600_NS18transform_iteratorIN6dUtils5isOneIiEES9_NSC_11use_defaultESH_EENS0_5tupleIJS9_S6_EEENSJ_IJSA_SA_EEES6_PlJS6_EEE10hipError_tPvRmT3_T4_T5_T6_T7_T9_mT8_P12ihipStream_tbDpT10_ENKUlT_T0_E_clISt17integral_constantIbLb0EES16_EEDaS11_S12_EUlS11_E_NS1_11comp_targetILNS1_3genE3ELNS1_11target_archE908ELNS1_3gpuE7ELNS1_3repE0EEENS1_30default_config_static_selectorELNS0_4arch9wavefront6targetE1EEEvT1_
	.p2align	8
	.type	_ZN7rocprim17ROCPRIM_400000_NS6detail17trampoline_kernelINS0_14default_configENS1_25partition_config_selectorILNS1_17partition_subalgoE5EiNS0_10empty_typeEbEEZZNS1_14partition_implILS5_5ELb0ES3_mPiPS6_N6thrust23THRUST_200600_302600_NS18transform_iteratorIN6dUtils5isOneIiEES9_NSC_11use_defaultESH_EENS0_5tupleIJS9_S6_EEENSJ_IJSA_SA_EEES6_PlJS6_EEE10hipError_tPvRmT3_T4_T5_T6_T7_T9_mT8_P12ihipStream_tbDpT10_ENKUlT_T0_E_clISt17integral_constantIbLb0EES16_EEDaS11_S12_EUlS11_E_NS1_11comp_targetILNS1_3genE3ELNS1_11target_archE908ELNS1_3gpuE7ELNS1_3repE0EEENS1_30default_config_static_selectorELNS0_4arch9wavefront6targetE1EEEvT1_,@function
_ZN7rocprim17ROCPRIM_400000_NS6detail17trampoline_kernelINS0_14default_configENS1_25partition_config_selectorILNS1_17partition_subalgoE5EiNS0_10empty_typeEbEEZZNS1_14partition_implILS5_5ELb0ES3_mPiPS6_N6thrust23THRUST_200600_302600_NS18transform_iteratorIN6dUtils5isOneIiEES9_NSC_11use_defaultESH_EENS0_5tupleIJS9_S6_EEENSJ_IJSA_SA_EEES6_PlJS6_EEE10hipError_tPvRmT3_T4_T5_T6_T7_T9_mT8_P12ihipStream_tbDpT10_ENKUlT_T0_E_clISt17integral_constantIbLb0EES16_EEDaS11_S12_EUlS11_E_NS1_11comp_targetILNS1_3genE3ELNS1_11target_archE908ELNS1_3gpuE7ELNS1_3repE0EEENS1_30default_config_static_selectorELNS0_4arch9wavefront6targetE1EEEvT1_: ; @_ZN7rocprim17ROCPRIM_400000_NS6detail17trampoline_kernelINS0_14default_configENS1_25partition_config_selectorILNS1_17partition_subalgoE5EiNS0_10empty_typeEbEEZZNS1_14partition_implILS5_5ELb0ES3_mPiPS6_N6thrust23THRUST_200600_302600_NS18transform_iteratorIN6dUtils5isOneIiEES9_NSC_11use_defaultESH_EENS0_5tupleIJS9_S6_EEENSJ_IJSA_SA_EEES6_PlJS6_EEE10hipError_tPvRmT3_T4_T5_T6_T7_T9_mT8_P12ihipStream_tbDpT10_ENKUlT_T0_E_clISt17integral_constantIbLb0EES16_EEDaS11_S12_EUlS11_E_NS1_11comp_targetILNS1_3genE3ELNS1_11target_archE908ELNS1_3gpuE7ELNS1_3repE0EEENS1_30default_config_static_selectorELNS0_4arch9wavefront6targetE1EEEvT1_
; %bb.0:
	.section	.rodata,"a",@progbits
	.p2align	6, 0x0
	.amdhsa_kernel _ZN7rocprim17ROCPRIM_400000_NS6detail17trampoline_kernelINS0_14default_configENS1_25partition_config_selectorILNS1_17partition_subalgoE5EiNS0_10empty_typeEbEEZZNS1_14partition_implILS5_5ELb0ES3_mPiPS6_N6thrust23THRUST_200600_302600_NS18transform_iteratorIN6dUtils5isOneIiEES9_NSC_11use_defaultESH_EENS0_5tupleIJS9_S6_EEENSJ_IJSA_SA_EEES6_PlJS6_EEE10hipError_tPvRmT3_T4_T5_T6_T7_T9_mT8_P12ihipStream_tbDpT10_ENKUlT_T0_E_clISt17integral_constantIbLb0EES16_EEDaS11_S12_EUlS11_E_NS1_11comp_targetILNS1_3genE3ELNS1_11target_archE908ELNS1_3gpuE7ELNS1_3repE0EEENS1_30default_config_static_selectorELNS0_4arch9wavefront6targetE1EEEvT1_
		.amdhsa_group_segment_fixed_size 0
		.amdhsa_private_segment_fixed_size 0
		.amdhsa_kernarg_size 120
		.amdhsa_user_sgpr_count 6
		.amdhsa_user_sgpr_private_segment_buffer 1
		.amdhsa_user_sgpr_dispatch_ptr 0
		.amdhsa_user_sgpr_queue_ptr 0
		.amdhsa_user_sgpr_kernarg_segment_ptr 1
		.amdhsa_user_sgpr_dispatch_id 0
		.amdhsa_user_sgpr_flat_scratch_init 0
		.amdhsa_user_sgpr_kernarg_preload_length 0
		.amdhsa_user_sgpr_kernarg_preload_offset 0
		.amdhsa_user_sgpr_private_segment_size 0
		.amdhsa_uses_dynamic_stack 0
		.amdhsa_system_sgpr_private_segment_wavefront_offset 0
		.amdhsa_system_sgpr_workgroup_id_x 1
		.amdhsa_system_sgpr_workgroup_id_y 0
		.amdhsa_system_sgpr_workgroup_id_z 0
		.amdhsa_system_sgpr_workgroup_info 0
		.amdhsa_system_vgpr_workitem_id 0
		.amdhsa_next_free_vgpr 1
		.amdhsa_next_free_sgpr 0
		.amdhsa_accum_offset 4
		.amdhsa_reserve_vcc 0
		.amdhsa_reserve_flat_scratch 0
		.amdhsa_float_round_mode_32 0
		.amdhsa_float_round_mode_16_64 0
		.amdhsa_float_denorm_mode_32 3
		.amdhsa_float_denorm_mode_16_64 3
		.amdhsa_dx10_clamp 1
		.amdhsa_ieee_mode 1
		.amdhsa_fp16_overflow 0
		.amdhsa_tg_split 0
		.amdhsa_exception_fp_ieee_invalid_op 0
		.amdhsa_exception_fp_denorm_src 0
		.amdhsa_exception_fp_ieee_div_zero 0
		.amdhsa_exception_fp_ieee_overflow 0
		.amdhsa_exception_fp_ieee_underflow 0
		.amdhsa_exception_fp_ieee_inexact 0
		.amdhsa_exception_int_div_zero 0
	.end_amdhsa_kernel
	.section	.text._ZN7rocprim17ROCPRIM_400000_NS6detail17trampoline_kernelINS0_14default_configENS1_25partition_config_selectorILNS1_17partition_subalgoE5EiNS0_10empty_typeEbEEZZNS1_14partition_implILS5_5ELb0ES3_mPiPS6_N6thrust23THRUST_200600_302600_NS18transform_iteratorIN6dUtils5isOneIiEES9_NSC_11use_defaultESH_EENS0_5tupleIJS9_S6_EEENSJ_IJSA_SA_EEES6_PlJS6_EEE10hipError_tPvRmT3_T4_T5_T6_T7_T9_mT8_P12ihipStream_tbDpT10_ENKUlT_T0_E_clISt17integral_constantIbLb0EES16_EEDaS11_S12_EUlS11_E_NS1_11comp_targetILNS1_3genE3ELNS1_11target_archE908ELNS1_3gpuE7ELNS1_3repE0EEENS1_30default_config_static_selectorELNS0_4arch9wavefront6targetE1EEEvT1_,"axG",@progbits,_ZN7rocprim17ROCPRIM_400000_NS6detail17trampoline_kernelINS0_14default_configENS1_25partition_config_selectorILNS1_17partition_subalgoE5EiNS0_10empty_typeEbEEZZNS1_14partition_implILS5_5ELb0ES3_mPiPS6_N6thrust23THRUST_200600_302600_NS18transform_iteratorIN6dUtils5isOneIiEES9_NSC_11use_defaultESH_EENS0_5tupleIJS9_S6_EEENSJ_IJSA_SA_EEES6_PlJS6_EEE10hipError_tPvRmT3_T4_T5_T6_T7_T9_mT8_P12ihipStream_tbDpT10_ENKUlT_T0_E_clISt17integral_constantIbLb0EES16_EEDaS11_S12_EUlS11_E_NS1_11comp_targetILNS1_3genE3ELNS1_11target_archE908ELNS1_3gpuE7ELNS1_3repE0EEENS1_30default_config_static_selectorELNS0_4arch9wavefront6targetE1EEEvT1_,comdat
.Lfunc_end151:
	.size	_ZN7rocprim17ROCPRIM_400000_NS6detail17trampoline_kernelINS0_14default_configENS1_25partition_config_selectorILNS1_17partition_subalgoE5EiNS0_10empty_typeEbEEZZNS1_14partition_implILS5_5ELb0ES3_mPiPS6_N6thrust23THRUST_200600_302600_NS18transform_iteratorIN6dUtils5isOneIiEES9_NSC_11use_defaultESH_EENS0_5tupleIJS9_S6_EEENSJ_IJSA_SA_EEES6_PlJS6_EEE10hipError_tPvRmT3_T4_T5_T6_T7_T9_mT8_P12ihipStream_tbDpT10_ENKUlT_T0_E_clISt17integral_constantIbLb0EES16_EEDaS11_S12_EUlS11_E_NS1_11comp_targetILNS1_3genE3ELNS1_11target_archE908ELNS1_3gpuE7ELNS1_3repE0EEENS1_30default_config_static_selectorELNS0_4arch9wavefront6targetE1EEEvT1_, .Lfunc_end151-_ZN7rocprim17ROCPRIM_400000_NS6detail17trampoline_kernelINS0_14default_configENS1_25partition_config_selectorILNS1_17partition_subalgoE5EiNS0_10empty_typeEbEEZZNS1_14partition_implILS5_5ELb0ES3_mPiPS6_N6thrust23THRUST_200600_302600_NS18transform_iteratorIN6dUtils5isOneIiEES9_NSC_11use_defaultESH_EENS0_5tupleIJS9_S6_EEENSJ_IJSA_SA_EEES6_PlJS6_EEE10hipError_tPvRmT3_T4_T5_T6_T7_T9_mT8_P12ihipStream_tbDpT10_ENKUlT_T0_E_clISt17integral_constantIbLb0EES16_EEDaS11_S12_EUlS11_E_NS1_11comp_targetILNS1_3genE3ELNS1_11target_archE908ELNS1_3gpuE7ELNS1_3repE0EEENS1_30default_config_static_selectorELNS0_4arch9wavefront6targetE1EEEvT1_
                                        ; -- End function
	.section	.AMDGPU.csdata,"",@progbits
; Kernel info:
; codeLenInByte = 0
; NumSgprs: 4
; NumVgprs: 0
; NumAgprs: 0
; TotalNumVgprs: 0
; ScratchSize: 0
; MemoryBound: 0
; FloatMode: 240
; IeeeMode: 1
; LDSByteSize: 0 bytes/workgroup (compile time only)
; SGPRBlocks: 0
; VGPRBlocks: 0
; NumSGPRsForWavesPerEU: 4
; NumVGPRsForWavesPerEU: 1
; AccumOffset: 4
; Occupancy: 8
; WaveLimiterHint : 0
; COMPUTE_PGM_RSRC2:SCRATCH_EN: 0
; COMPUTE_PGM_RSRC2:USER_SGPR: 6
; COMPUTE_PGM_RSRC2:TRAP_HANDLER: 0
; COMPUTE_PGM_RSRC2:TGID_X_EN: 1
; COMPUTE_PGM_RSRC2:TGID_Y_EN: 0
; COMPUTE_PGM_RSRC2:TGID_Z_EN: 0
; COMPUTE_PGM_RSRC2:TIDIG_COMP_CNT: 0
; COMPUTE_PGM_RSRC3_GFX90A:ACCUM_OFFSET: 0
; COMPUTE_PGM_RSRC3_GFX90A:TG_SPLIT: 0
	.section	.text._ZN7rocprim17ROCPRIM_400000_NS6detail17trampoline_kernelINS0_14default_configENS1_25partition_config_selectorILNS1_17partition_subalgoE5EiNS0_10empty_typeEbEEZZNS1_14partition_implILS5_5ELb0ES3_mPiPS6_N6thrust23THRUST_200600_302600_NS18transform_iteratorIN6dUtils5isOneIiEES9_NSC_11use_defaultESH_EENS0_5tupleIJS9_S6_EEENSJ_IJSA_SA_EEES6_PlJS6_EEE10hipError_tPvRmT3_T4_T5_T6_T7_T9_mT8_P12ihipStream_tbDpT10_ENKUlT_T0_E_clISt17integral_constantIbLb0EES16_EEDaS11_S12_EUlS11_E_NS1_11comp_targetILNS1_3genE2ELNS1_11target_archE906ELNS1_3gpuE6ELNS1_3repE0EEENS1_30default_config_static_selectorELNS0_4arch9wavefront6targetE1EEEvT1_,"axG",@progbits,_ZN7rocprim17ROCPRIM_400000_NS6detail17trampoline_kernelINS0_14default_configENS1_25partition_config_selectorILNS1_17partition_subalgoE5EiNS0_10empty_typeEbEEZZNS1_14partition_implILS5_5ELb0ES3_mPiPS6_N6thrust23THRUST_200600_302600_NS18transform_iteratorIN6dUtils5isOneIiEES9_NSC_11use_defaultESH_EENS0_5tupleIJS9_S6_EEENSJ_IJSA_SA_EEES6_PlJS6_EEE10hipError_tPvRmT3_T4_T5_T6_T7_T9_mT8_P12ihipStream_tbDpT10_ENKUlT_T0_E_clISt17integral_constantIbLb0EES16_EEDaS11_S12_EUlS11_E_NS1_11comp_targetILNS1_3genE2ELNS1_11target_archE906ELNS1_3gpuE6ELNS1_3repE0EEENS1_30default_config_static_selectorELNS0_4arch9wavefront6targetE1EEEvT1_,comdat
	.protected	_ZN7rocprim17ROCPRIM_400000_NS6detail17trampoline_kernelINS0_14default_configENS1_25partition_config_selectorILNS1_17partition_subalgoE5EiNS0_10empty_typeEbEEZZNS1_14partition_implILS5_5ELb0ES3_mPiPS6_N6thrust23THRUST_200600_302600_NS18transform_iteratorIN6dUtils5isOneIiEES9_NSC_11use_defaultESH_EENS0_5tupleIJS9_S6_EEENSJ_IJSA_SA_EEES6_PlJS6_EEE10hipError_tPvRmT3_T4_T5_T6_T7_T9_mT8_P12ihipStream_tbDpT10_ENKUlT_T0_E_clISt17integral_constantIbLb0EES16_EEDaS11_S12_EUlS11_E_NS1_11comp_targetILNS1_3genE2ELNS1_11target_archE906ELNS1_3gpuE6ELNS1_3repE0EEENS1_30default_config_static_selectorELNS0_4arch9wavefront6targetE1EEEvT1_ ; -- Begin function _ZN7rocprim17ROCPRIM_400000_NS6detail17trampoline_kernelINS0_14default_configENS1_25partition_config_selectorILNS1_17partition_subalgoE5EiNS0_10empty_typeEbEEZZNS1_14partition_implILS5_5ELb0ES3_mPiPS6_N6thrust23THRUST_200600_302600_NS18transform_iteratorIN6dUtils5isOneIiEES9_NSC_11use_defaultESH_EENS0_5tupleIJS9_S6_EEENSJ_IJSA_SA_EEES6_PlJS6_EEE10hipError_tPvRmT3_T4_T5_T6_T7_T9_mT8_P12ihipStream_tbDpT10_ENKUlT_T0_E_clISt17integral_constantIbLb0EES16_EEDaS11_S12_EUlS11_E_NS1_11comp_targetILNS1_3genE2ELNS1_11target_archE906ELNS1_3gpuE6ELNS1_3repE0EEENS1_30default_config_static_selectorELNS0_4arch9wavefront6targetE1EEEvT1_
	.globl	_ZN7rocprim17ROCPRIM_400000_NS6detail17trampoline_kernelINS0_14default_configENS1_25partition_config_selectorILNS1_17partition_subalgoE5EiNS0_10empty_typeEbEEZZNS1_14partition_implILS5_5ELb0ES3_mPiPS6_N6thrust23THRUST_200600_302600_NS18transform_iteratorIN6dUtils5isOneIiEES9_NSC_11use_defaultESH_EENS0_5tupleIJS9_S6_EEENSJ_IJSA_SA_EEES6_PlJS6_EEE10hipError_tPvRmT3_T4_T5_T6_T7_T9_mT8_P12ihipStream_tbDpT10_ENKUlT_T0_E_clISt17integral_constantIbLb0EES16_EEDaS11_S12_EUlS11_E_NS1_11comp_targetILNS1_3genE2ELNS1_11target_archE906ELNS1_3gpuE6ELNS1_3repE0EEENS1_30default_config_static_selectorELNS0_4arch9wavefront6targetE1EEEvT1_
	.p2align	8
	.type	_ZN7rocprim17ROCPRIM_400000_NS6detail17trampoline_kernelINS0_14default_configENS1_25partition_config_selectorILNS1_17partition_subalgoE5EiNS0_10empty_typeEbEEZZNS1_14partition_implILS5_5ELb0ES3_mPiPS6_N6thrust23THRUST_200600_302600_NS18transform_iteratorIN6dUtils5isOneIiEES9_NSC_11use_defaultESH_EENS0_5tupleIJS9_S6_EEENSJ_IJSA_SA_EEES6_PlJS6_EEE10hipError_tPvRmT3_T4_T5_T6_T7_T9_mT8_P12ihipStream_tbDpT10_ENKUlT_T0_E_clISt17integral_constantIbLb0EES16_EEDaS11_S12_EUlS11_E_NS1_11comp_targetILNS1_3genE2ELNS1_11target_archE906ELNS1_3gpuE6ELNS1_3repE0EEENS1_30default_config_static_selectorELNS0_4arch9wavefront6targetE1EEEvT1_,@function
_ZN7rocprim17ROCPRIM_400000_NS6detail17trampoline_kernelINS0_14default_configENS1_25partition_config_selectorILNS1_17partition_subalgoE5EiNS0_10empty_typeEbEEZZNS1_14partition_implILS5_5ELb0ES3_mPiPS6_N6thrust23THRUST_200600_302600_NS18transform_iteratorIN6dUtils5isOneIiEES9_NSC_11use_defaultESH_EENS0_5tupleIJS9_S6_EEENSJ_IJSA_SA_EEES6_PlJS6_EEE10hipError_tPvRmT3_T4_T5_T6_T7_T9_mT8_P12ihipStream_tbDpT10_ENKUlT_T0_E_clISt17integral_constantIbLb0EES16_EEDaS11_S12_EUlS11_E_NS1_11comp_targetILNS1_3genE2ELNS1_11target_archE906ELNS1_3gpuE6ELNS1_3repE0EEENS1_30default_config_static_selectorELNS0_4arch9wavefront6targetE1EEEvT1_: ; @_ZN7rocprim17ROCPRIM_400000_NS6detail17trampoline_kernelINS0_14default_configENS1_25partition_config_selectorILNS1_17partition_subalgoE5EiNS0_10empty_typeEbEEZZNS1_14partition_implILS5_5ELb0ES3_mPiPS6_N6thrust23THRUST_200600_302600_NS18transform_iteratorIN6dUtils5isOneIiEES9_NSC_11use_defaultESH_EENS0_5tupleIJS9_S6_EEENSJ_IJSA_SA_EEES6_PlJS6_EEE10hipError_tPvRmT3_T4_T5_T6_T7_T9_mT8_P12ihipStream_tbDpT10_ENKUlT_T0_E_clISt17integral_constantIbLb0EES16_EEDaS11_S12_EUlS11_E_NS1_11comp_targetILNS1_3genE2ELNS1_11target_archE906ELNS1_3gpuE6ELNS1_3repE0EEENS1_30default_config_static_selectorELNS0_4arch9wavefront6targetE1EEEvT1_
; %bb.0:
	.section	.rodata,"a",@progbits
	.p2align	6, 0x0
	.amdhsa_kernel _ZN7rocprim17ROCPRIM_400000_NS6detail17trampoline_kernelINS0_14default_configENS1_25partition_config_selectorILNS1_17partition_subalgoE5EiNS0_10empty_typeEbEEZZNS1_14partition_implILS5_5ELb0ES3_mPiPS6_N6thrust23THRUST_200600_302600_NS18transform_iteratorIN6dUtils5isOneIiEES9_NSC_11use_defaultESH_EENS0_5tupleIJS9_S6_EEENSJ_IJSA_SA_EEES6_PlJS6_EEE10hipError_tPvRmT3_T4_T5_T6_T7_T9_mT8_P12ihipStream_tbDpT10_ENKUlT_T0_E_clISt17integral_constantIbLb0EES16_EEDaS11_S12_EUlS11_E_NS1_11comp_targetILNS1_3genE2ELNS1_11target_archE906ELNS1_3gpuE6ELNS1_3repE0EEENS1_30default_config_static_selectorELNS0_4arch9wavefront6targetE1EEEvT1_
		.amdhsa_group_segment_fixed_size 0
		.amdhsa_private_segment_fixed_size 0
		.amdhsa_kernarg_size 120
		.amdhsa_user_sgpr_count 6
		.amdhsa_user_sgpr_private_segment_buffer 1
		.amdhsa_user_sgpr_dispatch_ptr 0
		.amdhsa_user_sgpr_queue_ptr 0
		.amdhsa_user_sgpr_kernarg_segment_ptr 1
		.amdhsa_user_sgpr_dispatch_id 0
		.amdhsa_user_sgpr_flat_scratch_init 0
		.amdhsa_user_sgpr_kernarg_preload_length 0
		.amdhsa_user_sgpr_kernarg_preload_offset 0
		.amdhsa_user_sgpr_private_segment_size 0
		.amdhsa_uses_dynamic_stack 0
		.amdhsa_system_sgpr_private_segment_wavefront_offset 0
		.amdhsa_system_sgpr_workgroup_id_x 1
		.amdhsa_system_sgpr_workgroup_id_y 0
		.amdhsa_system_sgpr_workgroup_id_z 0
		.amdhsa_system_sgpr_workgroup_info 0
		.amdhsa_system_vgpr_workitem_id 0
		.amdhsa_next_free_vgpr 1
		.amdhsa_next_free_sgpr 0
		.amdhsa_accum_offset 4
		.amdhsa_reserve_vcc 0
		.amdhsa_reserve_flat_scratch 0
		.amdhsa_float_round_mode_32 0
		.amdhsa_float_round_mode_16_64 0
		.amdhsa_float_denorm_mode_32 3
		.amdhsa_float_denorm_mode_16_64 3
		.amdhsa_dx10_clamp 1
		.amdhsa_ieee_mode 1
		.amdhsa_fp16_overflow 0
		.amdhsa_tg_split 0
		.amdhsa_exception_fp_ieee_invalid_op 0
		.amdhsa_exception_fp_denorm_src 0
		.amdhsa_exception_fp_ieee_div_zero 0
		.amdhsa_exception_fp_ieee_overflow 0
		.amdhsa_exception_fp_ieee_underflow 0
		.amdhsa_exception_fp_ieee_inexact 0
		.amdhsa_exception_int_div_zero 0
	.end_amdhsa_kernel
	.section	.text._ZN7rocprim17ROCPRIM_400000_NS6detail17trampoline_kernelINS0_14default_configENS1_25partition_config_selectorILNS1_17partition_subalgoE5EiNS0_10empty_typeEbEEZZNS1_14partition_implILS5_5ELb0ES3_mPiPS6_N6thrust23THRUST_200600_302600_NS18transform_iteratorIN6dUtils5isOneIiEES9_NSC_11use_defaultESH_EENS0_5tupleIJS9_S6_EEENSJ_IJSA_SA_EEES6_PlJS6_EEE10hipError_tPvRmT3_T4_T5_T6_T7_T9_mT8_P12ihipStream_tbDpT10_ENKUlT_T0_E_clISt17integral_constantIbLb0EES16_EEDaS11_S12_EUlS11_E_NS1_11comp_targetILNS1_3genE2ELNS1_11target_archE906ELNS1_3gpuE6ELNS1_3repE0EEENS1_30default_config_static_selectorELNS0_4arch9wavefront6targetE1EEEvT1_,"axG",@progbits,_ZN7rocprim17ROCPRIM_400000_NS6detail17trampoline_kernelINS0_14default_configENS1_25partition_config_selectorILNS1_17partition_subalgoE5EiNS0_10empty_typeEbEEZZNS1_14partition_implILS5_5ELb0ES3_mPiPS6_N6thrust23THRUST_200600_302600_NS18transform_iteratorIN6dUtils5isOneIiEES9_NSC_11use_defaultESH_EENS0_5tupleIJS9_S6_EEENSJ_IJSA_SA_EEES6_PlJS6_EEE10hipError_tPvRmT3_T4_T5_T6_T7_T9_mT8_P12ihipStream_tbDpT10_ENKUlT_T0_E_clISt17integral_constantIbLb0EES16_EEDaS11_S12_EUlS11_E_NS1_11comp_targetILNS1_3genE2ELNS1_11target_archE906ELNS1_3gpuE6ELNS1_3repE0EEENS1_30default_config_static_selectorELNS0_4arch9wavefront6targetE1EEEvT1_,comdat
.Lfunc_end152:
	.size	_ZN7rocprim17ROCPRIM_400000_NS6detail17trampoline_kernelINS0_14default_configENS1_25partition_config_selectorILNS1_17partition_subalgoE5EiNS0_10empty_typeEbEEZZNS1_14partition_implILS5_5ELb0ES3_mPiPS6_N6thrust23THRUST_200600_302600_NS18transform_iteratorIN6dUtils5isOneIiEES9_NSC_11use_defaultESH_EENS0_5tupleIJS9_S6_EEENSJ_IJSA_SA_EEES6_PlJS6_EEE10hipError_tPvRmT3_T4_T5_T6_T7_T9_mT8_P12ihipStream_tbDpT10_ENKUlT_T0_E_clISt17integral_constantIbLb0EES16_EEDaS11_S12_EUlS11_E_NS1_11comp_targetILNS1_3genE2ELNS1_11target_archE906ELNS1_3gpuE6ELNS1_3repE0EEENS1_30default_config_static_selectorELNS0_4arch9wavefront6targetE1EEEvT1_, .Lfunc_end152-_ZN7rocprim17ROCPRIM_400000_NS6detail17trampoline_kernelINS0_14default_configENS1_25partition_config_selectorILNS1_17partition_subalgoE5EiNS0_10empty_typeEbEEZZNS1_14partition_implILS5_5ELb0ES3_mPiPS6_N6thrust23THRUST_200600_302600_NS18transform_iteratorIN6dUtils5isOneIiEES9_NSC_11use_defaultESH_EENS0_5tupleIJS9_S6_EEENSJ_IJSA_SA_EEES6_PlJS6_EEE10hipError_tPvRmT3_T4_T5_T6_T7_T9_mT8_P12ihipStream_tbDpT10_ENKUlT_T0_E_clISt17integral_constantIbLb0EES16_EEDaS11_S12_EUlS11_E_NS1_11comp_targetILNS1_3genE2ELNS1_11target_archE906ELNS1_3gpuE6ELNS1_3repE0EEENS1_30default_config_static_selectorELNS0_4arch9wavefront6targetE1EEEvT1_
                                        ; -- End function
	.section	.AMDGPU.csdata,"",@progbits
; Kernel info:
; codeLenInByte = 0
; NumSgprs: 4
; NumVgprs: 0
; NumAgprs: 0
; TotalNumVgprs: 0
; ScratchSize: 0
; MemoryBound: 0
; FloatMode: 240
; IeeeMode: 1
; LDSByteSize: 0 bytes/workgroup (compile time only)
; SGPRBlocks: 0
; VGPRBlocks: 0
; NumSGPRsForWavesPerEU: 4
; NumVGPRsForWavesPerEU: 1
; AccumOffset: 4
; Occupancy: 8
; WaveLimiterHint : 0
; COMPUTE_PGM_RSRC2:SCRATCH_EN: 0
; COMPUTE_PGM_RSRC2:USER_SGPR: 6
; COMPUTE_PGM_RSRC2:TRAP_HANDLER: 0
; COMPUTE_PGM_RSRC2:TGID_X_EN: 1
; COMPUTE_PGM_RSRC2:TGID_Y_EN: 0
; COMPUTE_PGM_RSRC2:TGID_Z_EN: 0
; COMPUTE_PGM_RSRC2:TIDIG_COMP_CNT: 0
; COMPUTE_PGM_RSRC3_GFX90A:ACCUM_OFFSET: 0
; COMPUTE_PGM_RSRC3_GFX90A:TG_SPLIT: 0
	.section	.text._ZN7rocprim17ROCPRIM_400000_NS6detail17trampoline_kernelINS0_14default_configENS1_25partition_config_selectorILNS1_17partition_subalgoE5EiNS0_10empty_typeEbEEZZNS1_14partition_implILS5_5ELb0ES3_mPiPS6_N6thrust23THRUST_200600_302600_NS18transform_iteratorIN6dUtils5isOneIiEES9_NSC_11use_defaultESH_EENS0_5tupleIJS9_S6_EEENSJ_IJSA_SA_EEES6_PlJS6_EEE10hipError_tPvRmT3_T4_T5_T6_T7_T9_mT8_P12ihipStream_tbDpT10_ENKUlT_T0_E_clISt17integral_constantIbLb0EES16_EEDaS11_S12_EUlS11_E_NS1_11comp_targetILNS1_3genE10ELNS1_11target_archE1200ELNS1_3gpuE4ELNS1_3repE0EEENS1_30default_config_static_selectorELNS0_4arch9wavefront6targetE1EEEvT1_,"axG",@progbits,_ZN7rocprim17ROCPRIM_400000_NS6detail17trampoline_kernelINS0_14default_configENS1_25partition_config_selectorILNS1_17partition_subalgoE5EiNS0_10empty_typeEbEEZZNS1_14partition_implILS5_5ELb0ES3_mPiPS6_N6thrust23THRUST_200600_302600_NS18transform_iteratorIN6dUtils5isOneIiEES9_NSC_11use_defaultESH_EENS0_5tupleIJS9_S6_EEENSJ_IJSA_SA_EEES6_PlJS6_EEE10hipError_tPvRmT3_T4_T5_T6_T7_T9_mT8_P12ihipStream_tbDpT10_ENKUlT_T0_E_clISt17integral_constantIbLb0EES16_EEDaS11_S12_EUlS11_E_NS1_11comp_targetILNS1_3genE10ELNS1_11target_archE1200ELNS1_3gpuE4ELNS1_3repE0EEENS1_30default_config_static_selectorELNS0_4arch9wavefront6targetE1EEEvT1_,comdat
	.protected	_ZN7rocprim17ROCPRIM_400000_NS6detail17trampoline_kernelINS0_14default_configENS1_25partition_config_selectorILNS1_17partition_subalgoE5EiNS0_10empty_typeEbEEZZNS1_14partition_implILS5_5ELb0ES3_mPiPS6_N6thrust23THRUST_200600_302600_NS18transform_iteratorIN6dUtils5isOneIiEES9_NSC_11use_defaultESH_EENS0_5tupleIJS9_S6_EEENSJ_IJSA_SA_EEES6_PlJS6_EEE10hipError_tPvRmT3_T4_T5_T6_T7_T9_mT8_P12ihipStream_tbDpT10_ENKUlT_T0_E_clISt17integral_constantIbLb0EES16_EEDaS11_S12_EUlS11_E_NS1_11comp_targetILNS1_3genE10ELNS1_11target_archE1200ELNS1_3gpuE4ELNS1_3repE0EEENS1_30default_config_static_selectorELNS0_4arch9wavefront6targetE1EEEvT1_ ; -- Begin function _ZN7rocprim17ROCPRIM_400000_NS6detail17trampoline_kernelINS0_14default_configENS1_25partition_config_selectorILNS1_17partition_subalgoE5EiNS0_10empty_typeEbEEZZNS1_14partition_implILS5_5ELb0ES3_mPiPS6_N6thrust23THRUST_200600_302600_NS18transform_iteratorIN6dUtils5isOneIiEES9_NSC_11use_defaultESH_EENS0_5tupleIJS9_S6_EEENSJ_IJSA_SA_EEES6_PlJS6_EEE10hipError_tPvRmT3_T4_T5_T6_T7_T9_mT8_P12ihipStream_tbDpT10_ENKUlT_T0_E_clISt17integral_constantIbLb0EES16_EEDaS11_S12_EUlS11_E_NS1_11comp_targetILNS1_3genE10ELNS1_11target_archE1200ELNS1_3gpuE4ELNS1_3repE0EEENS1_30default_config_static_selectorELNS0_4arch9wavefront6targetE1EEEvT1_
	.globl	_ZN7rocprim17ROCPRIM_400000_NS6detail17trampoline_kernelINS0_14default_configENS1_25partition_config_selectorILNS1_17partition_subalgoE5EiNS0_10empty_typeEbEEZZNS1_14partition_implILS5_5ELb0ES3_mPiPS6_N6thrust23THRUST_200600_302600_NS18transform_iteratorIN6dUtils5isOneIiEES9_NSC_11use_defaultESH_EENS0_5tupleIJS9_S6_EEENSJ_IJSA_SA_EEES6_PlJS6_EEE10hipError_tPvRmT3_T4_T5_T6_T7_T9_mT8_P12ihipStream_tbDpT10_ENKUlT_T0_E_clISt17integral_constantIbLb0EES16_EEDaS11_S12_EUlS11_E_NS1_11comp_targetILNS1_3genE10ELNS1_11target_archE1200ELNS1_3gpuE4ELNS1_3repE0EEENS1_30default_config_static_selectorELNS0_4arch9wavefront6targetE1EEEvT1_
	.p2align	8
	.type	_ZN7rocprim17ROCPRIM_400000_NS6detail17trampoline_kernelINS0_14default_configENS1_25partition_config_selectorILNS1_17partition_subalgoE5EiNS0_10empty_typeEbEEZZNS1_14partition_implILS5_5ELb0ES3_mPiPS6_N6thrust23THRUST_200600_302600_NS18transform_iteratorIN6dUtils5isOneIiEES9_NSC_11use_defaultESH_EENS0_5tupleIJS9_S6_EEENSJ_IJSA_SA_EEES6_PlJS6_EEE10hipError_tPvRmT3_T4_T5_T6_T7_T9_mT8_P12ihipStream_tbDpT10_ENKUlT_T0_E_clISt17integral_constantIbLb0EES16_EEDaS11_S12_EUlS11_E_NS1_11comp_targetILNS1_3genE10ELNS1_11target_archE1200ELNS1_3gpuE4ELNS1_3repE0EEENS1_30default_config_static_selectorELNS0_4arch9wavefront6targetE1EEEvT1_,@function
_ZN7rocprim17ROCPRIM_400000_NS6detail17trampoline_kernelINS0_14default_configENS1_25partition_config_selectorILNS1_17partition_subalgoE5EiNS0_10empty_typeEbEEZZNS1_14partition_implILS5_5ELb0ES3_mPiPS6_N6thrust23THRUST_200600_302600_NS18transform_iteratorIN6dUtils5isOneIiEES9_NSC_11use_defaultESH_EENS0_5tupleIJS9_S6_EEENSJ_IJSA_SA_EEES6_PlJS6_EEE10hipError_tPvRmT3_T4_T5_T6_T7_T9_mT8_P12ihipStream_tbDpT10_ENKUlT_T0_E_clISt17integral_constantIbLb0EES16_EEDaS11_S12_EUlS11_E_NS1_11comp_targetILNS1_3genE10ELNS1_11target_archE1200ELNS1_3gpuE4ELNS1_3repE0EEENS1_30default_config_static_selectorELNS0_4arch9wavefront6targetE1EEEvT1_: ; @_ZN7rocprim17ROCPRIM_400000_NS6detail17trampoline_kernelINS0_14default_configENS1_25partition_config_selectorILNS1_17partition_subalgoE5EiNS0_10empty_typeEbEEZZNS1_14partition_implILS5_5ELb0ES3_mPiPS6_N6thrust23THRUST_200600_302600_NS18transform_iteratorIN6dUtils5isOneIiEES9_NSC_11use_defaultESH_EENS0_5tupleIJS9_S6_EEENSJ_IJSA_SA_EEES6_PlJS6_EEE10hipError_tPvRmT3_T4_T5_T6_T7_T9_mT8_P12ihipStream_tbDpT10_ENKUlT_T0_E_clISt17integral_constantIbLb0EES16_EEDaS11_S12_EUlS11_E_NS1_11comp_targetILNS1_3genE10ELNS1_11target_archE1200ELNS1_3gpuE4ELNS1_3repE0EEENS1_30default_config_static_selectorELNS0_4arch9wavefront6targetE1EEEvT1_
; %bb.0:
	.section	.rodata,"a",@progbits
	.p2align	6, 0x0
	.amdhsa_kernel _ZN7rocprim17ROCPRIM_400000_NS6detail17trampoline_kernelINS0_14default_configENS1_25partition_config_selectorILNS1_17partition_subalgoE5EiNS0_10empty_typeEbEEZZNS1_14partition_implILS5_5ELb0ES3_mPiPS6_N6thrust23THRUST_200600_302600_NS18transform_iteratorIN6dUtils5isOneIiEES9_NSC_11use_defaultESH_EENS0_5tupleIJS9_S6_EEENSJ_IJSA_SA_EEES6_PlJS6_EEE10hipError_tPvRmT3_T4_T5_T6_T7_T9_mT8_P12ihipStream_tbDpT10_ENKUlT_T0_E_clISt17integral_constantIbLb0EES16_EEDaS11_S12_EUlS11_E_NS1_11comp_targetILNS1_3genE10ELNS1_11target_archE1200ELNS1_3gpuE4ELNS1_3repE0EEENS1_30default_config_static_selectorELNS0_4arch9wavefront6targetE1EEEvT1_
		.amdhsa_group_segment_fixed_size 0
		.amdhsa_private_segment_fixed_size 0
		.amdhsa_kernarg_size 120
		.amdhsa_user_sgpr_count 6
		.amdhsa_user_sgpr_private_segment_buffer 1
		.amdhsa_user_sgpr_dispatch_ptr 0
		.amdhsa_user_sgpr_queue_ptr 0
		.amdhsa_user_sgpr_kernarg_segment_ptr 1
		.amdhsa_user_sgpr_dispatch_id 0
		.amdhsa_user_sgpr_flat_scratch_init 0
		.amdhsa_user_sgpr_kernarg_preload_length 0
		.amdhsa_user_sgpr_kernarg_preload_offset 0
		.amdhsa_user_sgpr_private_segment_size 0
		.amdhsa_uses_dynamic_stack 0
		.amdhsa_system_sgpr_private_segment_wavefront_offset 0
		.amdhsa_system_sgpr_workgroup_id_x 1
		.amdhsa_system_sgpr_workgroup_id_y 0
		.amdhsa_system_sgpr_workgroup_id_z 0
		.amdhsa_system_sgpr_workgroup_info 0
		.amdhsa_system_vgpr_workitem_id 0
		.amdhsa_next_free_vgpr 1
		.amdhsa_next_free_sgpr 0
		.amdhsa_accum_offset 4
		.amdhsa_reserve_vcc 0
		.amdhsa_reserve_flat_scratch 0
		.amdhsa_float_round_mode_32 0
		.amdhsa_float_round_mode_16_64 0
		.amdhsa_float_denorm_mode_32 3
		.amdhsa_float_denorm_mode_16_64 3
		.amdhsa_dx10_clamp 1
		.amdhsa_ieee_mode 1
		.amdhsa_fp16_overflow 0
		.amdhsa_tg_split 0
		.amdhsa_exception_fp_ieee_invalid_op 0
		.amdhsa_exception_fp_denorm_src 0
		.amdhsa_exception_fp_ieee_div_zero 0
		.amdhsa_exception_fp_ieee_overflow 0
		.amdhsa_exception_fp_ieee_underflow 0
		.amdhsa_exception_fp_ieee_inexact 0
		.amdhsa_exception_int_div_zero 0
	.end_amdhsa_kernel
	.section	.text._ZN7rocprim17ROCPRIM_400000_NS6detail17trampoline_kernelINS0_14default_configENS1_25partition_config_selectorILNS1_17partition_subalgoE5EiNS0_10empty_typeEbEEZZNS1_14partition_implILS5_5ELb0ES3_mPiPS6_N6thrust23THRUST_200600_302600_NS18transform_iteratorIN6dUtils5isOneIiEES9_NSC_11use_defaultESH_EENS0_5tupleIJS9_S6_EEENSJ_IJSA_SA_EEES6_PlJS6_EEE10hipError_tPvRmT3_T4_T5_T6_T7_T9_mT8_P12ihipStream_tbDpT10_ENKUlT_T0_E_clISt17integral_constantIbLb0EES16_EEDaS11_S12_EUlS11_E_NS1_11comp_targetILNS1_3genE10ELNS1_11target_archE1200ELNS1_3gpuE4ELNS1_3repE0EEENS1_30default_config_static_selectorELNS0_4arch9wavefront6targetE1EEEvT1_,"axG",@progbits,_ZN7rocprim17ROCPRIM_400000_NS6detail17trampoline_kernelINS0_14default_configENS1_25partition_config_selectorILNS1_17partition_subalgoE5EiNS0_10empty_typeEbEEZZNS1_14partition_implILS5_5ELb0ES3_mPiPS6_N6thrust23THRUST_200600_302600_NS18transform_iteratorIN6dUtils5isOneIiEES9_NSC_11use_defaultESH_EENS0_5tupleIJS9_S6_EEENSJ_IJSA_SA_EEES6_PlJS6_EEE10hipError_tPvRmT3_T4_T5_T6_T7_T9_mT8_P12ihipStream_tbDpT10_ENKUlT_T0_E_clISt17integral_constantIbLb0EES16_EEDaS11_S12_EUlS11_E_NS1_11comp_targetILNS1_3genE10ELNS1_11target_archE1200ELNS1_3gpuE4ELNS1_3repE0EEENS1_30default_config_static_selectorELNS0_4arch9wavefront6targetE1EEEvT1_,comdat
.Lfunc_end153:
	.size	_ZN7rocprim17ROCPRIM_400000_NS6detail17trampoline_kernelINS0_14default_configENS1_25partition_config_selectorILNS1_17partition_subalgoE5EiNS0_10empty_typeEbEEZZNS1_14partition_implILS5_5ELb0ES3_mPiPS6_N6thrust23THRUST_200600_302600_NS18transform_iteratorIN6dUtils5isOneIiEES9_NSC_11use_defaultESH_EENS0_5tupleIJS9_S6_EEENSJ_IJSA_SA_EEES6_PlJS6_EEE10hipError_tPvRmT3_T4_T5_T6_T7_T9_mT8_P12ihipStream_tbDpT10_ENKUlT_T0_E_clISt17integral_constantIbLb0EES16_EEDaS11_S12_EUlS11_E_NS1_11comp_targetILNS1_3genE10ELNS1_11target_archE1200ELNS1_3gpuE4ELNS1_3repE0EEENS1_30default_config_static_selectorELNS0_4arch9wavefront6targetE1EEEvT1_, .Lfunc_end153-_ZN7rocprim17ROCPRIM_400000_NS6detail17trampoline_kernelINS0_14default_configENS1_25partition_config_selectorILNS1_17partition_subalgoE5EiNS0_10empty_typeEbEEZZNS1_14partition_implILS5_5ELb0ES3_mPiPS6_N6thrust23THRUST_200600_302600_NS18transform_iteratorIN6dUtils5isOneIiEES9_NSC_11use_defaultESH_EENS0_5tupleIJS9_S6_EEENSJ_IJSA_SA_EEES6_PlJS6_EEE10hipError_tPvRmT3_T4_T5_T6_T7_T9_mT8_P12ihipStream_tbDpT10_ENKUlT_T0_E_clISt17integral_constantIbLb0EES16_EEDaS11_S12_EUlS11_E_NS1_11comp_targetILNS1_3genE10ELNS1_11target_archE1200ELNS1_3gpuE4ELNS1_3repE0EEENS1_30default_config_static_selectorELNS0_4arch9wavefront6targetE1EEEvT1_
                                        ; -- End function
	.section	.AMDGPU.csdata,"",@progbits
; Kernel info:
; codeLenInByte = 0
; NumSgprs: 4
; NumVgprs: 0
; NumAgprs: 0
; TotalNumVgprs: 0
; ScratchSize: 0
; MemoryBound: 0
; FloatMode: 240
; IeeeMode: 1
; LDSByteSize: 0 bytes/workgroup (compile time only)
; SGPRBlocks: 0
; VGPRBlocks: 0
; NumSGPRsForWavesPerEU: 4
; NumVGPRsForWavesPerEU: 1
; AccumOffset: 4
; Occupancy: 8
; WaveLimiterHint : 0
; COMPUTE_PGM_RSRC2:SCRATCH_EN: 0
; COMPUTE_PGM_RSRC2:USER_SGPR: 6
; COMPUTE_PGM_RSRC2:TRAP_HANDLER: 0
; COMPUTE_PGM_RSRC2:TGID_X_EN: 1
; COMPUTE_PGM_RSRC2:TGID_Y_EN: 0
; COMPUTE_PGM_RSRC2:TGID_Z_EN: 0
; COMPUTE_PGM_RSRC2:TIDIG_COMP_CNT: 0
; COMPUTE_PGM_RSRC3_GFX90A:ACCUM_OFFSET: 0
; COMPUTE_PGM_RSRC3_GFX90A:TG_SPLIT: 0
	.section	.text._ZN7rocprim17ROCPRIM_400000_NS6detail17trampoline_kernelINS0_14default_configENS1_25partition_config_selectorILNS1_17partition_subalgoE5EiNS0_10empty_typeEbEEZZNS1_14partition_implILS5_5ELb0ES3_mPiPS6_N6thrust23THRUST_200600_302600_NS18transform_iteratorIN6dUtils5isOneIiEES9_NSC_11use_defaultESH_EENS0_5tupleIJS9_S6_EEENSJ_IJSA_SA_EEES6_PlJS6_EEE10hipError_tPvRmT3_T4_T5_T6_T7_T9_mT8_P12ihipStream_tbDpT10_ENKUlT_T0_E_clISt17integral_constantIbLb0EES16_EEDaS11_S12_EUlS11_E_NS1_11comp_targetILNS1_3genE9ELNS1_11target_archE1100ELNS1_3gpuE3ELNS1_3repE0EEENS1_30default_config_static_selectorELNS0_4arch9wavefront6targetE1EEEvT1_,"axG",@progbits,_ZN7rocprim17ROCPRIM_400000_NS6detail17trampoline_kernelINS0_14default_configENS1_25partition_config_selectorILNS1_17partition_subalgoE5EiNS0_10empty_typeEbEEZZNS1_14partition_implILS5_5ELb0ES3_mPiPS6_N6thrust23THRUST_200600_302600_NS18transform_iteratorIN6dUtils5isOneIiEES9_NSC_11use_defaultESH_EENS0_5tupleIJS9_S6_EEENSJ_IJSA_SA_EEES6_PlJS6_EEE10hipError_tPvRmT3_T4_T5_T6_T7_T9_mT8_P12ihipStream_tbDpT10_ENKUlT_T0_E_clISt17integral_constantIbLb0EES16_EEDaS11_S12_EUlS11_E_NS1_11comp_targetILNS1_3genE9ELNS1_11target_archE1100ELNS1_3gpuE3ELNS1_3repE0EEENS1_30default_config_static_selectorELNS0_4arch9wavefront6targetE1EEEvT1_,comdat
	.protected	_ZN7rocprim17ROCPRIM_400000_NS6detail17trampoline_kernelINS0_14default_configENS1_25partition_config_selectorILNS1_17partition_subalgoE5EiNS0_10empty_typeEbEEZZNS1_14partition_implILS5_5ELb0ES3_mPiPS6_N6thrust23THRUST_200600_302600_NS18transform_iteratorIN6dUtils5isOneIiEES9_NSC_11use_defaultESH_EENS0_5tupleIJS9_S6_EEENSJ_IJSA_SA_EEES6_PlJS6_EEE10hipError_tPvRmT3_T4_T5_T6_T7_T9_mT8_P12ihipStream_tbDpT10_ENKUlT_T0_E_clISt17integral_constantIbLb0EES16_EEDaS11_S12_EUlS11_E_NS1_11comp_targetILNS1_3genE9ELNS1_11target_archE1100ELNS1_3gpuE3ELNS1_3repE0EEENS1_30default_config_static_selectorELNS0_4arch9wavefront6targetE1EEEvT1_ ; -- Begin function _ZN7rocprim17ROCPRIM_400000_NS6detail17trampoline_kernelINS0_14default_configENS1_25partition_config_selectorILNS1_17partition_subalgoE5EiNS0_10empty_typeEbEEZZNS1_14partition_implILS5_5ELb0ES3_mPiPS6_N6thrust23THRUST_200600_302600_NS18transform_iteratorIN6dUtils5isOneIiEES9_NSC_11use_defaultESH_EENS0_5tupleIJS9_S6_EEENSJ_IJSA_SA_EEES6_PlJS6_EEE10hipError_tPvRmT3_T4_T5_T6_T7_T9_mT8_P12ihipStream_tbDpT10_ENKUlT_T0_E_clISt17integral_constantIbLb0EES16_EEDaS11_S12_EUlS11_E_NS1_11comp_targetILNS1_3genE9ELNS1_11target_archE1100ELNS1_3gpuE3ELNS1_3repE0EEENS1_30default_config_static_selectorELNS0_4arch9wavefront6targetE1EEEvT1_
	.globl	_ZN7rocprim17ROCPRIM_400000_NS6detail17trampoline_kernelINS0_14default_configENS1_25partition_config_selectorILNS1_17partition_subalgoE5EiNS0_10empty_typeEbEEZZNS1_14partition_implILS5_5ELb0ES3_mPiPS6_N6thrust23THRUST_200600_302600_NS18transform_iteratorIN6dUtils5isOneIiEES9_NSC_11use_defaultESH_EENS0_5tupleIJS9_S6_EEENSJ_IJSA_SA_EEES6_PlJS6_EEE10hipError_tPvRmT3_T4_T5_T6_T7_T9_mT8_P12ihipStream_tbDpT10_ENKUlT_T0_E_clISt17integral_constantIbLb0EES16_EEDaS11_S12_EUlS11_E_NS1_11comp_targetILNS1_3genE9ELNS1_11target_archE1100ELNS1_3gpuE3ELNS1_3repE0EEENS1_30default_config_static_selectorELNS0_4arch9wavefront6targetE1EEEvT1_
	.p2align	8
	.type	_ZN7rocprim17ROCPRIM_400000_NS6detail17trampoline_kernelINS0_14default_configENS1_25partition_config_selectorILNS1_17partition_subalgoE5EiNS0_10empty_typeEbEEZZNS1_14partition_implILS5_5ELb0ES3_mPiPS6_N6thrust23THRUST_200600_302600_NS18transform_iteratorIN6dUtils5isOneIiEES9_NSC_11use_defaultESH_EENS0_5tupleIJS9_S6_EEENSJ_IJSA_SA_EEES6_PlJS6_EEE10hipError_tPvRmT3_T4_T5_T6_T7_T9_mT8_P12ihipStream_tbDpT10_ENKUlT_T0_E_clISt17integral_constantIbLb0EES16_EEDaS11_S12_EUlS11_E_NS1_11comp_targetILNS1_3genE9ELNS1_11target_archE1100ELNS1_3gpuE3ELNS1_3repE0EEENS1_30default_config_static_selectorELNS0_4arch9wavefront6targetE1EEEvT1_,@function
_ZN7rocprim17ROCPRIM_400000_NS6detail17trampoline_kernelINS0_14default_configENS1_25partition_config_selectorILNS1_17partition_subalgoE5EiNS0_10empty_typeEbEEZZNS1_14partition_implILS5_5ELb0ES3_mPiPS6_N6thrust23THRUST_200600_302600_NS18transform_iteratorIN6dUtils5isOneIiEES9_NSC_11use_defaultESH_EENS0_5tupleIJS9_S6_EEENSJ_IJSA_SA_EEES6_PlJS6_EEE10hipError_tPvRmT3_T4_T5_T6_T7_T9_mT8_P12ihipStream_tbDpT10_ENKUlT_T0_E_clISt17integral_constantIbLb0EES16_EEDaS11_S12_EUlS11_E_NS1_11comp_targetILNS1_3genE9ELNS1_11target_archE1100ELNS1_3gpuE3ELNS1_3repE0EEENS1_30default_config_static_selectorELNS0_4arch9wavefront6targetE1EEEvT1_: ; @_ZN7rocprim17ROCPRIM_400000_NS6detail17trampoline_kernelINS0_14default_configENS1_25partition_config_selectorILNS1_17partition_subalgoE5EiNS0_10empty_typeEbEEZZNS1_14partition_implILS5_5ELb0ES3_mPiPS6_N6thrust23THRUST_200600_302600_NS18transform_iteratorIN6dUtils5isOneIiEES9_NSC_11use_defaultESH_EENS0_5tupleIJS9_S6_EEENSJ_IJSA_SA_EEES6_PlJS6_EEE10hipError_tPvRmT3_T4_T5_T6_T7_T9_mT8_P12ihipStream_tbDpT10_ENKUlT_T0_E_clISt17integral_constantIbLb0EES16_EEDaS11_S12_EUlS11_E_NS1_11comp_targetILNS1_3genE9ELNS1_11target_archE1100ELNS1_3gpuE3ELNS1_3repE0EEENS1_30default_config_static_selectorELNS0_4arch9wavefront6targetE1EEEvT1_
; %bb.0:
	.section	.rodata,"a",@progbits
	.p2align	6, 0x0
	.amdhsa_kernel _ZN7rocprim17ROCPRIM_400000_NS6detail17trampoline_kernelINS0_14default_configENS1_25partition_config_selectorILNS1_17partition_subalgoE5EiNS0_10empty_typeEbEEZZNS1_14partition_implILS5_5ELb0ES3_mPiPS6_N6thrust23THRUST_200600_302600_NS18transform_iteratorIN6dUtils5isOneIiEES9_NSC_11use_defaultESH_EENS0_5tupleIJS9_S6_EEENSJ_IJSA_SA_EEES6_PlJS6_EEE10hipError_tPvRmT3_T4_T5_T6_T7_T9_mT8_P12ihipStream_tbDpT10_ENKUlT_T0_E_clISt17integral_constantIbLb0EES16_EEDaS11_S12_EUlS11_E_NS1_11comp_targetILNS1_3genE9ELNS1_11target_archE1100ELNS1_3gpuE3ELNS1_3repE0EEENS1_30default_config_static_selectorELNS0_4arch9wavefront6targetE1EEEvT1_
		.amdhsa_group_segment_fixed_size 0
		.amdhsa_private_segment_fixed_size 0
		.amdhsa_kernarg_size 120
		.amdhsa_user_sgpr_count 6
		.amdhsa_user_sgpr_private_segment_buffer 1
		.amdhsa_user_sgpr_dispatch_ptr 0
		.amdhsa_user_sgpr_queue_ptr 0
		.amdhsa_user_sgpr_kernarg_segment_ptr 1
		.amdhsa_user_sgpr_dispatch_id 0
		.amdhsa_user_sgpr_flat_scratch_init 0
		.amdhsa_user_sgpr_kernarg_preload_length 0
		.amdhsa_user_sgpr_kernarg_preload_offset 0
		.amdhsa_user_sgpr_private_segment_size 0
		.amdhsa_uses_dynamic_stack 0
		.amdhsa_system_sgpr_private_segment_wavefront_offset 0
		.amdhsa_system_sgpr_workgroup_id_x 1
		.amdhsa_system_sgpr_workgroup_id_y 0
		.amdhsa_system_sgpr_workgroup_id_z 0
		.amdhsa_system_sgpr_workgroup_info 0
		.amdhsa_system_vgpr_workitem_id 0
		.amdhsa_next_free_vgpr 1
		.amdhsa_next_free_sgpr 0
		.amdhsa_accum_offset 4
		.amdhsa_reserve_vcc 0
		.amdhsa_reserve_flat_scratch 0
		.amdhsa_float_round_mode_32 0
		.amdhsa_float_round_mode_16_64 0
		.amdhsa_float_denorm_mode_32 3
		.amdhsa_float_denorm_mode_16_64 3
		.amdhsa_dx10_clamp 1
		.amdhsa_ieee_mode 1
		.amdhsa_fp16_overflow 0
		.amdhsa_tg_split 0
		.amdhsa_exception_fp_ieee_invalid_op 0
		.amdhsa_exception_fp_denorm_src 0
		.amdhsa_exception_fp_ieee_div_zero 0
		.amdhsa_exception_fp_ieee_overflow 0
		.amdhsa_exception_fp_ieee_underflow 0
		.amdhsa_exception_fp_ieee_inexact 0
		.amdhsa_exception_int_div_zero 0
	.end_amdhsa_kernel
	.section	.text._ZN7rocprim17ROCPRIM_400000_NS6detail17trampoline_kernelINS0_14default_configENS1_25partition_config_selectorILNS1_17partition_subalgoE5EiNS0_10empty_typeEbEEZZNS1_14partition_implILS5_5ELb0ES3_mPiPS6_N6thrust23THRUST_200600_302600_NS18transform_iteratorIN6dUtils5isOneIiEES9_NSC_11use_defaultESH_EENS0_5tupleIJS9_S6_EEENSJ_IJSA_SA_EEES6_PlJS6_EEE10hipError_tPvRmT3_T4_T5_T6_T7_T9_mT8_P12ihipStream_tbDpT10_ENKUlT_T0_E_clISt17integral_constantIbLb0EES16_EEDaS11_S12_EUlS11_E_NS1_11comp_targetILNS1_3genE9ELNS1_11target_archE1100ELNS1_3gpuE3ELNS1_3repE0EEENS1_30default_config_static_selectorELNS0_4arch9wavefront6targetE1EEEvT1_,"axG",@progbits,_ZN7rocprim17ROCPRIM_400000_NS6detail17trampoline_kernelINS0_14default_configENS1_25partition_config_selectorILNS1_17partition_subalgoE5EiNS0_10empty_typeEbEEZZNS1_14partition_implILS5_5ELb0ES3_mPiPS6_N6thrust23THRUST_200600_302600_NS18transform_iteratorIN6dUtils5isOneIiEES9_NSC_11use_defaultESH_EENS0_5tupleIJS9_S6_EEENSJ_IJSA_SA_EEES6_PlJS6_EEE10hipError_tPvRmT3_T4_T5_T6_T7_T9_mT8_P12ihipStream_tbDpT10_ENKUlT_T0_E_clISt17integral_constantIbLb0EES16_EEDaS11_S12_EUlS11_E_NS1_11comp_targetILNS1_3genE9ELNS1_11target_archE1100ELNS1_3gpuE3ELNS1_3repE0EEENS1_30default_config_static_selectorELNS0_4arch9wavefront6targetE1EEEvT1_,comdat
.Lfunc_end154:
	.size	_ZN7rocprim17ROCPRIM_400000_NS6detail17trampoline_kernelINS0_14default_configENS1_25partition_config_selectorILNS1_17partition_subalgoE5EiNS0_10empty_typeEbEEZZNS1_14partition_implILS5_5ELb0ES3_mPiPS6_N6thrust23THRUST_200600_302600_NS18transform_iteratorIN6dUtils5isOneIiEES9_NSC_11use_defaultESH_EENS0_5tupleIJS9_S6_EEENSJ_IJSA_SA_EEES6_PlJS6_EEE10hipError_tPvRmT3_T4_T5_T6_T7_T9_mT8_P12ihipStream_tbDpT10_ENKUlT_T0_E_clISt17integral_constantIbLb0EES16_EEDaS11_S12_EUlS11_E_NS1_11comp_targetILNS1_3genE9ELNS1_11target_archE1100ELNS1_3gpuE3ELNS1_3repE0EEENS1_30default_config_static_selectorELNS0_4arch9wavefront6targetE1EEEvT1_, .Lfunc_end154-_ZN7rocprim17ROCPRIM_400000_NS6detail17trampoline_kernelINS0_14default_configENS1_25partition_config_selectorILNS1_17partition_subalgoE5EiNS0_10empty_typeEbEEZZNS1_14partition_implILS5_5ELb0ES3_mPiPS6_N6thrust23THRUST_200600_302600_NS18transform_iteratorIN6dUtils5isOneIiEES9_NSC_11use_defaultESH_EENS0_5tupleIJS9_S6_EEENSJ_IJSA_SA_EEES6_PlJS6_EEE10hipError_tPvRmT3_T4_T5_T6_T7_T9_mT8_P12ihipStream_tbDpT10_ENKUlT_T0_E_clISt17integral_constantIbLb0EES16_EEDaS11_S12_EUlS11_E_NS1_11comp_targetILNS1_3genE9ELNS1_11target_archE1100ELNS1_3gpuE3ELNS1_3repE0EEENS1_30default_config_static_selectorELNS0_4arch9wavefront6targetE1EEEvT1_
                                        ; -- End function
	.section	.AMDGPU.csdata,"",@progbits
; Kernel info:
; codeLenInByte = 0
; NumSgprs: 4
; NumVgprs: 0
; NumAgprs: 0
; TotalNumVgprs: 0
; ScratchSize: 0
; MemoryBound: 0
; FloatMode: 240
; IeeeMode: 1
; LDSByteSize: 0 bytes/workgroup (compile time only)
; SGPRBlocks: 0
; VGPRBlocks: 0
; NumSGPRsForWavesPerEU: 4
; NumVGPRsForWavesPerEU: 1
; AccumOffset: 4
; Occupancy: 8
; WaveLimiterHint : 0
; COMPUTE_PGM_RSRC2:SCRATCH_EN: 0
; COMPUTE_PGM_RSRC2:USER_SGPR: 6
; COMPUTE_PGM_RSRC2:TRAP_HANDLER: 0
; COMPUTE_PGM_RSRC2:TGID_X_EN: 1
; COMPUTE_PGM_RSRC2:TGID_Y_EN: 0
; COMPUTE_PGM_RSRC2:TGID_Z_EN: 0
; COMPUTE_PGM_RSRC2:TIDIG_COMP_CNT: 0
; COMPUTE_PGM_RSRC3_GFX90A:ACCUM_OFFSET: 0
; COMPUTE_PGM_RSRC3_GFX90A:TG_SPLIT: 0
	.section	.text._ZN7rocprim17ROCPRIM_400000_NS6detail17trampoline_kernelINS0_14default_configENS1_25partition_config_selectorILNS1_17partition_subalgoE5EiNS0_10empty_typeEbEEZZNS1_14partition_implILS5_5ELb0ES3_mPiPS6_N6thrust23THRUST_200600_302600_NS18transform_iteratorIN6dUtils5isOneIiEES9_NSC_11use_defaultESH_EENS0_5tupleIJS9_S6_EEENSJ_IJSA_SA_EEES6_PlJS6_EEE10hipError_tPvRmT3_T4_T5_T6_T7_T9_mT8_P12ihipStream_tbDpT10_ENKUlT_T0_E_clISt17integral_constantIbLb0EES16_EEDaS11_S12_EUlS11_E_NS1_11comp_targetILNS1_3genE8ELNS1_11target_archE1030ELNS1_3gpuE2ELNS1_3repE0EEENS1_30default_config_static_selectorELNS0_4arch9wavefront6targetE1EEEvT1_,"axG",@progbits,_ZN7rocprim17ROCPRIM_400000_NS6detail17trampoline_kernelINS0_14default_configENS1_25partition_config_selectorILNS1_17partition_subalgoE5EiNS0_10empty_typeEbEEZZNS1_14partition_implILS5_5ELb0ES3_mPiPS6_N6thrust23THRUST_200600_302600_NS18transform_iteratorIN6dUtils5isOneIiEES9_NSC_11use_defaultESH_EENS0_5tupleIJS9_S6_EEENSJ_IJSA_SA_EEES6_PlJS6_EEE10hipError_tPvRmT3_T4_T5_T6_T7_T9_mT8_P12ihipStream_tbDpT10_ENKUlT_T0_E_clISt17integral_constantIbLb0EES16_EEDaS11_S12_EUlS11_E_NS1_11comp_targetILNS1_3genE8ELNS1_11target_archE1030ELNS1_3gpuE2ELNS1_3repE0EEENS1_30default_config_static_selectorELNS0_4arch9wavefront6targetE1EEEvT1_,comdat
	.protected	_ZN7rocprim17ROCPRIM_400000_NS6detail17trampoline_kernelINS0_14default_configENS1_25partition_config_selectorILNS1_17partition_subalgoE5EiNS0_10empty_typeEbEEZZNS1_14partition_implILS5_5ELb0ES3_mPiPS6_N6thrust23THRUST_200600_302600_NS18transform_iteratorIN6dUtils5isOneIiEES9_NSC_11use_defaultESH_EENS0_5tupleIJS9_S6_EEENSJ_IJSA_SA_EEES6_PlJS6_EEE10hipError_tPvRmT3_T4_T5_T6_T7_T9_mT8_P12ihipStream_tbDpT10_ENKUlT_T0_E_clISt17integral_constantIbLb0EES16_EEDaS11_S12_EUlS11_E_NS1_11comp_targetILNS1_3genE8ELNS1_11target_archE1030ELNS1_3gpuE2ELNS1_3repE0EEENS1_30default_config_static_selectorELNS0_4arch9wavefront6targetE1EEEvT1_ ; -- Begin function _ZN7rocprim17ROCPRIM_400000_NS6detail17trampoline_kernelINS0_14default_configENS1_25partition_config_selectorILNS1_17partition_subalgoE5EiNS0_10empty_typeEbEEZZNS1_14partition_implILS5_5ELb0ES3_mPiPS6_N6thrust23THRUST_200600_302600_NS18transform_iteratorIN6dUtils5isOneIiEES9_NSC_11use_defaultESH_EENS0_5tupleIJS9_S6_EEENSJ_IJSA_SA_EEES6_PlJS6_EEE10hipError_tPvRmT3_T4_T5_T6_T7_T9_mT8_P12ihipStream_tbDpT10_ENKUlT_T0_E_clISt17integral_constantIbLb0EES16_EEDaS11_S12_EUlS11_E_NS1_11comp_targetILNS1_3genE8ELNS1_11target_archE1030ELNS1_3gpuE2ELNS1_3repE0EEENS1_30default_config_static_selectorELNS0_4arch9wavefront6targetE1EEEvT1_
	.globl	_ZN7rocprim17ROCPRIM_400000_NS6detail17trampoline_kernelINS0_14default_configENS1_25partition_config_selectorILNS1_17partition_subalgoE5EiNS0_10empty_typeEbEEZZNS1_14partition_implILS5_5ELb0ES3_mPiPS6_N6thrust23THRUST_200600_302600_NS18transform_iteratorIN6dUtils5isOneIiEES9_NSC_11use_defaultESH_EENS0_5tupleIJS9_S6_EEENSJ_IJSA_SA_EEES6_PlJS6_EEE10hipError_tPvRmT3_T4_T5_T6_T7_T9_mT8_P12ihipStream_tbDpT10_ENKUlT_T0_E_clISt17integral_constantIbLb0EES16_EEDaS11_S12_EUlS11_E_NS1_11comp_targetILNS1_3genE8ELNS1_11target_archE1030ELNS1_3gpuE2ELNS1_3repE0EEENS1_30default_config_static_selectorELNS0_4arch9wavefront6targetE1EEEvT1_
	.p2align	8
	.type	_ZN7rocprim17ROCPRIM_400000_NS6detail17trampoline_kernelINS0_14default_configENS1_25partition_config_selectorILNS1_17partition_subalgoE5EiNS0_10empty_typeEbEEZZNS1_14partition_implILS5_5ELb0ES3_mPiPS6_N6thrust23THRUST_200600_302600_NS18transform_iteratorIN6dUtils5isOneIiEES9_NSC_11use_defaultESH_EENS0_5tupleIJS9_S6_EEENSJ_IJSA_SA_EEES6_PlJS6_EEE10hipError_tPvRmT3_T4_T5_T6_T7_T9_mT8_P12ihipStream_tbDpT10_ENKUlT_T0_E_clISt17integral_constantIbLb0EES16_EEDaS11_S12_EUlS11_E_NS1_11comp_targetILNS1_3genE8ELNS1_11target_archE1030ELNS1_3gpuE2ELNS1_3repE0EEENS1_30default_config_static_selectorELNS0_4arch9wavefront6targetE1EEEvT1_,@function
_ZN7rocprim17ROCPRIM_400000_NS6detail17trampoline_kernelINS0_14default_configENS1_25partition_config_selectorILNS1_17partition_subalgoE5EiNS0_10empty_typeEbEEZZNS1_14partition_implILS5_5ELb0ES3_mPiPS6_N6thrust23THRUST_200600_302600_NS18transform_iteratorIN6dUtils5isOneIiEES9_NSC_11use_defaultESH_EENS0_5tupleIJS9_S6_EEENSJ_IJSA_SA_EEES6_PlJS6_EEE10hipError_tPvRmT3_T4_T5_T6_T7_T9_mT8_P12ihipStream_tbDpT10_ENKUlT_T0_E_clISt17integral_constantIbLb0EES16_EEDaS11_S12_EUlS11_E_NS1_11comp_targetILNS1_3genE8ELNS1_11target_archE1030ELNS1_3gpuE2ELNS1_3repE0EEENS1_30default_config_static_selectorELNS0_4arch9wavefront6targetE1EEEvT1_: ; @_ZN7rocprim17ROCPRIM_400000_NS6detail17trampoline_kernelINS0_14default_configENS1_25partition_config_selectorILNS1_17partition_subalgoE5EiNS0_10empty_typeEbEEZZNS1_14partition_implILS5_5ELb0ES3_mPiPS6_N6thrust23THRUST_200600_302600_NS18transform_iteratorIN6dUtils5isOneIiEES9_NSC_11use_defaultESH_EENS0_5tupleIJS9_S6_EEENSJ_IJSA_SA_EEES6_PlJS6_EEE10hipError_tPvRmT3_T4_T5_T6_T7_T9_mT8_P12ihipStream_tbDpT10_ENKUlT_T0_E_clISt17integral_constantIbLb0EES16_EEDaS11_S12_EUlS11_E_NS1_11comp_targetILNS1_3genE8ELNS1_11target_archE1030ELNS1_3gpuE2ELNS1_3repE0EEENS1_30default_config_static_selectorELNS0_4arch9wavefront6targetE1EEEvT1_
; %bb.0:
	.section	.rodata,"a",@progbits
	.p2align	6, 0x0
	.amdhsa_kernel _ZN7rocprim17ROCPRIM_400000_NS6detail17trampoline_kernelINS0_14default_configENS1_25partition_config_selectorILNS1_17partition_subalgoE5EiNS0_10empty_typeEbEEZZNS1_14partition_implILS5_5ELb0ES3_mPiPS6_N6thrust23THRUST_200600_302600_NS18transform_iteratorIN6dUtils5isOneIiEES9_NSC_11use_defaultESH_EENS0_5tupleIJS9_S6_EEENSJ_IJSA_SA_EEES6_PlJS6_EEE10hipError_tPvRmT3_T4_T5_T6_T7_T9_mT8_P12ihipStream_tbDpT10_ENKUlT_T0_E_clISt17integral_constantIbLb0EES16_EEDaS11_S12_EUlS11_E_NS1_11comp_targetILNS1_3genE8ELNS1_11target_archE1030ELNS1_3gpuE2ELNS1_3repE0EEENS1_30default_config_static_selectorELNS0_4arch9wavefront6targetE1EEEvT1_
		.amdhsa_group_segment_fixed_size 0
		.amdhsa_private_segment_fixed_size 0
		.amdhsa_kernarg_size 120
		.amdhsa_user_sgpr_count 6
		.amdhsa_user_sgpr_private_segment_buffer 1
		.amdhsa_user_sgpr_dispatch_ptr 0
		.amdhsa_user_sgpr_queue_ptr 0
		.amdhsa_user_sgpr_kernarg_segment_ptr 1
		.amdhsa_user_sgpr_dispatch_id 0
		.amdhsa_user_sgpr_flat_scratch_init 0
		.amdhsa_user_sgpr_kernarg_preload_length 0
		.amdhsa_user_sgpr_kernarg_preload_offset 0
		.amdhsa_user_sgpr_private_segment_size 0
		.amdhsa_uses_dynamic_stack 0
		.amdhsa_system_sgpr_private_segment_wavefront_offset 0
		.amdhsa_system_sgpr_workgroup_id_x 1
		.amdhsa_system_sgpr_workgroup_id_y 0
		.amdhsa_system_sgpr_workgroup_id_z 0
		.amdhsa_system_sgpr_workgroup_info 0
		.amdhsa_system_vgpr_workitem_id 0
		.amdhsa_next_free_vgpr 1
		.amdhsa_next_free_sgpr 0
		.amdhsa_accum_offset 4
		.amdhsa_reserve_vcc 0
		.amdhsa_reserve_flat_scratch 0
		.amdhsa_float_round_mode_32 0
		.amdhsa_float_round_mode_16_64 0
		.amdhsa_float_denorm_mode_32 3
		.amdhsa_float_denorm_mode_16_64 3
		.amdhsa_dx10_clamp 1
		.amdhsa_ieee_mode 1
		.amdhsa_fp16_overflow 0
		.amdhsa_tg_split 0
		.amdhsa_exception_fp_ieee_invalid_op 0
		.amdhsa_exception_fp_denorm_src 0
		.amdhsa_exception_fp_ieee_div_zero 0
		.amdhsa_exception_fp_ieee_overflow 0
		.amdhsa_exception_fp_ieee_underflow 0
		.amdhsa_exception_fp_ieee_inexact 0
		.amdhsa_exception_int_div_zero 0
	.end_amdhsa_kernel
	.section	.text._ZN7rocprim17ROCPRIM_400000_NS6detail17trampoline_kernelINS0_14default_configENS1_25partition_config_selectorILNS1_17partition_subalgoE5EiNS0_10empty_typeEbEEZZNS1_14partition_implILS5_5ELb0ES3_mPiPS6_N6thrust23THRUST_200600_302600_NS18transform_iteratorIN6dUtils5isOneIiEES9_NSC_11use_defaultESH_EENS0_5tupleIJS9_S6_EEENSJ_IJSA_SA_EEES6_PlJS6_EEE10hipError_tPvRmT3_T4_T5_T6_T7_T9_mT8_P12ihipStream_tbDpT10_ENKUlT_T0_E_clISt17integral_constantIbLb0EES16_EEDaS11_S12_EUlS11_E_NS1_11comp_targetILNS1_3genE8ELNS1_11target_archE1030ELNS1_3gpuE2ELNS1_3repE0EEENS1_30default_config_static_selectorELNS0_4arch9wavefront6targetE1EEEvT1_,"axG",@progbits,_ZN7rocprim17ROCPRIM_400000_NS6detail17trampoline_kernelINS0_14default_configENS1_25partition_config_selectorILNS1_17partition_subalgoE5EiNS0_10empty_typeEbEEZZNS1_14partition_implILS5_5ELb0ES3_mPiPS6_N6thrust23THRUST_200600_302600_NS18transform_iteratorIN6dUtils5isOneIiEES9_NSC_11use_defaultESH_EENS0_5tupleIJS9_S6_EEENSJ_IJSA_SA_EEES6_PlJS6_EEE10hipError_tPvRmT3_T4_T5_T6_T7_T9_mT8_P12ihipStream_tbDpT10_ENKUlT_T0_E_clISt17integral_constantIbLb0EES16_EEDaS11_S12_EUlS11_E_NS1_11comp_targetILNS1_3genE8ELNS1_11target_archE1030ELNS1_3gpuE2ELNS1_3repE0EEENS1_30default_config_static_selectorELNS0_4arch9wavefront6targetE1EEEvT1_,comdat
.Lfunc_end155:
	.size	_ZN7rocprim17ROCPRIM_400000_NS6detail17trampoline_kernelINS0_14default_configENS1_25partition_config_selectorILNS1_17partition_subalgoE5EiNS0_10empty_typeEbEEZZNS1_14partition_implILS5_5ELb0ES3_mPiPS6_N6thrust23THRUST_200600_302600_NS18transform_iteratorIN6dUtils5isOneIiEES9_NSC_11use_defaultESH_EENS0_5tupleIJS9_S6_EEENSJ_IJSA_SA_EEES6_PlJS6_EEE10hipError_tPvRmT3_T4_T5_T6_T7_T9_mT8_P12ihipStream_tbDpT10_ENKUlT_T0_E_clISt17integral_constantIbLb0EES16_EEDaS11_S12_EUlS11_E_NS1_11comp_targetILNS1_3genE8ELNS1_11target_archE1030ELNS1_3gpuE2ELNS1_3repE0EEENS1_30default_config_static_selectorELNS0_4arch9wavefront6targetE1EEEvT1_, .Lfunc_end155-_ZN7rocprim17ROCPRIM_400000_NS6detail17trampoline_kernelINS0_14default_configENS1_25partition_config_selectorILNS1_17partition_subalgoE5EiNS0_10empty_typeEbEEZZNS1_14partition_implILS5_5ELb0ES3_mPiPS6_N6thrust23THRUST_200600_302600_NS18transform_iteratorIN6dUtils5isOneIiEES9_NSC_11use_defaultESH_EENS0_5tupleIJS9_S6_EEENSJ_IJSA_SA_EEES6_PlJS6_EEE10hipError_tPvRmT3_T4_T5_T6_T7_T9_mT8_P12ihipStream_tbDpT10_ENKUlT_T0_E_clISt17integral_constantIbLb0EES16_EEDaS11_S12_EUlS11_E_NS1_11comp_targetILNS1_3genE8ELNS1_11target_archE1030ELNS1_3gpuE2ELNS1_3repE0EEENS1_30default_config_static_selectorELNS0_4arch9wavefront6targetE1EEEvT1_
                                        ; -- End function
	.section	.AMDGPU.csdata,"",@progbits
; Kernel info:
; codeLenInByte = 0
; NumSgprs: 4
; NumVgprs: 0
; NumAgprs: 0
; TotalNumVgprs: 0
; ScratchSize: 0
; MemoryBound: 0
; FloatMode: 240
; IeeeMode: 1
; LDSByteSize: 0 bytes/workgroup (compile time only)
; SGPRBlocks: 0
; VGPRBlocks: 0
; NumSGPRsForWavesPerEU: 4
; NumVGPRsForWavesPerEU: 1
; AccumOffset: 4
; Occupancy: 8
; WaveLimiterHint : 0
; COMPUTE_PGM_RSRC2:SCRATCH_EN: 0
; COMPUTE_PGM_RSRC2:USER_SGPR: 6
; COMPUTE_PGM_RSRC2:TRAP_HANDLER: 0
; COMPUTE_PGM_RSRC2:TGID_X_EN: 1
; COMPUTE_PGM_RSRC2:TGID_Y_EN: 0
; COMPUTE_PGM_RSRC2:TGID_Z_EN: 0
; COMPUTE_PGM_RSRC2:TIDIG_COMP_CNT: 0
; COMPUTE_PGM_RSRC3_GFX90A:ACCUM_OFFSET: 0
; COMPUTE_PGM_RSRC3_GFX90A:TG_SPLIT: 0
	.section	.text._ZN7rocprim17ROCPRIM_400000_NS6detail17trampoline_kernelINS0_14default_configENS1_25partition_config_selectorILNS1_17partition_subalgoE5EiNS0_10empty_typeEbEEZZNS1_14partition_implILS5_5ELb0ES3_mPiPS6_N6thrust23THRUST_200600_302600_NS18transform_iteratorIN6dUtils5isOneIiEES9_NSC_11use_defaultESH_EENS0_5tupleIJS9_S6_EEENSJ_IJSA_SA_EEES6_PlJS6_EEE10hipError_tPvRmT3_T4_T5_T6_T7_T9_mT8_P12ihipStream_tbDpT10_ENKUlT_T0_E_clISt17integral_constantIbLb1EES16_EEDaS11_S12_EUlS11_E_NS1_11comp_targetILNS1_3genE0ELNS1_11target_archE4294967295ELNS1_3gpuE0ELNS1_3repE0EEENS1_30default_config_static_selectorELNS0_4arch9wavefront6targetE1EEEvT1_,"axG",@progbits,_ZN7rocprim17ROCPRIM_400000_NS6detail17trampoline_kernelINS0_14default_configENS1_25partition_config_selectorILNS1_17partition_subalgoE5EiNS0_10empty_typeEbEEZZNS1_14partition_implILS5_5ELb0ES3_mPiPS6_N6thrust23THRUST_200600_302600_NS18transform_iteratorIN6dUtils5isOneIiEES9_NSC_11use_defaultESH_EENS0_5tupleIJS9_S6_EEENSJ_IJSA_SA_EEES6_PlJS6_EEE10hipError_tPvRmT3_T4_T5_T6_T7_T9_mT8_P12ihipStream_tbDpT10_ENKUlT_T0_E_clISt17integral_constantIbLb1EES16_EEDaS11_S12_EUlS11_E_NS1_11comp_targetILNS1_3genE0ELNS1_11target_archE4294967295ELNS1_3gpuE0ELNS1_3repE0EEENS1_30default_config_static_selectorELNS0_4arch9wavefront6targetE1EEEvT1_,comdat
	.protected	_ZN7rocprim17ROCPRIM_400000_NS6detail17trampoline_kernelINS0_14default_configENS1_25partition_config_selectorILNS1_17partition_subalgoE5EiNS0_10empty_typeEbEEZZNS1_14partition_implILS5_5ELb0ES3_mPiPS6_N6thrust23THRUST_200600_302600_NS18transform_iteratorIN6dUtils5isOneIiEES9_NSC_11use_defaultESH_EENS0_5tupleIJS9_S6_EEENSJ_IJSA_SA_EEES6_PlJS6_EEE10hipError_tPvRmT3_T4_T5_T6_T7_T9_mT8_P12ihipStream_tbDpT10_ENKUlT_T0_E_clISt17integral_constantIbLb1EES16_EEDaS11_S12_EUlS11_E_NS1_11comp_targetILNS1_3genE0ELNS1_11target_archE4294967295ELNS1_3gpuE0ELNS1_3repE0EEENS1_30default_config_static_selectorELNS0_4arch9wavefront6targetE1EEEvT1_ ; -- Begin function _ZN7rocprim17ROCPRIM_400000_NS6detail17trampoline_kernelINS0_14default_configENS1_25partition_config_selectorILNS1_17partition_subalgoE5EiNS0_10empty_typeEbEEZZNS1_14partition_implILS5_5ELb0ES3_mPiPS6_N6thrust23THRUST_200600_302600_NS18transform_iteratorIN6dUtils5isOneIiEES9_NSC_11use_defaultESH_EENS0_5tupleIJS9_S6_EEENSJ_IJSA_SA_EEES6_PlJS6_EEE10hipError_tPvRmT3_T4_T5_T6_T7_T9_mT8_P12ihipStream_tbDpT10_ENKUlT_T0_E_clISt17integral_constantIbLb1EES16_EEDaS11_S12_EUlS11_E_NS1_11comp_targetILNS1_3genE0ELNS1_11target_archE4294967295ELNS1_3gpuE0ELNS1_3repE0EEENS1_30default_config_static_selectorELNS0_4arch9wavefront6targetE1EEEvT1_
	.globl	_ZN7rocprim17ROCPRIM_400000_NS6detail17trampoline_kernelINS0_14default_configENS1_25partition_config_selectorILNS1_17partition_subalgoE5EiNS0_10empty_typeEbEEZZNS1_14partition_implILS5_5ELb0ES3_mPiPS6_N6thrust23THRUST_200600_302600_NS18transform_iteratorIN6dUtils5isOneIiEES9_NSC_11use_defaultESH_EENS0_5tupleIJS9_S6_EEENSJ_IJSA_SA_EEES6_PlJS6_EEE10hipError_tPvRmT3_T4_T5_T6_T7_T9_mT8_P12ihipStream_tbDpT10_ENKUlT_T0_E_clISt17integral_constantIbLb1EES16_EEDaS11_S12_EUlS11_E_NS1_11comp_targetILNS1_3genE0ELNS1_11target_archE4294967295ELNS1_3gpuE0ELNS1_3repE0EEENS1_30default_config_static_selectorELNS0_4arch9wavefront6targetE1EEEvT1_
	.p2align	8
	.type	_ZN7rocprim17ROCPRIM_400000_NS6detail17trampoline_kernelINS0_14default_configENS1_25partition_config_selectorILNS1_17partition_subalgoE5EiNS0_10empty_typeEbEEZZNS1_14partition_implILS5_5ELb0ES3_mPiPS6_N6thrust23THRUST_200600_302600_NS18transform_iteratorIN6dUtils5isOneIiEES9_NSC_11use_defaultESH_EENS0_5tupleIJS9_S6_EEENSJ_IJSA_SA_EEES6_PlJS6_EEE10hipError_tPvRmT3_T4_T5_T6_T7_T9_mT8_P12ihipStream_tbDpT10_ENKUlT_T0_E_clISt17integral_constantIbLb1EES16_EEDaS11_S12_EUlS11_E_NS1_11comp_targetILNS1_3genE0ELNS1_11target_archE4294967295ELNS1_3gpuE0ELNS1_3repE0EEENS1_30default_config_static_selectorELNS0_4arch9wavefront6targetE1EEEvT1_,@function
_ZN7rocprim17ROCPRIM_400000_NS6detail17trampoline_kernelINS0_14default_configENS1_25partition_config_selectorILNS1_17partition_subalgoE5EiNS0_10empty_typeEbEEZZNS1_14partition_implILS5_5ELb0ES3_mPiPS6_N6thrust23THRUST_200600_302600_NS18transform_iteratorIN6dUtils5isOneIiEES9_NSC_11use_defaultESH_EENS0_5tupleIJS9_S6_EEENSJ_IJSA_SA_EEES6_PlJS6_EEE10hipError_tPvRmT3_T4_T5_T6_T7_T9_mT8_P12ihipStream_tbDpT10_ENKUlT_T0_E_clISt17integral_constantIbLb1EES16_EEDaS11_S12_EUlS11_E_NS1_11comp_targetILNS1_3genE0ELNS1_11target_archE4294967295ELNS1_3gpuE0ELNS1_3repE0EEENS1_30default_config_static_selectorELNS0_4arch9wavefront6targetE1EEEvT1_: ; @_ZN7rocprim17ROCPRIM_400000_NS6detail17trampoline_kernelINS0_14default_configENS1_25partition_config_selectorILNS1_17partition_subalgoE5EiNS0_10empty_typeEbEEZZNS1_14partition_implILS5_5ELb0ES3_mPiPS6_N6thrust23THRUST_200600_302600_NS18transform_iteratorIN6dUtils5isOneIiEES9_NSC_11use_defaultESH_EENS0_5tupleIJS9_S6_EEENSJ_IJSA_SA_EEES6_PlJS6_EEE10hipError_tPvRmT3_T4_T5_T6_T7_T9_mT8_P12ihipStream_tbDpT10_ENKUlT_T0_E_clISt17integral_constantIbLb1EES16_EEDaS11_S12_EUlS11_E_NS1_11comp_targetILNS1_3genE0ELNS1_11target_archE4294967295ELNS1_3gpuE0ELNS1_3repE0EEENS1_30default_config_static_selectorELNS0_4arch9wavefront6targetE1EEEvT1_
; %bb.0:
	.section	.rodata,"a",@progbits
	.p2align	6, 0x0
	.amdhsa_kernel _ZN7rocprim17ROCPRIM_400000_NS6detail17trampoline_kernelINS0_14default_configENS1_25partition_config_selectorILNS1_17partition_subalgoE5EiNS0_10empty_typeEbEEZZNS1_14partition_implILS5_5ELb0ES3_mPiPS6_N6thrust23THRUST_200600_302600_NS18transform_iteratorIN6dUtils5isOneIiEES9_NSC_11use_defaultESH_EENS0_5tupleIJS9_S6_EEENSJ_IJSA_SA_EEES6_PlJS6_EEE10hipError_tPvRmT3_T4_T5_T6_T7_T9_mT8_P12ihipStream_tbDpT10_ENKUlT_T0_E_clISt17integral_constantIbLb1EES16_EEDaS11_S12_EUlS11_E_NS1_11comp_targetILNS1_3genE0ELNS1_11target_archE4294967295ELNS1_3gpuE0ELNS1_3repE0EEENS1_30default_config_static_selectorELNS0_4arch9wavefront6targetE1EEEvT1_
		.amdhsa_group_segment_fixed_size 0
		.amdhsa_private_segment_fixed_size 0
		.amdhsa_kernarg_size 136
		.amdhsa_user_sgpr_count 6
		.amdhsa_user_sgpr_private_segment_buffer 1
		.amdhsa_user_sgpr_dispatch_ptr 0
		.amdhsa_user_sgpr_queue_ptr 0
		.amdhsa_user_sgpr_kernarg_segment_ptr 1
		.amdhsa_user_sgpr_dispatch_id 0
		.amdhsa_user_sgpr_flat_scratch_init 0
		.amdhsa_user_sgpr_kernarg_preload_length 0
		.amdhsa_user_sgpr_kernarg_preload_offset 0
		.amdhsa_user_sgpr_private_segment_size 0
		.amdhsa_uses_dynamic_stack 0
		.amdhsa_system_sgpr_private_segment_wavefront_offset 0
		.amdhsa_system_sgpr_workgroup_id_x 1
		.amdhsa_system_sgpr_workgroup_id_y 0
		.amdhsa_system_sgpr_workgroup_id_z 0
		.amdhsa_system_sgpr_workgroup_info 0
		.amdhsa_system_vgpr_workitem_id 0
		.amdhsa_next_free_vgpr 1
		.amdhsa_next_free_sgpr 0
		.amdhsa_accum_offset 4
		.amdhsa_reserve_vcc 0
		.amdhsa_reserve_flat_scratch 0
		.amdhsa_float_round_mode_32 0
		.amdhsa_float_round_mode_16_64 0
		.amdhsa_float_denorm_mode_32 3
		.amdhsa_float_denorm_mode_16_64 3
		.amdhsa_dx10_clamp 1
		.amdhsa_ieee_mode 1
		.amdhsa_fp16_overflow 0
		.amdhsa_tg_split 0
		.amdhsa_exception_fp_ieee_invalid_op 0
		.amdhsa_exception_fp_denorm_src 0
		.amdhsa_exception_fp_ieee_div_zero 0
		.amdhsa_exception_fp_ieee_overflow 0
		.amdhsa_exception_fp_ieee_underflow 0
		.amdhsa_exception_fp_ieee_inexact 0
		.amdhsa_exception_int_div_zero 0
	.end_amdhsa_kernel
	.section	.text._ZN7rocprim17ROCPRIM_400000_NS6detail17trampoline_kernelINS0_14default_configENS1_25partition_config_selectorILNS1_17partition_subalgoE5EiNS0_10empty_typeEbEEZZNS1_14partition_implILS5_5ELb0ES3_mPiPS6_N6thrust23THRUST_200600_302600_NS18transform_iteratorIN6dUtils5isOneIiEES9_NSC_11use_defaultESH_EENS0_5tupleIJS9_S6_EEENSJ_IJSA_SA_EEES6_PlJS6_EEE10hipError_tPvRmT3_T4_T5_T6_T7_T9_mT8_P12ihipStream_tbDpT10_ENKUlT_T0_E_clISt17integral_constantIbLb1EES16_EEDaS11_S12_EUlS11_E_NS1_11comp_targetILNS1_3genE0ELNS1_11target_archE4294967295ELNS1_3gpuE0ELNS1_3repE0EEENS1_30default_config_static_selectorELNS0_4arch9wavefront6targetE1EEEvT1_,"axG",@progbits,_ZN7rocprim17ROCPRIM_400000_NS6detail17trampoline_kernelINS0_14default_configENS1_25partition_config_selectorILNS1_17partition_subalgoE5EiNS0_10empty_typeEbEEZZNS1_14partition_implILS5_5ELb0ES3_mPiPS6_N6thrust23THRUST_200600_302600_NS18transform_iteratorIN6dUtils5isOneIiEES9_NSC_11use_defaultESH_EENS0_5tupleIJS9_S6_EEENSJ_IJSA_SA_EEES6_PlJS6_EEE10hipError_tPvRmT3_T4_T5_T6_T7_T9_mT8_P12ihipStream_tbDpT10_ENKUlT_T0_E_clISt17integral_constantIbLb1EES16_EEDaS11_S12_EUlS11_E_NS1_11comp_targetILNS1_3genE0ELNS1_11target_archE4294967295ELNS1_3gpuE0ELNS1_3repE0EEENS1_30default_config_static_selectorELNS0_4arch9wavefront6targetE1EEEvT1_,comdat
.Lfunc_end156:
	.size	_ZN7rocprim17ROCPRIM_400000_NS6detail17trampoline_kernelINS0_14default_configENS1_25partition_config_selectorILNS1_17partition_subalgoE5EiNS0_10empty_typeEbEEZZNS1_14partition_implILS5_5ELb0ES3_mPiPS6_N6thrust23THRUST_200600_302600_NS18transform_iteratorIN6dUtils5isOneIiEES9_NSC_11use_defaultESH_EENS0_5tupleIJS9_S6_EEENSJ_IJSA_SA_EEES6_PlJS6_EEE10hipError_tPvRmT3_T4_T5_T6_T7_T9_mT8_P12ihipStream_tbDpT10_ENKUlT_T0_E_clISt17integral_constantIbLb1EES16_EEDaS11_S12_EUlS11_E_NS1_11comp_targetILNS1_3genE0ELNS1_11target_archE4294967295ELNS1_3gpuE0ELNS1_3repE0EEENS1_30default_config_static_selectorELNS0_4arch9wavefront6targetE1EEEvT1_, .Lfunc_end156-_ZN7rocprim17ROCPRIM_400000_NS6detail17trampoline_kernelINS0_14default_configENS1_25partition_config_selectorILNS1_17partition_subalgoE5EiNS0_10empty_typeEbEEZZNS1_14partition_implILS5_5ELb0ES3_mPiPS6_N6thrust23THRUST_200600_302600_NS18transform_iteratorIN6dUtils5isOneIiEES9_NSC_11use_defaultESH_EENS0_5tupleIJS9_S6_EEENSJ_IJSA_SA_EEES6_PlJS6_EEE10hipError_tPvRmT3_T4_T5_T6_T7_T9_mT8_P12ihipStream_tbDpT10_ENKUlT_T0_E_clISt17integral_constantIbLb1EES16_EEDaS11_S12_EUlS11_E_NS1_11comp_targetILNS1_3genE0ELNS1_11target_archE4294967295ELNS1_3gpuE0ELNS1_3repE0EEENS1_30default_config_static_selectorELNS0_4arch9wavefront6targetE1EEEvT1_
                                        ; -- End function
	.section	.AMDGPU.csdata,"",@progbits
; Kernel info:
; codeLenInByte = 0
; NumSgprs: 4
; NumVgprs: 0
; NumAgprs: 0
; TotalNumVgprs: 0
; ScratchSize: 0
; MemoryBound: 0
; FloatMode: 240
; IeeeMode: 1
; LDSByteSize: 0 bytes/workgroup (compile time only)
; SGPRBlocks: 0
; VGPRBlocks: 0
; NumSGPRsForWavesPerEU: 4
; NumVGPRsForWavesPerEU: 1
; AccumOffset: 4
; Occupancy: 8
; WaveLimiterHint : 0
; COMPUTE_PGM_RSRC2:SCRATCH_EN: 0
; COMPUTE_PGM_RSRC2:USER_SGPR: 6
; COMPUTE_PGM_RSRC2:TRAP_HANDLER: 0
; COMPUTE_PGM_RSRC2:TGID_X_EN: 1
; COMPUTE_PGM_RSRC2:TGID_Y_EN: 0
; COMPUTE_PGM_RSRC2:TGID_Z_EN: 0
; COMPUTE_PGM_RSRC2:TIDIG_COMP_CNT: 0
; COMPUTE_PGM_RSRC3_GFX90A:ACCUM_OFFSET: 0
; COMPUTE_PGM_RSRC3_GFX90A:TG_SPLIT: 0
	.section	.text._ZN7rocprim17ROCPRIM_400000_NS6detail17trampoline_kernelINS0_14default_configENS1_25partition_config_selectorILNS1_17partition_subalgoE5EiNS0_10empty_typeEbEEZZNS1_14partition_implILS5_5ELb0ES3_mPiPS6_N6thrust23THRUST_200600_302600_NS18transform_iteratorIN6dUtils5isOneIiEES9_NSC_11use_defaultESH_EENS0_5tupleIJS9_S6_EEENSJ_IJSA_SA_EEES6_PlJS6_EEE10hipError_tPvRmT3_T4_T5_T6_T7_T9_mT8_P12ihipStream_tbDpT10_ENKUlT_T0_E_clISt17integral_constantIbLb1EES16_EEDaS11_S12_EUlS11_E_NS1_11comp_targetILNS1_3genE5ELNS1_11target_archE942ELNS1_3gpuE9ELNS1_3repE0EEENS1_30default_config_static_selectorELNS0_4arch9wavefront6targetE1EEEvT1_,"axG",@progbits,_ZN7rocprim17ROCPRIM_400000_NS6detail17trampoline_kernelINS0_14default_configENS1_25partition_config_selectorILNS1_17partition_subalgoE5EiNS0_10empty_typeEbEEZZNS1_14partition_implILS5_5ELb0ES3_mPiPS6_N6thrust23THRUST_200600_302600_NS18transform_iteratorIN6dUtils5isOneIiEES9_NSC_11use_defaultESH_EENS0_5tupleIJS9_S6_EEENSJ_IJSA_SA_EEES6_PlJS6_EEE10hipError_tPvRmT3_T4_T5_T6_T7_T9_mT8_P12ihipStream_tbDpT10_ENKUlT_T0_E_clISt17integral_constantIbLb1EES16_EEDaS11_S12_EUlS11_E_NS1_11comp_targetILNS1_3genE5ELNS1_11target_archE942ELNS1_3gpuE9ELNS1_3repE0EEENS1_30default_config_static_selectorELNS0_4arch9wavefront6targetE1EEEvT1_,comdat
	.protected	_ZN7rocprim17ROCPRIM_400000_NS6detail17trampoline_kernelINS0_14default_configENS1_25partition_config_selectorILNS1_17partition_subalgoE5EiNS0_10empty_typeEbEEZZNS1_14partition_implILS5_5ELb0ES3_mPiPS6_N6thrust23THRUST_200600_302600_NS18transform_iteratorIN6dUtils5isOneIiEES9_NSC_11use_defaultESH_EENS0_5tupleIJS9_S6_EEENSJ_IJSA_SA_EEES6_PlJS6_EEE10hipError_tPvRmT3_T4_T5_T6_T7_T9_mT8_P12ihipStream_tbDpT10_ENKUlT_T0_E_clISt17integral_constantIbLb1EES16_EEDaS11_S12_EUlS11_E_NS1_11comp_targetILNS1_3genE5ELNS1_11target_archE942ELNS1_3gpuE9ELNS1_3repE0EEENS1_30default_config_static_selectorELNS0_4arch9wavefront6targetE1EEEvT1_ ; -- Begin function _ZN7rocprim17ROCPRIM_400000_NS6detail17trampoline_kernelINS0_14default_configENS1_25partition_config_selectorILNS1_17partition_subalgoE5EiNS0_10empty_typeEbEEZZNS1_14partition_implILS5_5ELb0ES3_mPiPS6_N6thrust23THRUST_200600_302600_NS18transform_iteratorIN6dUtils5isOneIiEES9_NSC_11use_defaultESH_EENS0_5tupleIJS9_S6_EEENSJ_IJSA_SA_EEES6_PlJS6_EEE10hipError_tPvRmT3_T4_T5_T6_T7_T9_mT8_P12ihipStream_tbDpT10_ENKUlT_T0_E_clISt17integral_constantIbLb1EES16_EEDaS11_S12_EUlS11_E_NS1_11comp_targetILNS1_3genE5ELNS1_11target_archE942ELNS1_3gpuE9ELNS1_3repE0EEENS1_30default_config_static_selectorELNS0_4arch9wavefront6targetE1EEEvT1_
	.globl	_ZN7rocprim17ROCPRIM_400000_NS6detail17trampoline_kernelINS0_14default_configENS1_25partition_config_selectorILNS1_17partition_subalgoE5EiNS0_10empty_typeEbEEZZNS1_14partition_implILS5_5ELb0ES3_mPiPS6_N6thrust23THRUST_200600_302600_NS18transform_iteratorIN6dUtils5isOneIiEES9_NSC_11use_defaultESH_EENS0_5tupleIJS9_S6_EEENSJ_IJSA_SA_EEES6_PlJS6_EEE10hipError_tPvRmT3_T4_T5_T6_T7_T9_mT8_P12ihipStream_tbDpT10_ENKUlT_T0_E_clISt17integral_constantIbLb1EES16_EEDaS11_S12_EUlS11_E_NS1_11comp_targetILNS1_3genE5ELNS1_11target_archE942ELNS1_3gpuE9ELNS1_3repE0EEENS1_30default_config_static_selectorELNS0_4arch9wavefront6targetE1EEEvT1_
	.p2align	8
	.type	_ZN7rocprim17ROCPRIM_400000_NS6detail17trampoline_kernelINS0_14default_configENS1_25partition_config_selectorILNS1_17partition_subalgoE5EiNS0_10empty_typeEbEEZZNS1_14partition_implILS5_5ELb0ES3_mPiPS6_N6thrust23THRUST_200600_302600_NS18transform_iteratorIN6dUtils5isOneIiEES9_NSC_11use_defaultESH_EENS0_5tupleIJS9_S6_EEENSJ_IJSA_SA_EEES6_PlJS6_EEE10hipError_tPvRmT3_T4_T5_T6_T7_T9_mT8_P12ihipStream_tbDpT10_ENKUlT_T0_E_clISt17integral_constantIbLb1EES16_EEDaS11_S12_EUlS11_E_NS1_11comp_targetILNS1_3genE5ELNS1_11target_archE942ELNS1_3gpuE9ELNS1_3repE0EEENS1_30default_config_static_selectorELNS0_4arch9wavefront6targetE1EEEvT1_,@function
_ZN7rocprim17ROCPRIM_400000_NS6detail17trampoline_kernelINS0_14default_configENS1_25partition_config_selectorILNS1_17partition_subalgoE5EiNS0_10empty_typeEbEEZZNS1_14partition_implILS5_5ELb0ES3_mPiPS6_N6thrust23THRUST_200600_302600_NS18transform_iteratorIN6dUtils5isOneIiEES9_NSC_11use_defaultESH_EENS0_5tupleIJS9_S6_EEENSJ_IJSA_SA_EEES6_PlJS6_EEE10hipError_tPvRmT3_T4_T5_T6_T7_T9_mT8_P12ihipStream_tbDpT10_ENKUlT_T0_E_clISt17integral_constantIbLb1EES16_EEDaS11_S12_EUlS11_E_NS1_11comp_targetILNS1_3genE5ELNS1_11target_archE942ELNS1_3gpuE9ELNS1_3repE0EEENS1_30default_config_static_selectorELNS0_4arch9wavefront6targetE1EEEvT1_: ; @_ZN7rocprim17ROCPRIM_400000_NS6detail17trampoline_kernelINS0_14default_configENS1_25partition_config_selectorILNS1_17partition_subalgoE5EiNS0_10empty_typeEbEEZZNS1_14partition_implILS5_5ELb0ES3_mPiPS6_N6thrust23THRUST_200600_302600_NS18transform_iteratorIN6dUtils5isOneIiEES9_NSC_11use_defaultESH_EENS0_5tupleIJS9_S6_EEENSJ_IJSA_SA_EEES6_PlJS6_EEE10hipError_tPvRmT3_T4_T5_T6_T7_T9_mT8_P12ihipStream_tbDpT10_ENKUlT_T0_E_clISt17integral_constantIbLb1EES16_EEDaS11_S12_EUlS11_E_NS1_11comp_targetILNS1_3genE5ELNS1_11target_archE942ELNS1_3gpuE9ELNS1_3repE0EEENS1_30default_config_static_selectorELNS0_4arch9wavefront6targetE1EEEvT1_
; %bb.0:
	.section	.rodata,"a",@progbits
	.p2align	6, 0x0
	.amdhsa_kernel _ZN7rocprim17ROCPRIM_400000_NS6detail17trampoline_kernelINS0_14default_configENS1_25partition_config_selectorILNS1_17partition_subalgoE5EiNS0_10empty_typeEbEEZZNS1_14partition_implILS5_5ELb0ES3_mPiPS6_N6thrust23THRUST_200600_302600_NS18transform_iteratorIN6dUtils5isOneIiEES9_NSC_11use_defaultESH_EENS0_5tupleIJS9_S6_EEENSJ_IJSA_SA_EEES6_PlJS6_EEE10hipError_tPvRmT3_T4_T5_T6_T7_T9_mT8_P12ihipStream_tbDpT10_ENKUlT_T0_E_clISt17integral_constantIbLb1EES16_EEDaS11_S12_EUlS11_E_NS1_11comp_targetILNS1_3genE5ELNS1_11target_archE942ELNS1_3gpuE9ELNS1_3repE0EEENS1_30default_config_static_selectorELNS0_4arch9wavefront6targetE1EEEvT1_
		.amdhsa_group_segment_fixed_size 0
		.amdhsa_private_segment_fixed_size 0
		.amdhsa_kernarg_size 136
		.amdhsa_user_sgpr_count 6
		.amdhsa_user_sgpr_private_segment_buffer 1
		.amdhsa_user_sgpr_dispatch_ptr 0
		.amdhsa_user_sgpr_queue_ptr 0
		.amdhsa_user_sgpr_kernarg_segment_ptr 1
		.amdhsa_user_sgpr_dispatch_id 0
		.amdhsa_user_sgpr_flat_scratch_init 0
		.amdhsa_user_sgpr_kernarg_preload_length 0
		.amdhsa_user_sgpr_kernarg_preload_offset 0
		.amdhsa_user_sgpr_private_segment_size 0
		.amdhsa_uses_dynamic_stack 0
		.amdhsa_system_sgpr_private_segment_wavefront_offset 0
		.amdhsa_system_sgpr_workgroup_id_x 1
		.amdhsa_system_sgpr_workgroup_id_y 0
		.amdhsa_system_sgpr_workgroup_id_z 0
		.amdhsa_system_sgpr_workgroup_info 0
		.amdhsa_system_vgpr_workitem_id 0
		.amdhsa_next_free_vgpr 1
		.amdhsa_next_free_sgpr 0
		.amdhsa_accum_offset 4
		.amdhsa_reserve_vcc 0
		.amdhsa_reserve_flat_scratch 0
		.amdhsa_float_round_mode_32 0
		.amdhsa_float_round_mode_16_64 0
		.amdhsa_float_denorm_mode_32 3
		.amdhsa_float_denorm_mode_16_64 3
		.amdhsa_dx10_clamp 1
		.amdhsa_ieee_mode 1
		.amdhsa_fp16_overflow 0
		.amdhsa_tg_split 0
		.amdhsa_exception_fp_ieee_invalid_op 0
		.amdhsa_exception_fp_denorm_src 0
		.amdhsa_exception_fp_ieee_div_zero 0
		.amdhsa_exception_fp_ieee_overflow 0
		.amdhsa_exception_fp_ieee_underflow 0
		.amdhsa_exception_fp_ieee_inexact 0
		.amdhsa_exception_int_div_zero 0
	.end_amdhsa_kernel
	.section	.text._ZN7rocprim17ROCPRIM_400000_NS6detail17trampoline_kernelINS0_14default_configENS1_25partition_config_selectorILNS1_17partition_subalgoE5EiNS0_10empty_typeEbEEZZNS1_14partition_implILS5_5ELb0ES3_mPiPS6_N6thrust23THRUST_200600_302600_NS18transform_iteratorIN6dUtils5isOneIiEES9_NSC_11use_defaultESH_EENS0_5tupleIJS9_S6_EEENSJ_IJSA_SA_EEES6_PlJS6_EEE10hipError_tPvRmT3_T4_T5_T6_T7_T9_mT8_P12ihipStream_tbDpT10_ENKUlT_T0_E_clISt17integral_constantIbLb1EES16_EEDaS11_S12_EUlS11_E_NS1_11comp_targetILNS1_3genE5ELNS1_11target_archE942ELNS1_3gpuE9ELNS1_3repE0EEENS1_30default_config_static_selectorELNS0_4arch9wavefront6targetE1EEEvT1_,"axG",@progbits,_ZN7rocprim17ROCPRIM_400000_NS6detail17trampoline_kernelINS0_14default_configENS1_25partition_config_selectorILNS1_17partition_subalgoE5EiNS0_10empty_typeEbEEZZNS1_14partition_implILS5_5ELb0ES3_mPiPS6_N6thrust23THRUST_200600_302600_NS18transform_iteratorIN6dUtils5isOneIiEES9_NSC_11use_defaultESH_EENS0_5tupleIJS9_S6_EEENSJ_IJSA_SA_EEES6_PlJS6_EEE10hipError_tPvRmT3_T4_T5_T6_T7_T9_mT8_P12ihipStream_tbDpT10_ENKUlT_T0_E_clISt17integral_constantIbLb1EES16_EEDaS11_S12_EUlS11_E_NS1_11comp_targetILNS1_3genE5ELNS1_11target_archE942ELNS1_3gpuE9ELNS1_3repE0EEENS1_30default_config_static_selectorELNS0_4arch9wavefront6targetE1EEEvT1_,comdat
.Lfunc_end157:
	.size	_ZN7rocprim17ROCPRIM_400000_NS6detail17trampoline_kernelINS0_14default_configENS1_25partition_config_selectorILNS1_17partition_subalgoE5EiNS0_10empty_typeEbEEZZNS1_14partition_implILS5_5ELb0ES3_mPiPS6_N6thrust23THRUST_200600_302600_NS18transform_iteratorIN6dUtils5isOneIiEES9_NSC_11use_defaultESH_EENS0_5tupleIJS9_S6_EEENSJ_IJSA_SA_EEES6_PlJS6_EEE10hipError_tPvRmT3_T4_T5_T6_T7_T9_mT8_P12ihipStream_tbDpT10_ENKUlT_T0_E_clISt17integral_constantIbLb1EES16_EEDaS11_S12_EUlS11_E_NS1_11comp_targetILNS1_3genE5ELNS1_11target_archE942ELNS1_3gpuE9ELNS1_3repE0EEENS1_30default_config_static_selectorELNS0_4arch9wavefront6targetE1EEEvT1_, .Lfunc_end157-_ZN7rocprim17ROCPRIM_400000_NS6detail17trampoline_kernelINS0_14default_configENS1_25partition_config_selectorILNS1_17partition_subalgoE5EiNS0_10empty_typeEbEEZZNS1_14partition_implILS5_5ELb0ES3_mPiPS6_N6thrust23THRUST_200600_302600_NS18transform_iteratorIN6dUtils5isOneIiEES9_NSC_11use_defaultESH_EENS0_5tupleIJS9_S6_EEENSJ_IJSA_SA_EEES6_PlJS6_EEE10hipError_tPvRmT3_T4_T5_T6_T7_T9_mT8_P12ihipStream_tbDpT10_ENKUlT_T0_E_clISt17integral_constantIbLb1EES16_EEDaS11_S12_EUlS11_E_NS1_11comp_targetILNS1_3genE5ELNS1_11target_archE942ELNS1_3gpuE9ELNS1_3repE0EEENS1_30default_config_static_selectorELNS0_4arch9wavefront6targetE1EEEvT1_
                                        ; -- End function
	.section	.AMDGPU.csdata,"",@progbits
; Kernel info:
; codeLenInByte = 0
; NumSgprs: 4
; NumVgprs: 0
; NumAgprs: 0
; TotalNumVgprs: 0
; ScratchSize: 0
; MemoryBound: 0
; FloatMode: 240
; IeeeMode: 1
; LDSByteSize: 0 bytes/workgroup (compile time only)
; SGPRBlocks: 0
; VGPRBlocks: 0
; NumSGPRsForWavesPerEU: 4
; NumVGPRsForWavesPerEU: 1
; AccumOffset: 4
; Occupancy: 8
; WaveLimiterHint : 0
; COMPUTE_PGM_RSRC2:SCRATCH_EN: 0
; COMPUTE_PGM_RSRC2:USER_SGPR: 6
; COMPUTE_PGM_RSRC2:TRAP_HANDLER: 0
; COMPUTE_PGM_RSRC2:TGID_X_EN: 1
; COMPUTE_PGM_RSRC2:TGID_Y_EN: 0
; COMPUTE_PGM_RSRC2:TGID_Z_EN: 0
; COMPUTE_PGM_RSRC2:TIDIG_COMP_CNT: 0
; COMPUTE_PGM_RSRC3_GFX90A:ACCUM_OFFSET: 0
; COMPUTE_PGM_RSRC3_GFX90A:TG_SPLIT: 0
	.section	.text._ZN7rocprim17ROCPRIM_400000_NS6detail17trampoline_kernelINS0_14default_configENS1_25partition_config_selectorILNS1_17partition_subalgoE5EiNS0_10empty_typeEbEEZZNS1_14partition_implILS5_5ELb0ES3_mPiPS6_N6thrust23THRUST_200600_302600_NS18transform_iteratorIN6dUtils5isOneIiEES9_NSC_11use_defaultESH_EENS0_5tupleIJS9_S6_EEENSJ_IJSA_SA_EEES6_PlJS6_EEE10hipError_tPvRmT3_T4_T5_T6_T7_T9_mT8_P12ihipStream_tbDpT10_ENKUlT_T0_E_clISt17integral_constantIbLb1EES16_EEDaS11_S12_EUlS11_E_NS1_11comp_targetILNS1_3genE4ELNS1_11target_archE910ELNS1_3gpuE8ELNS1_3repE0EEENS1_30default_config_static_selectorELNS0_4arch9wavefront6targetE1EEEvT1_,"axG",@progbits,_ZN7rocprim17ROCPRIM_400000_NS6detail17trampoline_kernelINS0_14default_configENS1_25partition_config_selectorILNS1_17partition_subalgoE5EiNS0_10empty_typeEbEEZZNS1_14partition_implILS5_5ELb0ES3_mPiPS6_N6thrust23THRUST_200600_302600_NS18transform_iteratorIN6dUtils5isOneIiEES9_NSC_11use_defaultESH_EENS0_5tupleIJS9_S6_EEENSJ_IJSA_SA_EEES6_PlJS6_EEE10hipError_tPvRmT3_T4_T5_T6_T7_T9_mT8_P12ihipStream_tbDpT10_ENKUlT_T0_E_clISt17integral_constantIbLb1EES16_EEDaS11_S12_EUlS11_E_NS1_11comp_targetILNS1_3genE4ELNS1_11target_archE910ELNS1_3gpuE8ELNS1_3repE0EEENS1_30default_config_static_selectorELNS0_4arch9wavefront6targetE1EEEvT1_,comdat
	.protected	_ZN7rocprim17ROCPRIM_400000_NS6detail17trampoline_kernelINS0_14default_configENS1_25partition_config_selectorILNS1_17partition_subalgoE5EiNS0_10empty_typeEbEEZZNS1_14partition_implILS5_5ELb0ES3_mPiPS6_N6thrust23THRUST_200600_302600_NS18transform_iteratorIN6dUtils5isOneIiEES9_NSC_11use_defaultESH_EENS0_5tupleIJS9_S6_EEENSJ_IJSA_SA_EEES6_PlJS6_EEE10hipError_tPvRmT3_T4_T5_T6_T7_T9_mT8_P12ihipStream_tbDpT10_ENKUlT_T0_E_clISt17integral_constantIbLb1EES16_EEDaS11_S12_EUlS11_E_NS1_11comp_targetILNS1_3genE4ELNS1_11target_archE910ELNS1_3gpuE8ELNS1_3repE0EEENS1_30default_config_static_selectorELNS0_4arch9wavefront6targetE1EEEvT1_ ; -- Begin function _ZN7rocprim17ROCPRIM_400000_NS6detail17trampoline_kernelINS0_14default_configENS1_25partition_config_selectorILNS1_17partition_subalgoE5EiNS0_10empty_typeEbEEZZNS1_14partition_implILS5_5ELb0ES3_mPiPS6_N6thrust23THRUST_200600_302600_NS18transform_iteratorIN6dUtils5isOneIiEES9_NSC_11use_defaultESH_EENS0_5tupleIJS9_S6_EEENSJ_IJSA_SA_EEES6_PlJS6_EEE10hipError_tPvRmT3_T4_T5_T6_T7_T9_mT8_P12ihipStream_tbDpT10_ENKUlT_T0_E_clISt17integral_constantIbLb1EES16_EEDaS11_S12_EUlS11_E_NS1_11comp_targetILNS1_3genE4ELNS1_11target_archE910ELNS1_3gpuE8ELNS1_3repE0EEENS1_30default_config_static_selectorELNS0_4arch9wavefront6targetE1EEEvT1_
	.globl	_ZN7rocprim17ROCPRIM_400000_NS6detail17trampoline_kernelINS0_14default_configENS1_25partition_config_selectorILNS1_17partition_subalgoE5EiNS0_10empty_typeEbEEZZNS1_14partition_implILS5_5ELb0ES3_mPiPS6_N6thrust23THRUST_200600_302600_NS18transform_iteratorIN6dUtils5isOneIiEES9_NSC_11use_defaultESH_EENS0_5tupleIJS9_S6_EEENSJ_IJSA_SA_EEES6_PlJS6_EEE10hipError_tPvRmT3_T4_T5_T6_T7_T9_mT8_P12ihipStream_tbDpT10_ENKUlT_T0_E_clISt17integral_constantIbLb1EES16_EEDaS11_S12_EUlS11_E_NS1_11comp_targetILNS1_3genE4ELNS1_11target_archE910ELNS1_3gpuE8ELNS1_3repE0EEENS1_30default_config_static_selectorELNS0_4arch9wavefront6targetE1EEEvT1_
	.p2align	8
	.type	_ZN7rocprim17ROCPRIM_400000_NS6detail17trampoline_kernelINS0_14default_configENS1_25partition_config_selectorILNS1_17partition_subalgoE5EiNS0_10empty_typeEbEEZZNS1_14partition_implILS5_5ELb0ES3_mPiPS6_N6thrust23THRUST_200600_302600_NS18transform_iteratorIN6dUtils5isOneIiEES9_NSC_11use_defaultESH_EENS0_5tupleIJS9_S6_EEENSJ_IJSA_SA_EEES6_PlJS6_EEE10hipError_tPvRmT3_T4_T5_T6_T7_T9_mT8_P12ihipStream_tbDpT10_ENKUlT_T0_E_clISt17integral_constantIbLb1EES16_EEDaS11_S12_EUlS11_E_NS1_11comp_targetILNS1_3genE4ELNS1_11target_archE910ELNS1_3gpuE8ELNS1_3repE0EEENS1_30default_config_static_selectorELNS0_4arch9wavefront6targetE1EEEvT1_,@function
_ZN7rocprim17ROCPRIM_400000_NS6detail17trampoline_kernelINS0_14default_configENS1_25partition_config_selectorILNS1_17partition_subalgoE5EiNS0_10empty_typeEbEEZZNS1_14partition_implILS5_5ELb0ES3_mPiPS6_N6thrust23THRUST_200600_302600_NS18transform_iteratorIN6dUtils5isOneIiEES9_NSC_11use_defaultESH_EENS0_5tupleIJS9_S6_EEENSJ_IJSA_SA_EEES6_PlJS6_EEE10hipError_tPvRmT3_T4_T5_T6_T7_T9_mT8_P12ihipStream_tbDpT10_ENKUlT_T0_E_clISt17integral_constantIbLb1EES16_EEDaS11_S12_EUlS11_E_NS1_11comp_targetILNS1_3genE4ELNS1_11target_archE910ELNS1_3gpuE8ELNS1_3repE0EEENS1_30default_config_static_selectorELNS0_4arch9wavefront6targetE1EEEvT1_: ; @_ZN7rocprim17ROCPRIM_400000_NS6detail17trampoline_kernelINS0_14default_configENS1_25partition_config_selectorILNS1_17partition_subalgoE5EiNS0_10empty_typeEbEEZZNS1_14partition_implILS5_5ELb0ES3_mPiPS6_N6thrust23THRUST_200600_302600_NS18transform_iteratorIN6dUtils5isOneIiEES9_NSC_11use_defaultESH_EENS0_5tupleIJS9_S6_EEENSJ_IJSA_SA_EEES6_PlJS6_EEE10hipError_tPvRmT3_T4_T5_T6_T7_T9_mT8_P12ihipStream_tbDpT10_ENKUlT_T0_E_clISt17integral_constantIbLb1EES16_EEDaS11_S12_EUlS11_E_NS1_11comp_targetILNS1_3genE4ELNS1_11target_archE910ELNS1_3gpuE8ELNS1_3repE0EEENS1_30default_config_static_selectorELNS0_4arch9wavefront6targetE1EEEvT1_
; %bb.0:
	s_load_dwordx2 s[6:7], s[4:5], 0x20
	s_load_dwordx2 s[14:15], s[4:5], 0x30
	s_load_dwordx2 s[2:3], s[4:5], 0x58
	s_load_dwordx4 s[16:19], s[4:5], 0x48
	s_load_dwordx2 s[22:23], s[4:5], 0x68
	v_cmp_eq_u32_e64 s[0:1], 0, v0
	s_and_saveexec_b64 s[8:9], s[0:1]
	s_cbranch_execz .LBB158_4
; %bb.1:
	s_mov_b64 s[12:13], exec
	v_mbcnt_lo_u32_b32 v1, s12, 0
	v_mbcnt_hi_u32_b32 v1, s13, v1
	v_cmp_eq_u32_e32 vcc, 0, v1
                                        ; implicit-def: $vgpr2
	s_and_saveexec_b64 s[10:11], vcc
	s_cbranch_execz .LBB158_3
; %bb.2:
	s_load_dwordx2 s[20:21], s[4:5], 0x78
	s_bcnt1_i32_b64 s12, s[12:13]
	v_mov_b32_e32 v2, 0
	v_mov_b32_e32 v3, s12
	s_waitcnt lgkmcnt(0)
	global_atomic_add v2, v2, v3, s[20:21] glc
.LBB158_3:
	s_or_b64 exec, exec, s[10:11]
	s_waitcnt vmcnt(0)
	v_readfirstlane_b32 s10, v2
	v_add_u32_e32 v1, s10, v1
	v_mov_b32_e32 v2, 0
	ds_write_b32 v2, v1
.LBB158_4:
	s_or_b64 exec, exec, s[8:9]
	v_mov_b32_e32 v1, 0
	s_load_dwordx4 s[8:11], s[4:5], 0x8
	s_load_dword s12, s[4:5], 0x70
	s_waitcnt lgkmcnt(0)
	s_barrier
	ds_read_b32 v4, v1
	s_waitcnt lgkmcnt(0)
	s_barrier
	global_load_dwordx2 v[12:13], v1, s[18:19]
	s_lshl_b64 s[4:5], s[10:11], 2
	v_mov_b32_e32 v3, s3
	s_add_u32 s13, s8, s4
	s_mul_i32 s3, s12, 0x700
	s_addc_u32 s26, s9, s5
	s_add_i32 s9, s3, s10
	s_sub_i32 s25, s2, s9
	s_add_i32 s18, s12, -1
	s_addk_i32 s25, 0x700
	v_mov_b32_e32 v2, s2
	s_add_u32 s2, s10, s3
	v_readfirstlane_b32 s24, v4
	s_addc_u32 s3, s11, 0
	s_cmp_eq_u32 s24, s18
	v_cmp_ge_u64_e32 vcc, s[2:3], v[2:3]
	s_cselect_b64 s[18:19], -1, 0
	s_mul_i32 s8, s24, 0x700
	s_mov_b32 s9, 0
	s_and_b64 s[10:11], vcc, s[18:19]
	s_xor_b64 s[20:21], s[10:11], -1
	s_lshl_b64 s[8:9], s[8:9], 2
	s_add_u32 s10, s13, s8
	s_mov_b64 s[2:3], -1
	s_addc_u32 s11, s26, s9
	s_and_b64 vcc, exec, s[20:21]
	s_cbranch_vccz .LBB158_6
; %bb.5:
	v_lshlrev_b32_e32 v1, 2, v0
	v_mov_b32_e32 v2, s11
	v_add_co_u32_e32 v3, vcc, s10, v1
	v_addc_co_u32_e32 v4, vcc, 0, v2, vcc
	v_add_co_u32_e32 v2, vcc, 0x1000, v3
	v_addc_co_u32_e32 v3, vcc, 0, v4, vcc
	global_load_dword v4, v1, s[10:11]
	global_load_dword v5, v1, s[10:11] offset:1024
	global_load_dword v6, v1, s[10:11] offset:2048
	;; [unrolled: 1-line block ×3, first 2 shown]
	global_load_dword v8, v[2:3], off
	global_load_dword v9, v[2:3], off offset:1024
	global_load_dword v10, v[2:3], off offset:2048
	s_mov_b64 s[2:3], 0
	s_waitcnt vmcnt(5)
	ds_write2st64_b32 v1, v4, v5 offset1:4
	s_waitcnt vmcnt(3)
	ds_write2st64_b32 v1, v6, v7 offset0:8 offset1:12
	s_waitcnt vmcnt(1)
	ds_write2st64_b32 v1, v8, v9 offset0:16 offset1:20
	s_waitcnt vmcnt(0)
	ds_write_b32 v1, v10 offset:6144
	s_waitcnt lgkmcnt(0)
	s_barrier
.LBB158_6:
	s_andn2_b64 vcc, exec, s[2:3]
	v_cmp_gt_u32_e64 s[2:3], s25, v0
	s_cbranch_vccnz .LBB158_22
; %bb.7:
                                        ; implicit-def: $vgpr2_vgpr3_vgpr4_vgpr5_vgpr6_vgpr7_vgpr8
	s_and_saveexec_b64 s[12:13], s[2:3]
	s_cbranch_execz .LBB158_9
; %bb.8:
	v_lshlrev_b32_e32 v1, 2, v0
	global_load_dword v2, v1, s[10:11]
.LBB158_9:
	s_or_b64 exec, exec, s[12:13]
	v_or_b32_e32 v1, 0x100, v0
	v_cmp_gt_u32_e32 vcc, s25, v1
	s_and_saveexec_b64 s[2:3], vcc
	s_cbranch_execz .LBB158_11
; %bb.10:
	v_lshlrev_b32_e32 v1, 2, v0
	global_load_dword v3, v1, s[10:11] offset:1024
.LBB158_11:
	s_or_b64 exec, exec, s[2:3]
	v_or_b32_e32 v1, 0x200, v0
	v_cmp_gt_u32_e32 vcc, s25, v1
	s_and_saveexec_b64 s[2:3], vcc
	s_cbranch_execz .LBB158_13
; %bb.12:
	v_lshlrev_b32_e32 v1, 2, v0
	global_load_dword v4, v1, s[10:11] offset:2048
.LBB158_13:
	;; [unrolled: 9-line block ×3, first 2 shown]
	s_or_b64 exec, exec, s[2:3]
	v_or_b32_e32 v1, 0x400, v0
	v_cmp_gt_u32_e32 vcc, s25, v1
	s_and_saveexec_b64 s[2:3], vcc
	s_cbranch_execz .LBB158_17
; %bb.16:
	v_lshlrev_b32_e32 v1, 2, v1
	global_load_dword v6, v1, s[10:11]
.LBB158_17:
	s_or_b64 exec, exec, s[2:3]
	v_or_b32_e32 v1, 0x500, v0
	v_cmp_gt_u32_e32 vcc, s25, v1
	s_and_saveexec_b64 s[2:3], vcc
	s_cbranch_execz .LBB158_19
; %bb.18:
	v_lshlrev_b32_e32 v1, 2, v1
	global_load_dword v7, v1, s[10:11]
.LBB158_19:
	;; [unrolled: 9-line block ×3, first 2 shown]
	s_or_b64 exec, exec, s[2:3]
	v_lshlrev_b32_e32 v1, 2, v0
	s_waitcnt vmcnt(0)
	ds_write2st64_b32 v1, v2, v3 offset1:4
	ds_write2st64_b32 v1, v4, v5 offset0:8 offset1:12
	ds_write2st64_b32 v1, v6, v7 offset0:16 offset1:20
	ds_write_b32 v1, v8 offset:6144
	s_waitcnt lgkmcnt(0)
	s_barrier
.LBB158_22:
	v_mul_u32_u24_e32 v1, 7, v0
	v_lshlrev_b32_e32 v1, 2, v1
	ds_read2_b32 v[16:17], v1 offset1:1
	ds_read2_b32 v[14:15], v1 offset0:2 offset1:3
	ds_read2_b32 v[10:11], v1 offset0:4 offset1:5
	ds_read_b32 v19, v1 offset:24
	s_add_u32 s2, s6, s4
	s_addc_u32 s3, s7, s5
	s_add_u32 s2, s2, s8
	s_addc_u32 s3, s3, s9
	s_mov_b64 s[4:5], -1
	s_and_b64 vcc, exec, s[20:21]
	s_waitcnt lgkmcnt(0)
	s_barrier
	s_cbranch_vccz .LBB158_24
; %bb.23:
	v_lshlrev_b32_e32 v2, 2, v0
	v_mov_b32_e32 v3, s3
	global_load_dword v4, v2, s[2:3]
	global_load_dword v5, v2, s[2:3] offset:1024
	global_load_dword v6, v2, s[2:3] offset:2048
	v_add_co_u32_e32 v7, vcc, s2, v2
	v_addc_co_u32_e32 v3, vcc, 0, v3, vcc
	global_load_dword v8, v2, s[2:3] offset:3072
	s_movk_i32 s4, 0x1000
	v_add_co_u32_e32 v2, vcc, s4, v7
	v_addc_co_u32_e32 v3, vcc, 0, v3, vcc
	global_load_dword v7, v[2:3], off
	global_load_dword v9, v[2:3], off offset:1024
	global_load_dword v18, v[2:3], off offset:2048
	s_mov_b64 s[4:5], 0
	s_waitcnt vmcnt(6)
	v_cmp_eq_u32_e32 vcc, 1, v4
	v_cndmask_b32_e64 v2, 0, 1, vcc
	s_waitcnt vmcnt(5)
	v_cmp_eq_u32_e32 vcc, 1, v5
	v_cndmask_b32_e64 v3, 0, 1, vcc
	;; [unrolled: 3-line block ×4, first 2 shown]
	ds_write_b8 v0, v2
	ds_write_b8 v0, v3 offset:256
	ds_write_b8 v0, v4 offset:512
	;; [unrolled: 1-line block ×3, first 2 shown]
	s_waitcnt vmcnt(2)
	v_cmp_eq_u32_e32 vcc, 1, v7
	v_cndmask_b32_e64 v2, 0, 1, vcc
	s_waitcnt vmcnt(1)
	v_cmp_eq_u32_e32 vcc, 1, v9
	v_cndmask_b32_e64 v3, 0, 1, vcc
	;; [unrolled: 3-line block ×3, first 2 shown]
	ds_write_b8 v0, v2 offset:1024
	ds_write_b8 v0, v3 offset:1280
	;; [unrolled: 1-line block ×3, first 2 shown]
	s_waitcnt lgkmcnt(0)
	s_barrier
.LBB158_24:
	s_andn2_b64 vcc, exec, s[4:5]
	s_cbranch_vccnz .LBB158_40
; %bb.25:
	v_cmp_gt_u32_e32 vcc, s25, v0
	v_mov_b32_e32 v2, 0
	v_mov_b32_e32 v3, 0
	s_and_saveexec_b64 s[4:5], vcc
	s_cbranch_execz .LBB158_27
; %bb.26:
	v_lshlrev_b32_e32 v3, 2, v0
	global_load_dword v3, v3, s[2:3]
	s_waitcnt vmcnt(0)
	v_cmp_eq_u32_e32 vcc, 1, v3
	v_cndmask_b32_e64 v3, 0, 1, vcc
.LBB158_27:
	s_or_b64 exec, exec, s[4:5]
	v_or_b32_e32 v4, 0x100, v0
	v_cmp_gt_u32_e32 vcc, s25, v4
	s_and_saveexec_b64 s[4:5], vcc
	s_cbranch_execz .LBB158_29
; %bb.28:
	v_lshlrev_b32_e32 v2, 2, v0
	global_load_dword v2, v2, s[2:3] offset:1024
	s_waitcnt vmcnt(0)
	v_cmp_eq_u32_e32 vcc, 1, v2
	v_cndmask_b32_e64 v2, 0, 1, vcc
.LBB158_29:
	s_or_b64 exec, exec, s[4:5]
	v_or_b32_e32 v4, 0x200, v0
	v_cmp_gt_u32_e32 vcc, s25, v4
	v_mov_b32_e32 v4, 0
	v_mov_b32_e32 v5, 0
	s_and_saveexec_b64 s[4:5], vcc
	s_cbranch_execz .LBB158_31
; %bb.30:
	v_lshlrev_b32_e32 v5, 2, v0
	global_load_dword v5, v5, s[2:3] offset:2048
	s_waitcnt vmcnt(0)
	v_cmp_eq_u32_e32 vcc, 1, v5
	v_cndmask_b32_e64 v5, 0, 1, vcc
.LBB158_31:
	s_or_b64 exec, exec, s[4:5]
	v_or_b32_e32 v6, 0x300, v0
	v_cmp_gt_u32_e32 vcc, s25, v6
	s_and_saveexec_b64 s[4:5], vcc
	s_cbranch_execz .LBB158_33
; %bb.32:
	v_lshlrev_b32_e32 v4, 2, v0
	global_load_dword v4, v4, s[2:3] offset:3072
	s_waitcnt vmcnt(0)
	v_cmp_eq_u32_e32 vcc, 1, v4
	v_cndmask_b32_e64 v4, 0, 1, vcc
.LBB158_33:
	s_or_b64 exec, exec, s[4:5]
	v_or_b32_e32 v8, 0x400, v0
	v_cmp_gt_u32_e32 vcc, s25, v8
	v_mov_b32_e32 v6, 0
	v_mov_b32_e32 v7, 0
	s_and_saveexec_b64 s[4:5], vcc
	s_cbranch_execz .LBB158_35
; %bb.34:
	v_lshlrev_b32_e32 v7, 2, v8
	global_load_dword v7, v7, s[2:3]
	s_waitcnt vmcnt(0)
	v_cmp_eq_u32_e32 vcc, 1, v7
	v_cndmask_b32_e64 v7, 0, 1, vcc
.LBB158_35:
	s_or_b64 exec, exec, s[4:5]
	v_or_b32_e32 v8, 0x500, v0
	v_cmp_gt_u32_e32 vcc, s25, v8
	s_and_saveexec_b64 s[4:5], vcc
	s_cbranch_execz .LBB158_37
; %bb.36:
	v_lshlrev_b32_e32 v6, 2, v8
	global_load_dword v6, v6, s[2:3]
	s_waitcnt vmcnt(0)
	v_cmp_eq_u32_e32 vcc, 1, v6
	v_cndmask_b32_e64 v6, 0, 1, vcc
.LBB158_37:
	s_or_b64 exec, exec, s[4:5]
	v_or_b32_e32 v9, 0x600, v0
	v_cmp_gt_u32_e32 vcc, s25, v9
	v_mov_b32_e32 v8, 0
	s_and_saveexec_b64 s[4:5], vcc
	s_cbranch_execz .LBB158_39
; %bb.38:
	v_lshlrev_b32_e32 v8, 2, v9
	global_load_dword v8, v8, s[2:3]
	s_waitcnt vmcnt(0)
	v_cmp_eq_u32_e32 vcc, 1, v8
	v_cndmask_b32_e64 v8, 0, 1, vcc
.LBB158_39:
	s_or_b64 exec, exec, s[4:5]
	ds_write_b8 v0, v3
	ds_write_b8 v0, v2 offset:256
	ds_write_b8 v0, v5 offset:512
	ds_write_b8 v0, v4 offset:768
	ds_write_b8 v0, v7 offset:1024
	ds_write_b8 v0, v6 offset:1280
	ds_write_b8 v0, v8 offset:1536
	s_waitcnt lgkmcnt(0)
	s_barrier
.LBB158_40:
	s_movk_i32 s2, 0xffeb
	v_mad_i32_i24 v25, v0, s2, v1
	ds_read_u8 v1, v25
	ds_read_u8 v2, v25 offset:1
	ds_read_u8 v3, v25 offset:2
	ds_read_u8 v4, v25 offset:3
	ds_read_u8 v5, v25 offset:4
	ds_read_u8 v6, v25 offset:5
	ds_read_u8 v7, v25 offset:6
	s_waitcnt lgkmcnt(6)
	v_and_b32_e32 v28, 1, v1
	s_waitcnt lgkmcnt(5)
	v_and_b32_e32 v26, 1, v2
	s_waitcnt lgkmcnt(4)
	v_and_b32_e32 v24, 1, v3
	v_add_co_u32_e32 v2, vcc, v26, v28
	v_addc_co_u32_e64 v3, s[2:3], 0, 0, vcc
	v_add_co_u32_e32 v2, vcc, v2, v24
	s_waitcnt lgkmcnt(3)
	v_and_b32_e32 v22, 1, v4
	v_addc_co_u32_e32 v3, vcc, 0, v3, vcc
	v_add_co_u32_e32 v2, vcc, v2, v22
	s_waitcnt lgkmcnt(2)
	v_and_b32_e32 v20, 1, v5
	v_addc_co_u32_e32 v3, vcc, 0, v3, vcc
	;; [unrolled: 4-line block ×4, first 2 shown]
	v_add_co_u32_e32 v30, vcc, v2, v21
	v_mbcnt_lo_u32_b32 v2, -1, 0
	v_mbcnt_hi_u32_b32 v23, -1, v2
	v_addc_co_u32_e32 v31, vcc, 0, v3, vcc
	v_and_b32_e32 v29, 15, v23
	s_cmp_lg_u32 s24, 0
	v_mov_b32_e32 v1, 0
	v_cmp_eq_u32_e64 s[4:5], 0, v29
	v_cmp_lt_u32_e64 s[2:3], 1, v29
	v_cmp_lt_u32_e64 s[10:11], 3, v29
	;; [unrolled: 1-line block ×3, first 2 shown]
	v_and_b32_e32 v27, 16, v23
	v_cmp_eq_u32_e64 s[6:7], 0, v23
	v_cmp_ne_u32_e32 vcc, 0, v23
	s_barrier
	s_cbranch_scc0 .LBB158_73
; %bb.41:
	v_mov_b32_dpp v2, v30 row_shr:1 row_mask:0xf bank_mask:0xf
	v_add_co_u32_e64 v2, s[12:13], v30, v2
	v_addc_co_u32_e64 v3, s[12:13], 0, v31, s[12:13]
	v_mov_b32_dpp v1, v1 row_shr:1 row_mask:0xf bank_mask:0xf
	v_add_co_u32_e64 v4, s[12:13], 0, v2
	v_addc_co_u32_e64 v1, s[12:13], v1, v3, s[12:13]
	v_cndmask_b32_e64 v2, v2, v30, s[4:5]
	v_cndmask_b32_e64 v3, v1, 0, s[4:5]
	v_cndmask_b32_e64 v4, v4, v30, s[4:5]
	v_mov_b32_dpp v5, v2 row_shr:2 row_mask:0xf bank_mask:0xf
	v_cndmask_b32_e64 v1, v1, v31, s[4:5]
	v_mov_b32_dpp v6, v3 row_shr:2 row_mask:0xf bank_mask:0xf
	v_add_co_u32_e64 v5, s[12:13], v5, v4
	v_addc_co_u32_e64 v6, s[12:13], v6, v1, s[12:13]
	v_cndmask_b32_e64 v2, v2, v5, s[2:3]
	v_cndmask_b32_e64 v3, v3, v6, s[2:3]
	v_cndmask_b32_e64 v4, v4, v5, s[2:3]
	v_mov_b32_dpp v5, v2 row_shr:4 row_mask:0xf bank_mask:0xf
	v_cndmask_b32_e64 v1, v1, v6, s[2:3]
	;; [unrolled: 8-line block ×3, first 2 shown]
	v_mov_b32_dpp v6, v3 row_shr:8 row_mask:0xf bank_mask:0xf
	v_add_co_u32_e64 v5, s[10:11], v5, v4
	v_addc_co_u32_e64 v6, s[10:11], v6, v1, s[10:11]
	v_cndmask_b32_e64 v2, v2, v5, s[8:9]
	v_cndmask_b32_e64 v3, v3, v6, s[8:9]
	;; [unrolled: 1-line block ×3, first 2 shown]
	v_mov_b32_dpp v5, v2 row_bcast:15 row_mask:0xf bank_mask:0xf
	v_cndmask_b32_e64 v1, v1, v6, s[8:9]
	v_mov_b32_dpp v6, v3 row_bcast:15 row_mask:0xf bank_mask:0xf
	v_add_co_u32_e64 v5, s[8:9], v5, v4
	v_addc_co_u32_e64 v7, s[8:9], v6, v1, s[8:9]
	v_cmp_eq_u32_e64 s[8:9], 0, v27
	v_cndmask_b32_e64 v3, v7, v3, s[8:9]
	v_cndmask_b32_e64 v2, v5, v2, s[8:9]
	s_nop 0
	v_mov_b32_dpp v8, v3 row_bcast:31 row_mask:0xf bank_mask:0xf
	v_mov_b32_dpp v6, v2 row_bcast:31 row_mask:0xf bank_mask:0xf
	v_pk_mov_b32 v[2:3], v[30:31], v[30:31] op_sel:[0,1]
	s_and_saveexec_b64 s[10:11], vcc
; %bb.42:
	v_cmp_lt_u32_e32 vcc, 31, v23
	v_cndmask_b32_e64 v2, v5, v4, s[8:9]
	v_cndmask_b32_e32 v4, 0, v6, vcc
	v_cndmask_b32_e64 v1, v7, v1, s[8:9]
	v_cndmask_b32_e32 v3, 0, v8, vcc
	v_add_co_u32_e32 v2, vcc, v4, v2
	v_addc_co_u32_e32 v3, vcc, v3, v1, vcc
; %bb.43:
	s_or_b64 exec, exec, s[10:11]
	v_or_b32_e32 v4, 63, v0
	v_lshrrev_b32_e32 v1, 6, v0
	v_cmp_eq_u32_e32 vcc, v4, v0
	s_and_saveexec_b64 s[8:9], vcc
	s_cbranch_execz .LBB158_45
; %bb.44:
	v_lshlrev_b32_e32 v4, 3, v1
	ds_write_b64 v4, v[2:3]
.LBB158_45:
	s_or_b64 exec, exec, s[8:9]
	v_cmp_gt_u32_e32 vcc, 4, v0
	s_waitcnt lgkmcnt(0)
	s_barrier
	s_and_saveexec_b64 s[10:11], vcc
	s_cbranch_execz .LBB158_47
; %bb.46:
	v_lshlrev_b32_e32 v6, 3, v0
	ds_read_b64 v[4:5], v6
	v_and_b32_e32 v7, 3, v23
	v_cmp_ne_u32_e64 s[8:9], 1, v7
	s_waitcnt lgkmcnt(0)
	v_mov_b32_dpp v8, v4 row_shr:1 row_mask:0xf bank_mask:0xf
	v_add_co_u32_e32 v8, vcc, v4, v8
	v_addc_co_u32_e32 v32, vcc, 0, v5, vcc
	v_mov_b32_dpp v9, v5 row_shr:1 row_mask:0xf bank_mask:0xf
	v_add_co_u32_e32 v33, vcc, 0, v8
	v_addc_co_u32_e32 v9, vcc, v9, v32, vcc
	v_cmp_eq_u32_e32 vcc, 0, v7
	v_cndmask_b32_e32 v8, v8, v4, vcc
	v_cndmask_b32_e32 v32, v9, v5, vcc
	s_nop 0
	v_mov_b32_dpp v8, v8 row_shr:2 row_mask:0xf bank_mask:0xf
	v_mov_b32_dpp v32, v32 row_shr:2 row_mask:0xf bank_mask:0xf
	v_cndmask_b32_e64 v7, 0, v8, s[8:9]
	v_cndmask_b32_e64 v8, 0, v32, s[8:9]
	v_add_co_u32_e64 v7, s[8:9], v7, v33
	v_addc_co_u32_e64 v8, s[8:9], v8, v9, s[8:9]
	v_cndmask_b32_e32 v5, v8, v5, vcc
	v_cndmask_b32_e32 v4, v7, v4, vcc
	ds_write_b64 v6, v[4:5]
.LBB158_47:
	s_or_b64 exec, exec, s[10:11]
	v_cmp_gt_u32_e32 vcc, 64, v0
	v_cmp_lt_u32_e64 s[8:9], 63, v0
	s_waitcnt lgkmcnt(0)
	s_barrier
	s_waitcnt lgkmcnt(0)
                                        ; implicit-def: $vgpr32_vgpr33
	s_and_saveexec_b64 s[10:11], s[8:9]
	s_cbranch_execz .LBB158_49
; %bb.48:
	v_lshl_add_u32 v1, v1, 3, -8
	ds_read_b64 v[32:33], v1
	s_waitcnt lgkmcnt(0)
	v_add_co_u32_e64 v2, s[8:9], v32, v2
	v_addc_co_u32_e64 v3, s[8:9], v33, v3, s[8:9]
.LBB158_49:
	s_or_b64 exec, exec, s[10:11]
	v_add_u32_e32 v1, -1, v23
	v_and_b32_e32 v4, 64, v23
	v_cmp_lt_i32_e64 s[8:9], v1, v4
	v_cndmask_b32_e64 v1, v1, v23, s[8:9]
	v_lshlrev_b32_e32 v1, 2, v1
	ds_bpermute_b32 v40, v1, v2
	ds_bpermute_b32 v1, v1, v3
	s_and_saveexec_b64 s[12:13], vcc
	s_cbranch_execz .LBB158_72
; %bb.50:
	v_mov_b32_e32 v5, 0
	ds_read_b64 v[2:3], v5 offset:24
	s_and_saveexec_b64 s[8:9], s[6:7]
	s_cbranch_execz .LBB158_52
; %bb.51:
	s_add_i32 s10, s24, 64
	s_mov_b32 s11, 0
	s_lshl_b64 s[10:11], s[10:11], 4
	s_add_u32 s10, s22, s10
	s_addc_u32 s11, s23, s11
	v_mov_b32_e32 v4, 1
	v_pk_mov_b32 v[6:7], s[10:11], s[10:11] op_sel:[0,1]
	s_waitcnt lgkmcnt(0)
	;;#ASMSTART
	global_store_dwordx4 v[6:7], v[2:5] off	
s_waitcnt vmcnt(0)
	;;#ASMEND
.LBB158_52:
	s_or_b64 exec, exec, s[8:9]
	v_xad_u32 v34, v23, -1, s24
	v_add_u32_e32 v4, 64, v34
	v_lshlrev_b64 v[6:7], 4, v[4:5]
	v_mov_b32_e32 v4, s23
	v_add_co_u32_e32 v36, vcc, s22, v6
	v_addc_co_u32_e32 v37, vcc, v4, v7, vcc
	;;#ASMSTART
	global_load_dwordx4 v[6:9], v[36:37] off glc	
s_waitcnt vmcnt(0)
	;;#ASMEND
	v_and_b32_e32 v4, 0xff, v7
	v_and_b32_e32 v9, 0xff00, v7
	v_or3_b32 v4, 0, v4, v9
	v_or3_b32 v6, v6, 0, 0
	v_and_b32_e32 v9, 0xff000000, v7
	v_and_b32_e32 v7, 0xff0000, v7
	v_or3_b32 v7, v4, v7, v9
	v_or3_b32 v6, v6, 0, 0
	v_cmp_eq_u16_sdwa s[10:11], v8, v5 src0_sel:BYTE_0 src1_sel:DWORD
	s_and_saveexec_b64 s[8:9], s[10:11]
	s_cbranch_execz .LBB158_58
; %bb.53:
	s_mov_b32 s25, 1
	s_mov_b64 s[10:11], 0
	v_mov_b32_e32 v4, 0
.LBB158_54:                             ; =>This Loop Header: Depth=1
                                        ;     Child Loop BB158_55 Depth 2
	s_max_u32 s26, s25, 1
.LBB158_55:                             ;   Parent Loop BB158_54 Depth=1
                                        ; =>  This Inner Loop Header: Depth=2
	s_add_i32 s26, s26, -1
	s_cmp_eq_u32 s26, 0
	s_sleep 1
	s_cbranch_scc0 .LBB158_55
; %bb.56:                               ;   in Loop: Header=BB158_54 Depth=1
	s_cmp_lt_u32 s25, 32
	s_cselect_b64 s[26:27], -1, 0
	s_cmp_lg_u64 s[26:27], 0
	s_addc_u32 s25, s25, 0
	;;#ASMSTART
	global_load_dwordx4 v[6:9], v[36:37] off glc	
s_waitcnt vmcnt(0)
	;;#ASMEND
	v_cmp_ne_u16_sdwa s[26:27], v8, v4 src0_sel:BYTE_0 src1_sel:DWORD
	s_or_b64 s[10:11], s[26:27], s[10:11]
	s_andn2_b64 exec, exec, s[10:11]
	s_cbranch_execnz .LBB158_54
; %bb.57:
	s_or_b64 exec, exec, s[10:11]
.LBB158_58:
	s_or_b64 exec, exec, s[8:9]
	v_and_b32_e32 v42, 63, v23
	v_mov_b32_e32 v41, 2
	v_cmp_ne_u32_e32 vcc, 63, v42
	v_cmp_eq_u16_sdwa s[8:9], v8, v41 src0_sel:BYTE_0 src1_sel:DWORD
	v_lshlrev_b64 v[36:37], v23, -1
	v_addc_co_u32_e32 v9, vcc, 0, v23, vcc
	v_and_b32_e32 v4, s9, v37
	v_lshlrev_b32_e32 v43, 2, v9
	v_or_b32_e32 v4, 0x80000000, v4
	ds_bpermute_b32 v9, v43, v6
	v_and_b32_e32 v5, s8, v36
	v_ffbl_b32_e32 v4, v4
	v_add_u32_e32 v4, 32, v4
	v_ffbl_b32_e32 v5, v5
	v_min_u32_e32 v4, v5, v4
	ds_bpermute_b32 v5, v43, v7
	s_waitcnt lgkmcnt(1)
	v_add_co_u32_e32 v9, vcc, v6, v9
	v_addc_co_u32_e32 v38, vcc, 0, v7, vcc
	v_add_co_u32_e32 v39, vcc, 0, v9
	v_cmp_gt_u32_e64 s[8:9], 62, v42
	s_waitcnt lgkmcnt(0)
	v_addc_co_u32_e32 v5, vcc, v5, v38, vcc
	v_cndmask_b32_e64 v38, 0, 1, s[8:9]
	v_cmp_lt_u32_e32 vcc, v42, v4
	v_lshlrev_b32_e32 v38, 1, v38
	v_cndmask_b32_e32 v9, v6, v9, vcc
	v_add_lshl_u32 v44, v38, v23, 2
	v_cndmask_b32_e32 v5, v7, v5, vcc
	ds_bpermute_b32 v38, v44, v9
	ds_bpermute_b32 v46, v44, v5
	v_cndmask_b32_e32 v39, v6, v39, vcc
	v_add_u32_e32 v45, 2, v42
	v_cmp_gt_u32_e64 s[10:11], 60, v42
	s_waitcnt lgkmcnt(1)
	v_add_co_u32_e64 v38, s[8:9], v38, v39
	s_waitcnt lgkmcnt(0)
	v_addc_co_u32_e64 v46, s[8:9], v46, v5, s[8:9]
	v_cmp_gt_u32_e64 s[8:9], v45, v4
	v_cndmask_b32_e64 v5, v46, v5, s[8:9]
	v_cndmask_b32_e64 v46, 0, 1, s[10:11]
	v_lshlrev_b32_e32 v46, 2, v46
	v_cndmask_b32_e64 v9, v38, v9, s[8:9]
	v_add_lshl_u32 v46, v46, v23, 2
	ds_bpermute_b32 v48, v46, v9
	v_cndmask_b32_e64 v38, v38, v39, s[8:9]
	ds_bpermute_b32 v39, v46, v5
	v_add_u32_e32 v47, 4, v42
	v_cmp_gt_u32_e64 s[10:11], 56, v42
	s_waitcnt lgkmcnt(1)
	v_add_co_u32_e64 v49, s[8:9], v48, v38
	s_waitcnt lgkmcnt(0)
	v_addc_co_u32_e64 v39, s[8:9], v39, v5, s[8:9]
	v_cmp_gt_u32_e64 s[8:9], v47, v4
	v_cndmask_b32_e64 v5, v39, v5, s[8:9]
	v_cndmask_b32_e64 v39, 0, 1, s[10:11]
	v_lshlrev_b32_e32 v39, 3, v39
	v_cndmask_b32_e64 v9, v49, v9, s[8:9]
	v_add_lshl_u32 v48, v39, v23, 2
	ds_bpermute_b32 v39, v48, v9
	ds_bpermute_b32 v50, v48, v5
	v_cndmask_b32_e64 v38, v49, v38, s[8:9]
	v_add_u32_e32 v49, 8, v42
	v_cmp_gt_u32_e64 s[10:11], 48, v42
	s_waitcnt lgkmcnt(1)
	v_add_co_u32_e64 v39, s[8:9], v39, v38
	s_waitcnt lgkmcnt(0)
	v_addc_co_u32_e64 v50, s[8:9], v50, v5, s[8:9]
	v_cmp_gt_u32_e64 s[8:9], v49, v4
	v_cndmask_b32_e64 v5, v50, v5, s[8:9]
	v_cndmask_b32_e64 v50, 0, 1, s[10:11]
	v_lshlrev_b32_e32 v50, 4, v50
	v_cndmask_b32_e64 v9, v39, v9, s[8:9]
	v_add_lshl_u32 v50, v50, v23, 2
	ds_bpermute_b32 v52, v50, v9
	v_cndmask_b32_e64 v38, v39, v38, s[8:9]
	ds_bpermute_b32 v39, v50, v5
	v_cmp_gt_u32_e64 s[10:11], 32, v42
	v_add_u32_e32 v51, 16, v42
	s_waitcnt lgkmcnt(1)
	v_add_co_u32_e64 v54, s[8:9], v52, v38
	s_waitcnt lgkmcnt(0)
	v_addc_co_u32_e64 v39, s[8:9], v39, v5, s[8:9]
	v_cndmask_b32_e64 v52, 0, 1, s[10:11]
	v_cmp_gt_u32_e64 s[8:9], v51, v4
	v_lshlrev_b32_e32 v52, 5, v52
	v_cndmask_b32_e64 v9, v54, v9, s[8:9]
	v_add_lshl_u32 v52, v52, v23, 2
	v_cndmask_b32_e64 v5, v39, v5, s[8:9]
	ds_bpermute_b32 v9, v52, v9
	ds_bpermute_b32 v39, v52, v5
	v_add_u32_e32 v53, 32, v42
	v_cndmask_b32_e64 v38, v54, v38, s[8:9]
	v_cmp_le_u32_e64 s[8:9], v53, v4
	s_waitcnt lgkmcnt(1)
	v_cndmask_b32_e64 v9, 0, v9, s[8:9]
	s_waitcnt lgkmcnt(0)
	v_cndmask_b32_e64 v4, 0, v39, s[8:9]
	v_add_co_u32_e64 v9, s[8:9], v9, v38
	v_addc_co_u32_e64 v4, s[8:9], v4, v5, s[8:9]
	v_mov_b32_e32 v35, 0
	v_cndmask_b32_e32 v7, v7, v4, vcc
	v_cndmask_b32_e32 v6, v6, v9, vcc
	s_branch .LBB158_60
.LBB158_59:                             ;   in Loop: Header=BB158_60 Depth=1
	s_or_b64 exec, exec, s[8:9]
	v_cmp_eq_u16_sdwa s[8:9], v8, v41 src0_sel:BYTE_0 src1_sel:DWORD
	v_and_b32_e32 v9, s9, v37
	v_or_b32_e32 v9, 0x80000000, v9
	ds_bpermute_b32 v39, v43, v6
	v_and_b32_e32 v38, s8, v36
	v_ffbl_b32_e32 v9, v9
	v_add_u32_e32 v9, 32, v9
	v_ffbl_b32_e32 v38, v38
	v_min_u32_e32 v9, v38, v9
	ds_bpermute_b32 v38, v43, v7
	s_waitcnt lgkmcnt(1)
	v_add_co_u32_e32 v39, vcc, v6, v39
	v_addc_co_u32_e32 v54, vcc, 0, v7, vcc
	v_add_co_u32_e32 v55, vcc, 0, v39
	s_waitcnt lgkmcnt(0)
	v_addc_co_u32_e32 v38, vcc, v38, v54, vcc
	v_cmp_lt_u32_e32 vcc, v42, v9
	v_cndmask_b32_e32 v39, v6, v39, vcc
	ds_bpermute_b32 v54, v44, v39
	v_cndmask_b32_e32 v38, v7, v38, vcc
	ds_bpermute_b32 v56, v44, v38
	v_cndmask_b32_e32 v55, v6, v55, vcc
	v_subrev_u32_e32 v34, 64, v34
	s_waitcnt lgkmcnt(1)
	v_add_co_u32_e64 v54, s[8:9], v54, v55
	s_waitcnt lgkmcnt(0)
	v_addc_co_u32_e64 v56, s[8:9], v56, v38, s[8:9]
	v_cmp_gt_u32_e64 s[8:9], v45, v9
	v_cndmask_b32_e64 v39, v54, v39, s[8:9]
	ds_bpermute_b32 v57, v46, v39
	v_cndmask_b32_e64 v38, v56, v38, s[8:9]
	ds_bpermute_b32 v56, v46, v38
	v_cndmask_b32_e64 v54, v54, v55, s[8:9]
	s_waitcnt lgkmcnt(1)
	v_add_co_u32_e64 v55, s[8:9], v57, v54
	s_waitcnt lgkmcnt(0)
	v_addc_co_u32_e64 v56, s[8:9], v56, v38, s[8:9]
	v_cmp_gt_u32_e64 s[8:9], v47, v9
	v_cndmask_b32_e64 v39, v55, v39, s[8:9]
	ds_bpermute_b32 v57, v48, v39
	v_cndmask_b32_e64 v38, v56, v38, s[8:9]
	ds_bpermute_b32 v56, v48, v38
	v_cndmask_b32_e64 v54, v55, v54, s[8:9]
	s_waitcnt lgkmcnt(1)
	v_add_co_u32_e64 v55, s[8:9], v57, v54
	s_waitcnt lgkmcnt(0)
	v_addc_co_u32_e64 v56, s[8:9], v56, v38, s[8:9]
	v_cmp_gt_u32_e64 s[8:9], v49, v9
	v_cndmask_b32_e64 v39, v55, v39, s[8:9]
	ds_bpermute_b32 v57, v50, v39
	v_cndmask_b32_e64 v38, v56, v38, s[8:9]
	ds_bpermute_b32 v56, v50, v38
	v_cndmask_b32_e64 v54, v55, v54, s[8:9]
	s_waitcnt lgkmcnt(1)
	v_add_co_u32_e64 v55, s[8:9], v57, v54
	s_waitcnt lgkmcnt(0)
	v_addc_co_u32_e64 v56, s[8:9], v56, v38, s[8:9]
	v_cmp_gt_u32_e64 s[8:9], v51, v9
	v_cndmask_b32_e64 v39, v55, v39, s[8:9]
	v_cndmask_b32_e64 v38, v56, v38, s[8:9]
	ds_bpermute_b32 v39, v52, v39
	ds_bpermute_b32 v56, v52, v38
	v_cndmask_b32_e64 v54, v55, v54, s[8:9]
	v_cmp_le_u32_e64 s[8:9], v53, v9
	s_waitcnt lgkmcnt(1)
	v_cndmask_b32_e64 v39, 0, v39, s[8:9]
	s_waitcnt lgkmcnt(0)
	v_cndmask_b32_e64 v9, 0, v56, s[8:9]
	v_add_co_u32_e64 v39, s[8:9], v39, v54
	v_addc_co_u32_e64 v9, s[8:9], v9, v38, s[8:9]
	v_cndmask_b32_e32 v6, v6, v39, vcc
	v_cndmask_b32_e32 v7, v7, v9, vcc
	v_add_co_u32_e32 v6, vcc, v6, v4
	v_addc_co_u32_e32 v7, vcc, v7, v5, vcc
.LBB158_60:                             ; =>This Loop Header: Depth=1
                                        ;     Child Loop BB158_63 Depth 2
                                        ;       Child Loop BB158_64 Depth 3
	v_cmp_ne_u16_sdwa s[8:9], v8, v41 src0_sel:BYTE_0 src1_sel:DWORD
	v_cndmask_b32_e64 v4, 0, 1, s[8:9]
	;;#ASMSTART
	;;#ASMEND
	v_cmp_ne_u32_e32 vcc, 0, v4
	s_cmp_lg_u64 vcc, exec
	v_pk_mov_b32 v[4:5], v[6:7], v[6:7] op_sel:[0,1]
	s_cbranch_scc1 .LBB158_67
; %bb.61:                               ;   in Loop: Header=BB158_60 Depth=1
	v_lshlrev_b64 v[6:7], 4, v[34:35]
	v_mov_b32_e32 v8, s23
	v_add_co_u32_e32 v38, vcc, s22, v6
	v_addc_co_u32_e32 v39, vcc, v8, v7, vcc
	;;#ASMSTART
	global_load_dwordx4 v[6:9], v[38:39] off glc	
s_waitcnt vmcnt(0)
	;;#ASMEND
	v_and_b32_e32 v9, 0xff, v7
	v_and_b32_e32 v54, 0xff00, v7
	v_or3_b32 v9, 0, v9, v54
	v_or3_b32 v6, v6, 0, 0
	v_and_b32_e32 v54, 0xff000000, v7
	v_and_b32_e32 v7, 0xff0000, v7
	v_or3_b32 v7, v9, v7, v54
	v_or3_b32 v6, v6, 0, 0
	v_cmp_eq_u16_sdwa s[10:11], v8, v35 src0_sel:BYTE_0 src1_sel:DWORD
	s_and_saveexec_b64 s[8:9], s[10:11]
	s_cbranch_execz .LBB158_59
; %bb.62:                               ;   in Loop: Header=BB158_60 Depth=1
	s_mov_b32 s25, 1
	s_mov_b64 s[10:11], 0
.LBB158_63:                             ;   Parent Loop BB158_60 Depth=1
                                        ; =>  This Loop Header: Depth=2
                                        ;       Child Loop BB158_64 Depth 3
	s_max_u32 s26, s25, 1
.LBB158_64:                             ;   Parent Loop BB158_60 Depth=1
                                        ;     Parent Loop BB158_63 Depth=2
                                        ; =>    This Inner Loop Header: Depth=3
	s_add_i32 s26, s26, -1
	s_cmp_eq_u32 s26, 0
	s_sleep 1
	s_cbranch_scc0 .LBB158_64
; %bb.65:                               ;   in Loop: Header=BB158_63 Depth=2
	s_cmp_lt_u32 s25, 32
	s_cselect_b64 s[26:27], -1, 0
	s_cmp_lg_u64 s[26:27], 0
	s_addc_u32 s25, s25, 0
	;;#ASMSTART
	global_load_dwordx4 v[6:9], v[38:39] off glc	
s_waitcnt vmcnt(0)
	;;#ASMEND
	v_cmp_ne_u16_sdwa s[26:27], v8, v35 src0_sel:BYTE_0 src1_sel:DWORD
	s_or_b64 s[10:11], s[26:27], s[10:11]
	s_andn2_b64 exec, exec, s[10:11]
	s_cbranch_execnz .LBB158_63
; %bb.66:                               ;   in Loop: Header=BB158_60 Depth=1
	s_or_b64 exec, exec, s[10:11]
	s_branch .LBB158_59
.LBB158_67:                             ;   in Loop: Header=BB158_60 Depth=1
                                        ; implicit-def: $vgpr6_vgpr7
                                        ; implicit-def: $vgpr8
	s_cbranch_execz .LBB158_60
; %bb.68:
	s_and_saveexec_b64 s[8:9], s[6:7]
	s_cbranch_execz .LBB158_70
; %bb.69:
	s_add_i32 s10, s24, 64
	s_mov_b32 s11, 0
	s_lshl_b64 s[10:11], s[10:11], 4
	s_add_u32 s10, s22, s10
	v_add_co_u32_e32 v6, vcc, v4, v2
	s_addc_u32 s11, s23, s11
	v_addc_co_u32_e32 v7, vcc, v5, v3, vcc
	v_mov_b32_e32 v8, 2
	v_mov_b32_e32 v9, 0
	v_pk_mov_b32 v[34:35], s[10:11], s[10:11] op_sel:[0,1]
	;;#ASMSTART
	global_store_dwordx4 v[34:35], v[6:9] off	
s_waitcnt vmcnt(0)
	;;#ASMEND
	ds_write_b128 v9, v[2:5] offset:7168
.LBB158_70:
	s_or_b64 exec, exec, s[8:9]
	s_and_b64 exec, exec, s[0:1]
	s_cbranch_execz .LBB158_72
; %bb.71:
	v_mov_b32_e32 v2, 0
	ds_write_b64 v2, v[4:5] offset:24
.LBB158_72:
	s_or_b64 exec, exec, s[12:13]
	v_mov_b32_e32 v5, 0
	s_waitcnt lgkmcnt(0)
	s_barrier
	ds_read_b64 v[2:3], v5 offset:24
	v_cndmask_b32_e64 v4, v40, v32, s[6:7]
	v_cndmask_b32_e64 v1, v1, v33, s[6:7]
	v_cndmask_b32_e64 v4, v4, 0, s[0:1]
	v_cndmask_b32_e64 v1, v1, 0, s[0:1]
	s_waitcnt lgkmcnt(0)
	v_add_co_u32_e32 v40, vcc, v2, v4
	v_addc_co_u32_e32 v41, vcc, v3, v1, vcc
	v_add_co_u32_e32 v38, vcc, v40, v28
	v_addc_co_u32_e32 v39, vcc, 0, v41, vcc
	;; [unrolled: 2-line block ×5, first 2 shown]
	s_barrier
	ds_read_b128 v[4:7], v5 offset:7168
	v_add_co_u32_e32 v2, vcc, v32, v20
	v_addc_co_u32_e32 v3, vcc, 0, v33, vcc
	v_add_co_u32_e32 v8, vcc, v2, v18
	v_addc_co_u32_e32 v9, vcc, 0, v3, vcc
	s_branch .LBB158_85
.LBB158_73:
                                        ; implicit-def: $vgpr6_vgpr7
                                        ; implicit-def: $vgpr8_vgpr9
                                        ; implicit-def: $vgpr2_vgpr3
                                        ; implicit-def: $vgpr32_vgpr33
                                        ; implicit-def: $vgpr34_vgpr35
                                        ; implicit-def: $vgpr36_vgpr37
                                        ; implicit-def: $vgpr38_vgpr39
                                        ; implicit-def: $vgpr40_vgpr41
	s_cbranch_execz .LBB158_85
; %bb.74:
	v_mov_b32_dpp v1, v30 row_shr:1 row_mask:0xf bank_mask:0xf
	v_add_co_u32_e32 v1, vcc, v30, v1
	v_mov_b32_e32 v2, 0
	v_addc_co_u32_e32 v3, vcc, 0, v31, vcc
	s_nop 0
	v_mov_b32_dpp v2, v2 row_shr:1 row_mask:0xf bank_mask:0xf
	s_waitcnt lgkmcnt(0)
	v_add_co_u32_e32 v4, vcc, 0, v1
	v_addc_co_u32_e32 v2, vcc, v2, v3, vcc
	v_cndmask_b32_e64 v1, v1, v30, s[4:5]
	v_cndmask_b32_e64 v3, v2, 0, s[4:5]
	;; [unrolled: 1-line block ×3, first 2 shown]
	v_mov_b32_dpp v5, v1 row_shr:2 row_mask:0xf bank_mask:0xf
	v_cndmask_b32_e64 v2, v2, v31, s[4:5]
	v_mov_b32_dpp v6, v3 row_shr:2 row_mask:0xf bank_mask:0xf
	v_add_co_u32_e32 v5, vcc, v5, v4
	v_addc_co_u32_e32 v6, vcc, v6, v2, vcc
	v_cndmask_b32_e64 v1, v1, v5, s[2:3]
	v_cndmask_b32_e64 v3, v3, v6, s[2:3]
	;; [unrolled: 1-line block ×3, first 2 shown]
	v_mov_b32_dpp v5, v1 row_shr:4 row_mask:0xf bank_mask:0xf
	v_cndmask_b32_e64 v2, v2, v6, s[2:3]
	v_mov_b32_dpp v6, v3 row_shr:4 row_mask:0xf bank_mask:0xf
	v_add_co_u32_e32 v5, vcc, v5, v4
	v_addc_co_u32_e32 v6, vcc, v6, v2, vcc
	v_cmp_lt_u32_e32 vcc, 3, v29
	v_cndmask_b32_e32 v1, v1, v5, vcc
	v_cndmask_b32_e32 v3, v3, v6, vcc
	;; [unrolled: 1-line block ×3, first 2 shown]
	v_mov_b32_dpp v5, v1 row_shr:8 row_mask:0xf bank_mask:0xf
	v_cndmask_b32_e32 v2, v2, v6, vcc
	v_mov_b32_dpp v6, v3 row_shr:8 row_mask:0xf bank_mask:0xf
	v_add_co_u32_e32 v5, vcc, v5, v4
	v_addc_co_u32_e32 v6, vcc, v6, v2, vcc
	v_cmp_lt_u32_e32 vcc, 7, v29
	v_cndmask_b32_e32 v8, v1, v5, vcc
	v_cndmask_b32_e32 v7, v3, v6, vcc
	;; [unrolled: 1-line block ×4, first 2 shown]
	v_mov_b32_dpp v3, v8 row_bcast:15 row_mask:0xf bank_mask:0xf
	v_mov_b32_dpp v4, v7 row_bcast:15 row_mask:0xf bank_mask:0xf
	v_add_co_u32_e32 v3, vcc, v3, v2
	v_addc_co_u32_e32 v5, vcc, v4, v1, vcc
	v_cmp_eq_u32_e64 s[2:3], 0, v27
	v_cndmask_b32_e64 v6, v5, v7, s[2:3]
	v_cndmask_b32_e64 v4, v3, v8, s[2:3]
	v_cmp_eq_u32_e32 vcc, 0, v23
	v_mov_b32_dpp v6, v6 row_bcast:31 row_mask:0xf bank_mask:0xf
	v_mov_b32_dpp v4, v4 row_bcast:31 row_mask:0xf bank_mask:0xf
	v_cmp_ne_u32_e64 s[4:5], 0, v23
	s_and_saveexec_b64 s[6:7], s[4:5]
; %bb.75:
	v_cndmask_b32_e64 v1, v5, v1, s[2:3]
	v_cndmask_b32_e64 v2, v3, v2, s[2:3]
	v_cmp_lt_u32_e64 s[2:3], 31, v23
	v_cndmask_b32_e64 v4, 0, v4, s[2:3]
	v_cndmask_b32_e64 v3, 0, v6, s[2:3]
	v_add_co_u32_e64 v30, s[2:3], v4, v2
	v_addc_co_u32_e64 v31, s[2:3], v3, v1, s[2:3]
; %bb.76:
	s_or_b64 exec, exec, s[6:7]
	v_or_b32_e32 v2, 63, v0
	v_lshrrev_b32_e32 v1, 6, v0
	v_cmp_eq_u32_e64 s[2:3], v2, v0
	s_and_saveexec_b64 s[4:5], s[2:3]
	s_cbranch_execz .LBB158_78
; %bb.77:
	v_lshlrev_b32_e32 v2, 3, v1
	ds_write_b64 v2, v[30:31]
.LBB158_78:
	s_or_b64 exec, exec, s[4:5]
	v_cmp_gt_u32_e64 s[2:3], 4, v0
	s_waitcnt lgkmcnt(0)
	s_barrier
	s_and_saveexec_b64 s[6:7], s[2:3]
	s_cbranch_execz .LBB158_80
; %bb.79:
	v_add_u32_e32 v4, v25, v0
	ds_read_b64 v[2:3], v4
	v_and_b32_e32 v5, 3, v23
	v_cmp_ne_u32_e64 s[4:5], 1, v5
	s_waitcnt lgkmcnt(0)
	v_mov_b32_dpp v6, v2 row_shr:1 row_mask:0xf bank_mask:0xf
	v_add_co_u32_e64 v6, s[2:3], v2, v6
	v_addc_co_u32_e64 v8, s[2:3], 0, v3, s[2:3]
	v_mov_b32_dpp v7, v3 row_shr:1 row_mask:0xf bank_mask:0xf
	v_add_co_u32_e64 v9, s[2:3], 0, v6
	v_addc_co_u32_e64 v7, s[2:3], v7, v8, s[2:3]
	v_cmp_eq_u32_e64 s[2:3], 0, v5
	v_cndmask_b32_e64 v6, v6, v2, s[2:3]
	v_cndmask_b32_e64 v8, v7, v3, s[2:3]
	s_nop 0
	v_mov_b32_dpp v6, v6 row_shr:2 row_mask:0xf bank_mask:0xf
	v_mov_b32_dpp v8, v8 row_shr:2 row_mask:0xf bank_mask:0xf
	v_cndmask_b32_e64 v5, 0, v6, s[4:5]
	v_cndmask_b32_e64 v6, 0, v8, s[4:5]
	v_add_co_u32_e64 v5, s[4:5], v5, v9
	v_addc_co_u32_e64 v6, s[4:5], v6, v7, s[4:5]
	v_cndmask_b32_e64 v3, v6, v3, s[2:3]
	v_cndmask_b32_e64 v2, v5, v2, s[2:3]
	ds_write_b64 v4, v[2:3]
.LBB158_80:
	s_or_b64 exec, exec, s[6:7]
	v_cmp_lt_u32_e64 s[2:3], 63, v0
	v_pk_mov_b32 v[2:3], 0, 0
	s_waitcnt lgkmcnt(0)
	s_barrier
	s_and_saveexec_b64 s[4:5], s[2:3]
	s_cbranch_execz .LBB158_82
; %bb.81:
	v_lshl_add_u32 v1, v1, 3, -8
	ds_read_b64 v[2:3], v1
.LBB158_82:
	s_or_b64 exec, exec, s[4:5]
	s_waitcnt lgkmcnt(0)
	v_add_co_u32_e64 v1, s[2:3], v2, v30
	v_addc_co_u32_e64 v4, s[2:3], v3, v31, s[2:3]
	v_add_u32_e32 v5, -1, v23
	v_and_b32_e32 v6, 64, v23
	v_cmp_lt_i32_e64 s[2:3], v5, v6
	v_cndmask_b32_e64 v5, v5, v23, s[2:3]
	v_lshlrev_b32_e32 v5, 2, v5
	v_mov_b32_e32 v7, 0
	ds_bpermute_b32 v1, v5, v1
	ds_bpermute_b32 v8, v5, v4
	ds_read_b64 v[4:5], v7 offset:24
	s_and_saveexec_b64 s[2:3], s[0:1]
	s_cbranch_execz .LBB158_84
; %bb.83:
	s_add_u32 s4, s22, 0x400
	s_addc_u32 s5, s23, 0
	v_mov_b32_e32 v6, 2
	v_pk_mov_b32 v[30:31], s[4:5], s[4:5] op_sel:[0,1]
	s_waitcnt lgkmcnt(0)
	;;#ASMSTART
	global_store_dwordx4 v[30:31], v[4:7] off	
s_waitcnt vmcnt(0)
	;;#ASMEND
.LBB158_84:
	s_or_b64 exec, exec, s[2:3]
	s_waitcnt lgkmcnt(2)
	v_cndmask_b32_e32 v1, v1, v2, vcc
	s_waitcnt lgkmcnt(1)
	v_cndmask_b32_e32 v2, v8, v3, vcc
	v_cndmask_b32_e64 v40, v1, 0, s[0:1]
	v_cndmask_b32_e64 v41, v2, 0, s[0:1]
	v_add_co_u32_e32 v38, vcc, v40, v28
	v_addc_co_u32_e32 v39, vcc, 0, v41, vcc
	v_add_co_u32_e32 v36, vcc, v38, v26
	v_addc_co_u32_e32 v37, vcc, 0, v39, vcc
	;; [unrolled: 2-line block ×6, first 2 shown]
	s_waitcnt lgkmcnt(0)
	s_barrier
	v_pk_mov_b32 v[6:7], 0, 0
.LBB158_85:
	s_mov_b64 s[2:3], 0x101
	s_waitcnt lgkmcnt(0)
	v_cmp_gt_u64_e32 vcc, s[2:3], v[4:5]
	s_mov_b64 s[2:3], -1
	s_cbranch_vccnz .LBB158_89
; %bb.86:
	s_and_b64 vcc, exec, s[2:3]
	s_cbranch_vccnz .LBB158_111
.LBB158_87:
	s_and_b64 s[0:1], s[0:1], s[18:19]
	s_and_saveexec_b64 s[2:3], s[0:1]
	s_cbranch_execnz .LBB158_130
.LBB158_88:
	s_endpgm
.LBB158_89:
	v_add_co_u32_e32 v30, vcc, v6, v4
	v_addc_co_u32_e32 v31, vcc, v7, v5, vcc
	s_waitcnt vmcnt(0)
	v_lshlrev_b64 v[42:43], 2, v[12:13]
	v_mov_b32_e32 v23, s15
	v_add_co_u32_e32 v1, vcc, s14, v42
	v_addc_co_u32_e32 v23, vcc, v23, v43, vcc
	v_cmp_lt_u64_e32 vcc, v[40:41], v[30:31]
	s_or_b64 s[4:5], s[20:21], vcc
	s_and_saveexec_b64 s[2:3], s[4:5]
	s_cbranch_execz .LBB158_92
; %bb.90:
	v_cmp_eq_u32_e32 vcc, 1, v28
	s_and_b64 exec, exec, vcc
	s_cbranch_execz .LBB158_92
; %bb.91:
	v_lshlrev_b64 v[42:43], 2, v[40:41]
	v_add_co_u32_e32 v42, vcc, v1, v42
	v_addc_co_u32_e32 v43, vcc, v23, v43, vcc
	global_store_dword v[42:43], v16, off
.LBB158_92:
	s_or_b64 exec, exec, s[2:3]
	v_cmp_lt_u64_e32 vcc, v[38:39], v[30:31]
	s_or_b64 s[4:5], s[20:21], vcc
	s_and_saveexec_b64 s[2:3], s[4:5]
	s_cbranch_execz .LBB158_95
; %bb.93:
	v_cmp_eq_u32_e32 vcc, 1, v26
	s_and_b64 exec, exec, vcc
	s_cbranch_execz .LBB158_95
; %bb.94:
	v_lshlrev_b64 v[42:43], 2, v[38:39]
	v_add_co_u32_e32 v42, vcc, v1, v42
	v_addc_co_u32_e32 v43, vcc, v23, v43, vcc
	global_store_dword v[42:43], v17, off
.LBB158_95:
	s_or_b64 exec, exec, s[2:3]
	;; [unrolled: 15-line block ×7, first 2 shown]
	s_branch .LBB158_87
.LBB158_111:
	v_cmp_eq_u32_e32 vcc, 1, v28
	s_and_saveexec_b64 s[2:3], vcc
	s_cbranch_execnz .LBB158_131
; %bb.112:
	s_or_b64 exec, exec, s[2:3]
	v_cmp_eq_u32_e32 vcc, 1, v26
	s_and_saveexec_b64 s[2:3], vcc
	s_cbranch_execnz .LBB158_132
.LBB158_113:
	s_or_b64 exec, exec, s[2:3]
	v_cmp_eq_u32_e32 vcc, 1, v24
	s_and_saveexec_b64 s[2:3], vcc
	s_cbranch_execnz .LBB158_133
.LBB158_114:
	s_or_b64 exec, exec, s[2:3]
	v_cmp_eq_u32_e32 vcc, 1, v22
	s_and_saveexec_b64 s[2:3], vcc
	s_cbranch_execnz .LBB158_134
.LBB158_115:
	s_or_b64 exec, exec, s[2:3]
	v_cmp_eq_u32_e32 vcc, 1, v20
	s_and_saveexec_b64 s[2:3], vcc
	s_cbranch_execnz .LBB158_135
.LBB158_116:
	s_or_b64 exec, exec, s[2:3]
	v_cmp_eq_u32_e32 vcc, 1, v18
	s_and_saveexec_b64 s[2:3], vcc
	s_cbranch_execnz .LBB158_136
.LBB158_117:
	s_or_b64 exec, exec, s[2:3]
	v_cmp_eq_u32_e32 vcc, 1, v21
	s_and_saveexec_b64 s[2:3], vcc
	s_cbranch_execz .LBB158_119
.LBB158_118:
	v_sub_u32_e32 v1, v8, v6
	v_lshlrev_b32_e32 v1, 2, v1
	ds_write_b32 v1, v19
.LBB158_119:
	s_or_b64 exec, exec, s[2:3]
	v_mov_b32_e32 v1, 0
	v_cmp_gt_u64_e32 vcc, v[4:5], v[0:1]
	s_waitcnt lgkmcnt(0)
	s_barrier
	s_and_saveexec_b64 s[8:9], vcc
	s_cbranch_execz .LBB158_129
; %bb.120:
	v_not_b32_e32 v3, v0
	v_not_b32_e32 v2, 0
	v_add_co_u32_e32 v8, vcc, v4, v3
	v_addc_co_u32_e32 v9, vcc, v5, v2, vcc
	s_mov_b64 s[2:3], 0x2f00
	s_mov_b64 s[4:5], 0x2eff
	v_cmp_gt_u64_e64 s[2:3], s[2:3], v[8:9]
	v_cmp_lt_u64_e32 vcc, s[4:5], v[8:9]
	v_pk_mov_b32 v[2:3], v[0:1], v[0:1] op_sel:[0,1]
	s_and_saveexec_b64 s[10:11], vcc
	s_cbranch_execz .LBB158_126
; %bb.121:
	v_alignbit_b32 v2, v9, v8, 8
	s_mov_b32 s4, 0xffffff
	s_mov_b32 s6, -1
	v_lshlrev_b32_e32 v3, 8, v2
	v_cmp_lt_u32_e32 vcc, s4, v2
	v_not_b32_e32 v2, v0
	s_movk_i32 s7, 0xff
	v_cmp_gt_u32_e64 s[4:5], v3, v2
	v_xor_b32_e32 v2, 0xfffffeff, v0
	v_cmp_lt_u64_e64 s[6:7], s[6:7], v[8:9]
	s_or_b64 s[12:13], s[4:5], vcc
	v_cmp_lt_u32_e64 s[4:5], v2, v3
	s_or_b64 s[6:7], vcc, s[6:7]
	s_or_b64 s[4:5], s[6:7], s[4:5]
	s_or_b64 s[6:7], s[12:13], s[4:5]
	s_mov_b64 s[4:5], -1
	s_xor_b64 s[12:13], s[6:7], -1
	v_pk_mov_b32 v[2:3], v[0:1], v[0:1] op_sel:[0,1]
	s_and_saveexec_b64 s[6:7], s[12:13]
	s_cbranch_execz .LBB158_125
; %bb.122:
	v_lshrrev_b64 v[2:3], 8, v[8:9]
	v_add_co_u32_e32 v14, vcc, 1, v2
	v_addc_co_u32_e32 v15, vcc, 0, v3, vcc
	v_lshlrev_b64 v[8:9], 2, v[6:7]
	s_waitcnt vmcnt(0)
	v_lshlrev_b64 v[10:11], 2, v[12:13]
	v_add_co_u32_e32 v8, vcc, v8, v10
	v_addc_co_u32_e32 v9, vcc, v9, v11, vcc
	v_mov_b32_e32 v11, s15
	v_add_co_u32_e32 v8, vcc, s14, v8
	v_lshlrev_b32_e32 v10, 2, v0
	v_addc_co_u32_e32 v9, vcc, v11, v9, vcc
	v_add_co_u32_e32 v8, vcc, v8, v10
	v_addc_co_u32_e32 v9, vcc, 0, v9, vcc
	s_movk_i32 s4, 0x400
	v_or_b32_e32 v2, 0x100, v0
	v_mov_b32_e32 v3, v1
	v_add_co_u32_e32 v18, vcc, s4, v8
	v_and_b32_e32 v16, -2, v14
	v_mov_b32_e32 v17, v15
	v_addc_co_u32_e32 v19, vcc, 0, v9, vcc
	v_pk_mov_b32 v[10:11], v[2:3], v[2:3] op_sel:[0,1]
	s_mov_b64 s[12:13], 0
	v_pk_mov_b32 v[20:21], v[16:17], v[16:17] op_sel:[0,1]
	v_pk_mov_b32 v[8:9], v[0:1], v[0:1] op_sel:[0,1]
.LBB158_123:                            ; =>This Inner Loop Header: Depth=1
	v_lshlrev_b32_e32 v1, 2, v8
	v_lshlrev_b32_e32 v2, 2, v10
	ds_read_b32 v1, v1
	ds_read_b32 v2, v2
	v_add_co_u32_e32 v10, vcc, 0x200, v10
	v_addc_co_u32_e32 v11, vcc, 0, v11, vcc
	v_add_co_u32_e64 v20, s[4:5], -2, v20
	v_add_co_u32_e32 v8, vcc, 0x200, v8
	v_addc_co_u32_e64 v21, s[4:5], -1, v21, s[4:5]
	v_addc_co_u32_e32 v9, vcc, 0, v9, vcc
	v_cmp_eq_u64_e64 s[4:5], 0, v[20:21]
	s_waitcnt lgkmcnt(1)
	global_store_dword v[18:19], v1, off offset:-1024
	s_waitcnt lgkmcnt(0)
	global_store_dword v[18:19], v2, off
	v_add_co_u32_e32 v18, vcc, 0x800, v18
	s_or_b64 s[12:13], s[4:5], s[12:13]
	v_addc_co_u32_e32 v19, vcc, 0, v19, vcc
	s_andn2_b64 exec, exec, s[12:13]
	s_cbranch_execnz .LBB158_123
; %bb.124:
	s_or_b64 exec, exec, s[12:13]
	v_lshlrev_b64 v[2:3], 8, v[16:17]
	v_cmp_ne_u64_e32 vcc, v[14:15], v[16:17]
	v_or_b32_e32 v3, 0, v3
	v_or_b32_e32 v2, v2, v0
	v_lshl_or_b32 v0, v16, 8, v0
	s_orn2_b64 s[4:5], vcc, exec
.LBB158_125:
	s_or_b64 exec, exec, s[6:7]
	s_andn2_b64 s[2:3], s[2:3], exec
	s_and_b64 s[4:5], s[4:5], exec
	s_or_b64 s[2:3], s[2:3], s[4:5]
.LBB158_126:
	s_or_b64 exec, exec, s[10:11]
	s_and_b64 exec, exec, s[2:3]
	s_cbranch_execz .LBB158_129
; %bb.127:
	v_lshlrev_b64 v[8:9], 2, v[6:7]
	v_mov_b32_e32 v1, s15
	v_add_co_u32_e32 v10, vcc, s14, v8
	v_addc_co_u32_e32 v1, vcc, v1, v9, vcc
	s_waitcnt vmcnt(0)
	v_lshlrev_b64 v[8:9], 2, v[12:13]
	v_add_co_u32_e32 v8, vcc, v10, v8
	v_addc_co_u32_e32 v9, vcc, v1, v9, vcc
	v_add_u32_e32 v0, 0x100, v0
	s_mov_b64 s[4:5], 0
	v_mov_b32_e32 v1, 0
.LBB158_128:                            ; =>This Inner Loop Header: Depth=1
	v_lshlrev_b32_e32 v14, 2, v2
	ds_read_b32 v14, v14
	v_lshlrev_b64 v[10:11], 2, v[2:3]
	v_cmp_le_u64_e32 vcc, v[4:5], v[0:1]
	v_add_co_u32_e64 v10, s[2:3], v8, v10
	v_pk_mov_b32 v[2:3], v[0:1], v[0:1] op_sel:[0,1]
	v_add_u32_e32 v0, 0x100, v0
	v_addc_co_u32_e64 v11, s[2:3], v9, v11, s[2:3]
	s_or_b64 s[4:5], vcc, s[4:5]
	s_waitcnt lgkmcnt(0)
	global_store_dword v[10:11], v14, off
	s_andn2_b64 exec, exec, s[4:5]
	s_cbranch_execnz .LBB158_128
.LBB158_129:
	s_or_b64 exec, exec, s[8:9]
	s_and_b64 s[0:1], s[0:1], s[18:19]
	s_and_saveexec_b64 s[2:3], s[0:1]
	s_cbranch_execz .LBB158_88
.LBB158_130:
	v_add_co_u32_e32 v0, vcc, v6, v4
	v_addc_co_u32_e32 v1, vcc, v7, v5, vcc
	s_waitcnt vmcnt(0)
	v_add_co_u32_e32 v0, vcc, v0, v12
	v_mov_b32_e32 v2, 0
	v_addc_co_u32_e32 v1, vcc, v1, v13, vcc
	global_store_dwordx2 v2, v[0:1], s[16:17]
	s_endpgm
.LBB158_131:
	v_sub_u32_e32 v1, v40, v6
	v_lshlrev_b32_e32 v1, 2, v1
	ds_write_b32 v1, v16
	s_or_b64 exec, exec, s[2:3]
	v_cmp_eq_u32_e32 vcc, 1, v26
	s_and_saveexec_b64 s[2:3], vcc
	s_cbranch_execz .LBB158_113
.LBB158_132:
	v_sub_u32_e32 v1, v38, v6
	v_lshlrev_b32_e32 v1, 2, v1
	ds_write_b32 v1, v17
	s_or_b64 exec, exec, s[2:3]
	v_cmp_eq_u32_e32 vcc, 1, v24
	s_and_saveexec_b64 s[2:3], vcc
	s_cbranch_execz .LBB158_114
.LBB158_133:
	v_sub_u32_e32 v1, v36, v6
	v_lshlrev_b32_e32 v1, 2, v1
	ds_write_b32 v1, v14
	s_or_b64 exec, exec, s[2:3]
	v_cmp_eq_u32_e32 vcc, 1, v22
	s_and_saveexec_b64 s[2:3], vcc
	s_cbranch_execz .LBB158_115
.LBB158_134:
	v_sub_u32_e32 v1, v34, v6
	v_lshlrev_b32_e32 v1, 2, v1
	ds_write_b32 v1, v15
	s_or_b64 exec, exec, s[2:3]
	v_cmp_eq_u32_e32 vcc, 1, v20
	s_and_saveexec_b64 s[2:3], vcc
	s_cbranch_execz .LBB158_116
.LBB158_135:
	v_sub_u32_e32 v1, v32, v6
	v_lshlrev_b32_e32 v1, 2, v1
	ds_write_b32 v1, v10
	s_or_b64 exec, exec, s[2:3]
	v_cmp_eq_u32_e32 vcc, 1, v18
	s_and_saveexec_b64 s[2:3], vcc
	s_cbranch_execz .LBB158_117
.LBB158_136:
	v_sub_u32_e32 v1, v2, v6
	v_lshlrev_b32_e32 v1, 2, v1
	ds_write_b32 v1, v11
	s_or_b64 exec, exec, s[2:3]
	v_cmp_eq_u32_e32 vcc, 1, v21
	s_and_saveexec_b64 s[2:3], vcc
	s_cbranch_execnz .LBB158_118
	s_branch .LBB158_119
	.section	.rodata,"a",@progbits
	.p2align	6, 0x0
	.amdhsa_kernel _ZN7rocprim17ROCPRIM_400000_NS6detail17trampoline_kernelINS0_14default_configENS1_25partition_config_selectorILNS1_17partition_subalgoE5EiNS0_10empty_typeEbEEZZNS1_14partition_implILS5_5ELb0ES3_mPiPS6_N6thrust23THRUST_200600_302600_NS18transform_iteratorIN6dUtils5isOneIiEES9_NSC_11use_defaultESH_EENS0_5tupleIJS9_S6_EEENSJ_IJSA_SA_EEES6_PlJS6_EEE10hipError_tPvRmT3_T4_T5_T6_T7_T9_mT8_P12ihipStream_tbDpT10_ENKUlT_T0_E_clISt17integral_constantIbLb1EES16_EEDaS11_S12_EUlS11_E_NS1_11comp_targetILNS1_3genE4ELNS1_11target_archE910ELNS1_3gpuE8ELNS1_3repE0EEENS1_30default_config_static_selectorELNS0_4arch9wavefront6targetE1EEEvT1_
		.amdhsa_group_segment_fixed_size 7184
		.amdhsa_private_segment_fixed_size 0
		.amdhsa_kernarg_size 136
		.amdhsa_user_sgpr_count 6
		.amdhsa_user_sgpr_private_segment_buffer 1
		.amdhsa_user_sgpr_dispatch_ptr 0
		.amdhsa_user_sgpr_queue_ptr 0
		.amdhsa_user_sgpr_kernarg_segment_ptr 1
		.amdhsa_user_sgpr_dispatch_id 0
		.amdhsa_user_sgpr_flat_scratch_init 0
		.amdhsa_user_sgpr_kernarg_preload_length 0
		.amdhsa_user_sgpr_kernarg_preload_offset 0
		.amdhsa_user_sgpr_private_segment_size 0
		.amdhsa_uses_dynamic_stack 0
		.amdhsa_system_sgpr_private_segment_wavefront_offset 0
		.amdhsa_system_sgpr_workgroup_id_x 1
		.amdhsa_system_sgpr_workgroup_id_y 0
		.amdhsa_system_sgpr_workgroup_id_z 0
		.amdhsa_system_sgpr_workgroup_info 0
		.amdhsa_system_vgpr_workitem_id 0
		.amdhsa_next_free_vgpr 58
		.amdhsa_next_free_sgpr 28
		.amdhsa_accum_offset 60
		.amdhsa_reserve_vcc 1
		.amdhsa_reserve_flat_scratch 0
		.amdhsa_float_round_mode_32 0
		.amdhsa_float_round_mode_16_64 0
		.amdhsa_float_denorm_mode_32 3
		.amdhsa_float_denorm_mode_16_64 3
		.amdhsa_dx10_clamp 1
		.amdhsa_ieee_mode 1
		.amdhsa_fp16_overflow 0
		.amdhsa_tg_split 0
		.amdhsa_exception_fp_ieee_invalid_op 0
		.amdhsa_exception_fp_denorm_src 0
		.amdhsa_exception_fp_ieee_div_zero 0
		.amdhsa_exception_fp_ieee_overflow 0
		.amdhsa_exception_fp_ieee_underflow 0
		.amdhsa_exception_fp_ieee_inexact 0
		.amdhsa_exception_int_div_zero 0
	.end_amdhsa_kernel
	.section	.text._ZN7rocprim17ROCPRIM_400000_NS6detail17trampoline_kernelINS0_14default_configENS1_25partition_config_selectorILNS1_17partition_subalgoE5EiNS0_10empty_typeEbEEZZNS1_14partition_implILS5_5ELb0ES3_mPiPS6_N6thrust23THRUST_200600_302600_NS18transform_iteratorIN6dUtils5isOneIiEES9_NSC_11use_defaultESH_EENS0_5tupleIJS9_S6_EEENSJ_IJSA_SA_EEES6_PlJS6_EEE10hipError_tPvRmT3_T4_T5_T6_T7_T9_mT8_P12ihipStream_tbDpT10_ENKUlT_T0_E_clISt17integral_constantIbLb1EES16_EEDaS11_S12_EUlS11_E_NS1_11comp_targetILNS1_3genE4ELNS1_11target_archE910ELNS1_3gpuE8ELNS1_3repE0EEENS1_30default_config_static_selectorELNS0_4arch9wavefront6targetE1EEEvT1_,"axG",@progbits,_ZN7rocprim17ROCPRIM_400000_NS6detail17trampoline_kernelINS0_14default_configENS1_25partition_config_selectorILNS1_17partition_subalgoE5EiNS0_10empty_typeEbEEZZNS1_14partition_implILS5_5ELb0ES3_mPiPS6_N6thrust23THRUST_200600_302600_NS18transform_iteratorIN6dUtils5isOneIiEES9_NSC_11use_defaultESH_EENS0_5tupleIJS9_S6_EEENSJ_IJSA_SA_EEES6_PlJS6_EEE10hipError_tPvRmT3_T4_T5_T6_T7_T9_mT8_P12ihipStream_tbDpT10_ENKUlT_T0_E_clISt17integral_constantIbLb1EES16_EEDaS11_S12_EUlS11_E_NS1_11comp_targetILNS1_3genE4ELNS1_11target_archE910ELNS1_3gpuE8ELNS1_3repE0EEENS1_30default_config_static_selectorELNS0_4arch9wavefront6targetE1EEEvT1_,comdat
.Lfunc_end158:
	.size	_ZN7rocprim17ROCPRIM_400000_NS6detail17trampoline_kernelINS0_14default_configENS1_25partition_config_selectorILNS1_17partition_subalgoE5EiNS0_10empty_typeEbEEZZNS1_14partition_implILS5_5ELb0ES3_mPiPS6_N6thrust23THRUST_200600_302600_NS18transform_iteratorIN6dUtils5isOneIiEES9_NSC_11use_defaultESH_EENS0_5tupleIJS9_S6_EEENSJ_IJSA_SA_EEES6_PlJS6_EEE10hipError_tPvRmT3_T4_T5_T6_T7_T9_mT8_P12ihipStream_tbDpT10_ENKUlT_T0_E_clISt17integral_constantIbLb1EES16_EEDaS11_S12_EUlS11_E_NS1_11comp_targetILNS1_3genE4ELNS1_11target_archE910ELNS1_3gpuE8ELNS1_3repE0EEENS1_30default_config_static_selectorELNS0_4arch9wavefront6targetE1EEEvT1_, .Lfunc_end158-_ZN7rocprim17ROCPRIM_400000_NS6detail17trampoline_kernelINS0_14default_configENS1_25partition_config_selectorILNS1_17partition_subalgoE5EiNS0_10empty_typeEbEEZZNS1_14partition_implILS5_5ELb0ES3_mPiPS6_N6thrust23THRUST_200600_302600_NS18transform_iteratorIN6dUtils5isOneIiEES9_NSC_11use_defaultESH_EENS0_5tupleIJS9_S6_EEENSJ_IJSA_SA_EEES6_PlJS6_EEE10hipError_tPvRmT3_T4_T5_T6_T7_T9_mT8_P12ihipStream_tbDpT10_ENKUlT_T0_E_clISt17integral_constantIbLb1EES16_EEDaS11_S12_EUlS11_E_NS1_11comp_targetILNS1_3genE4ELNS1_11target_archE910ELNS1_3gpuE8ELNS1_3repE0EEENS1_30default_config_static_selectorELNS0_4arch9wavefront6targetE1EEEvT1_
                                        ; -- End function
	.section	.AMDGPU.csdata,"",@progbits
; Kernel info:
; codeLenInByte = 6820
; NumSgprs: 32
; NumVgprs: 58
; NumAgprs: 0
; TotalNumVgprs: 58
; ScratchSize: 0
; MemoryBound: 0
; FloatMode: 240
; IeeeMode: 1
; LDSByteSize: 7184 bytes/workgroup (compile time only)
; SGPRBlocks: 3
; VGPRBlocks: 7
; NumSGPRsForWavesPerEU: 32
; NumVGPRsForWavesPerEU: 58
; AccumOffset: 60
; Occupancy: 8
; WaveLimiterHint : 1
; COMPUTE_PGM_RSRC2:SCRATCH_EN: 0
; COMPUTE_PGM_RSRC2:USER_SGPR: 6
; COMPUTE_PGM_RSRC2:TRAP_HANDLER: 0
; COMPUTE_PGM_RSRC2:TGID_X_EN: 1
; COMPUTE_PGM_RSRC2:TGID_Y_EN: 0
; COMPUTE_PGM_RSRC2:TGID_Z_EN: 0
; COMPUTE_PGM_RSRC2:TIDIG_COMP_CNT: 0
; COMPUTE_PGM_RSRC3_GFX90A:ACCUM_OFFSET: 14
; COMPUTE_PGM_RSRC3_GFX90A:TG_SPLIT: 0
	.section	.text._ZN7rocprim17ROCPRIM_400000_NS6detail17trampoline_kernelINS0_14default_configENS1_25partition_config_selectorILNS1_17partition_subalgoE5EiNS0_10empty_typeEbEEZZNS1_14partition_implILS5_5ELb0ES3_mPiPS6_N6thrust23THRUST_200600_302600_NS18transform_iteratorIN6dUtils5isOneIiEES9_NSC_11use_defaultESH_EENS0_5tupleIJS9_S6_EEENSJ_IJSA_SA_EEES6_PlJS6_EEE10hipError_tPvRmT3_T4_T5_T6_T7_T9_mT8_P12ihipStream_tbDpT10_ENKUlT_T0_E_clISt17integral_constantIbLb1EES16_EEDaS11_S12_EUlS11_E_NS1_11comp_targetILNS1_3genE3ELNS1_11target_archE908ELNS1_3gpuE7ELNS1_3repE0EEENS1_30default_config_static_selectorELNS0_4arch9wavefront6targetE1EEEvT1_,"axG",@progbits,_ZN7rocprim17ROCPRIM_400000_NS6detail17trampoline_kernelINS0_14default_configENS1_25partition_config_selectorILNS1_17partition_subalgoE5EiNS0_10empty_typeEbEEZZNS1_14partition_implILS5_5ELb0ES3_mPiPS6_N6thrust23THRUST_200600_302600_NS18transform_iteratorIN6dUtils5isOneIiEES9_NSC_11use_defaultESH_EENS0_5tupleIJS9_S6_EEENSJ_IJSA_SA_EEES6_PlJS6_EEE10hipError_tPvRmT3_T4_T5_T6_T7_T9_mT8_P12ihipStream_tbDpT10_ENKUlT_T0_E_clISt17integral_constantIbLb1EES16_EEDaS11_S12_EUlS11_E_NS1_11comp_targetILNS1_3genE3ELNS1_11target_archE908ELNS1_3gpuE7ELNS1_3repE0EEENS1_30default_config_static_selectorELNS0_4arch9wavefront6targetE1EEEvT1_,comdat
	.protected	_ZN7rocprim17ROCPRIM_400000_NS6detail17trampoline_kernelINS0_14default_configENS1_25partition_config_selectorILNS1_17partition_subalgoE5EiNS0_10empty_typeEbEEZZNS1_14partition_implILS5_5ELb0ES3_mPiPS6_N6thrust23THRUST_200600_302600_NS18transform_iteratorIN6dUtils5isOneIiEES9_NSC_11use_defaultESH_EENS0_5tupleIJS9_S6_EEENSJ_IJSA_SA_EEES6_PlJS6_EEE10hipError_tPvRmT3_T4_T5_T6_T7_T9_mT8_P12ihipStream_tbDpT10_ENKUlT_T0_E_clISt17integral_constantIbLb1EES16_EEDaS11_S12_EUlS11_E_NS1_11comp_targetILNS1_3genE3ELNS1_11target_archE908ELNS1_3gpuE7ELNS1_3repE0EEENS1_30default_config_static_selectorELNS0_4arch9wavefront6targetE1EEEvT1_ ; -- Begin function _ZN7rocprim17ROCPRIM_400000_NS6detail17trampoline_kernelINS0_14default_configENS1_25partition_config_selectorILNS1_17partition_subalgoE5EiNS0_10empty_typeEbEEZZNS1_14partition_implILS5_5ELb0ES3_mPiPS6_N6thrust23THRUST_200600_302600_NS18transform_iteratorIN6dUtils5isOneIiEES9_NSC_11use_defaultESH_EENS0_5tupleIJS9_S6_EEENSJ_IJSA_SA_EEES6_PlJS6_EEE10hipError_tPvRmT3_T4_T5_T6_T7_T9_mT8_P12ihipStream_tbDpT10_ENKUlT_T0_E_clISt17integral_constantIbLb1EES16_EEDaS11_S12_EUlS11_E_NS1_11comp_targetILNS1_3genE3ELNS1_11target_archE908ELNS1_3gpuE7ELNS1_3repE0EEENS1_30default_config_static_selectorELNS0_4arch9wavefront6targetE1EEEvT1_
	.globl	_ZN7rocprim17ROCPRIM_400000_NS6detail17trampoline_kernelINS0_14default_configENS1_25partition_config_selectorILNS1_17partition_subalgoE5EiNS0_10empty_typeEbEEZZNS1_14partition_implILS5_5ELb0ES3_mPiPS6_N6thrust23THRUST_200600_302600_NS18transform_iteratorIN6dUtils5isOneIiEES9_NSC_11use_defaultESH_EENS0_5tupleIJS9_S6_EEENSJ_IJSA_SA_EEES6_PlJS6_EEE10hipError_tPvRmT3_T4_T5_T6_T7_T9_mT8_P12ihipStream_tbDpT10_ENKUlT_T0_E_clISt17integral_constantIbLb1EES16_EEDaS11_S12_EUlS11_E_NS1_11comp_targetILNS1_3genE3ELNS1_11target_archE908ELNS1_3gpuE7ELNS1_3repE0EEENS1_30default_config_static_selectorELNS0_4arch9wavefront6targetE1EEEvT1_
	.p2align	8
	.type	_ZN7rocprim17ROCPRIM_400000_NS6detail17trampoline_kernelINS0_14default_configENS1_25partition_config_selectorILNS1_17partition_subalgoE5EiNS0_10empty_typeEbEEZZNS1_14partition_implILS5_5ELb0ES3_mPiPS6_N6thrust23THRUST_200600_302600_NS18transform_iteratorIN6dUtils5isOneIiEES9_NSC_11use_defaultESH_EENS0_5tupleIJS9_S6_EEENSJ_IJSA_SA_EEES6_PlJS6_EEE10hipError_tPvRmT3_T4_T5_T6_T7_T9_mT8_P12ihipStream_tbDpT10_ENKUlT_T0_E_clISt17integral_constantIbLb1EES16_EEDaS11_S12_EUlS11_E_NS1_11comp_targetILNS1_3genE3ELNS1_11target_archE908ELNS1_3gpuE7ELNS1_3repE0EEENS1_30default_config_static_selectorELNS0_4arch9wavefront6targetE1EEEvT1_,@function
_ZN7rocprim17ROCPRIM_400000_NS6detail17trampoline_kernelINS0_14default_configENS1_25partition_config_selectorILNS1_17partition_subalgoE5EiNS0_10empty_typeEbEEZZNS1_14partition_implILS5_5ELb0ES3_mPiPS6_N6thrust23THRUST_200600_302600_NS18transform_iteratorIN6dUtils5isOneIiEES9_NSC_11use_defaultESH_EENS0_5tupleIJS9_S6_EEENSJ_IJSA_SA_EEES6_PlJS6_EEE10hipError_tPvRmT3_T4_T5_T6_T7_T9_mT8_P12ihipStream_tbDpT10_ENKUlT_T0_E_clISt17integral_constantIbLb1EES16_EEDaS11_S12_EUlS11_E_NS1_11comp_targetILNS1_3genE3ELNS1_11target_archE908ELNS1_3gpuE7ELNS1_3repE0EEENS1_30default_config_static_selectorELNS0_4arch9wavefront6targetE1EEEvT1_: ; @_ZN7rocprim17ROCPRIM_400000_NS6detail17trampoline_kernelINS0_14default_configENS1_25partition_config_selectorILNS1_17partition_subalgoE5EiNS0_10empty_typeEbEEZZNS1_14partition_implILS5_5ELb0ES3_mPiPS6_N6thrust23THRUST_200600_302600_NS18transform_iteratorIN6dUtils5isOneIiEES9_NSC_11use_defaultESH_EENS0_5tupleIJS9_S6_EEENSJ_IJSA_SA_EEES6_PlJS6_EEE10hipError_tPvRmT3_T4_T5_T6_T7_T9_mT8_P12ihipStream_tbDpT10_ENKUlT_T0_E_clISt17integral_constantIbLb1EES16_EEDaS11_S12_EUlS11_E_NS1_11comp_targetILNS1_3genE3ELNS1_11target_archE908ELNS1_3gpuE7ELNS1_3repE0EEENS1_30default_config_static_selectorELNS0_4arch9wavefront6targetE1EEEvT1_
; %bb.0:
	.section	.rodata,"a",@progbits
	.p2align	6, 0x0
	.amdhsa_kernel _ZN7rocprim17ROCPRIM_400000_NS6detail17trampoline_kernelINS0_14default_configENS1_25partition_config_selectorILNS1_17partition_subalgoE5EiNS0_10empty_typeEbEEZZNS1_14partition_implILS5_5ELb0ES3_mPiPS6_N6thrust23THRUST_200600_302600_NS18transform_iteratorIN6dUtils5isOneIiEES9_NSC_11use_defaultESH_EENS0_5tupleIJS9_S6_EEENSJ_IJSA_SA_EEES6_PlJS6_EEE10hipError_tPvRmT3_T4_T5_T6_T7_T9_mT8_P12ihipStream_tbDpT10_ENKUlT_T0_E_clISt17integral_constantIbLb1EES16_EEDaS11_S12_EUlS11_E_NS1_11comp_targetILNS1_3genE3ELNS1_11target_archE908ELNS1_3gpuE7ELNS1_3repE0EEENS1_30default_config_static_selectorELNS0_4arch9wavefront6targetE1EEEvT1_
		.amdhsa_group_segment_fixed_size 0
		.amdhsa_private_segment_fixed_size 0
		.amdhsa_kernarg_size 136
		.amdhsa_user_sgpr_count 6
		.amdhsa_user_sgpr_private_segment_buffer 1
		.amdhsa_user_sgpr_dispatch_ptr 0
		.amdhsa_user_sgpr_queue_ptr 0
		.amdhsa_user_sgpr_kernarg_segment_ptr 1
		.amdhsa_user_sgpr_dispatch_id 0
		.amdhsa_user_sgpr_flat_scratch_init 0
		.amdhsa_user_sgpr_kernarg_preload_length 0
		.amdhsa_user_sgpr_kernarg_preload_offset 0
		.amdhsa_user_sgpr_private_segment_size 0
		.amdhsa_uses_dynamic_stack 0
		.amdhsa_system_sgpr_private_segment_wavefront_offset 0
		.amdhsa_system_sgpr_workgroup_id_x 1
		.amdhsa_system_sgpr_workgroup_id_y 0
		.amdhsa_system_sgpr_workgroup_id_z 0
		.amdhsa_system_sgpr_workgroup_info 0
		.amdhsa_system_vgpr_workitem_id 0
		.amdhsa_next_free_vgpr 1
		.amdhsa_next_free_sgpr 0
		.amdhsa_accum_offset 4
		.amdhsa_reserve_vcc 0
		.amdhsa_reserve_flat_scratch 0
		.amdhsa_float_round_mode_32 0
		.amdhsa_float_round_mode_16_64 0
		.amdhsa_float_denorm_mode_32 3
		.amdhsa_float_denorm_mode_16_64 3
		.amdhsa_dx10_clamp 1
		.amdhsa_ieee_mode 1
		.amdhsa_fp16_overflow 0
		.amdhsa_tg_split 0
		.amdhsa_exception_fp_ieee_invalid_op 0
		.amdhsa_exception_fp_denorm_src 0
		.amdhsa_exception_fp_ieee_div_zero 0
		.amdhsa_exception_fp_ieee_overflow 0
		.amdhsa_exception_fp_ieee_underflow 0
		.amdhsa_exception_fp_ieee_inexact 0
		.amdhsa_exception_int_div_zero 0
	.end_amdhsa_kernel
	.section	.text._ZN7rocprim17ROCPRIM_400000_NS6detail17trampoline_kernelINS0_14default_configENS1_25partition_config_selectorILNS1_17partition_subalgoE5EiNS0_10empty_typeEbEEZZNS1_14partition_implILS5_5ELb0ES3_mPiPS6_N6thrust23THRUST_200600_302600_NS18transform_iteratorIN6dUtils5isOneIiEES9_NSC_11use_defaultESH_EENS0_5tupleIJS9_S6_EEENSJ_IJSA_SA_EEES6_PlJS6_EEE10hipError_tPvRmT3_T4_T5_T6_T7_T9_mT8_P12ihipStream_tbDpT10_ENKUlT_T0_E_clISt17integral_constantIbLb1EES16_EEDaS11_S12_EUlS11_E_NS1_11comp_targetILNS1_3genE3ELNS1_11target_archE908ELNS1_3gpuE7ELNS1_3repE0EEENS1_30default_config_static_selectorELNS0_4arch9wavefront6targetE1EEEvT1_,"axG",@progbits,_ZN7rocprim17ROCPRIM_400000_NS6detail17trampoline_kernelINS0_14default_configENS1_25partition_config_selectorILNS1_17partition_subalgoE5EiNS0_10empty_typeEbEEZZNS1_14partition_implILS5_5ELb0ES3_mPiPS6_N6thrust23THRUST_200600_302600_NS18transform_iteratorIN6dUtils5isOneIiEES9_NSC_11use_defaultESH_EENS0_5tupleIJS9_S6_EEENSJ_IJSA_SA_EEES6_PlJS6_EEE10hipError_tPvRmT3_T4_T5_T6_T7_T9_mT8_P12ihipStream_tbDpT10_ENKUlT_T0_E_clISt17integral_constantIbLb1EES16_EEDaS11_S12_EUlS11_E_NS1_11comp_targetILNS1_3genE3ELNS1_11target_archE908ELNS1_3gpuE7ELNS1_3repE0EEENS1_30default_config_static_selectorELNS0_4arch9wavefront6targetE1EEEvT1_,comdat
.Lfunc_end159:
	.size	_ZN7rocprim17ROCPRIM_400000_NS6detail17trampoline_kernelINS0_14default_configENS1_25partition_config_selectorILNS1_17partition_subalgoE5EiNS0_10empty_typeEbEEZZNS1_14partition_implILS5_5ELb0ES3_mPiPS6_N6thrust23THRUST_200600_302600_NS18transform_iteratorIN6dUtils5isOneIiEES9_NSC_11use_defaultESH_EENS0_5tupleIJS9_S6_EEENSJ_IJSA_SA_EEES6_PlJS6_EEE10hipError_tPvRmT3_T4_T5_T6_T7_T9_mT8_P12ihipStream_tbDpT10_ENKUlT_T0_E_clISt17integral_constantIbLb1EES16_EEDaS11_S12_EUlS11_E_NS1_11comp_targetILNS1_3genE3ELNS1_11target_archE908ELNS1_3gpuE7ELNS1_3repE0EEENS1_30default_config_static_selectorELNS0_4arch9wavefront6targetE1EEEvT1_, .Lfunc_end159-_ZN7rocprim17ROCPRIM_400000_NS6detail17trampoline_kernelINS0_14default_configENS1_25partition_config_selectorILNS1_17partition_subalgoE5EiNS0_10empty_typeEbEEZZNS1_14partition_implILS5_5ELb0ES3_mPiPS6_N6thrust23THRUST_200600_302600_NS18transform_iteratorIN6dUtils5isOneIiEES9_NSC_11use_defaultESH_EENS0_5tupleIJS9_S6_EEENSJ_IJSA_SA_EEES6_PlJS6_EEE10hipError_tPvRmT3_T4_T5_T6_T7_T9_mT8_P12ihipStream_tbDpT10_ENKUlT_T0_E_clISt17integral_constantIbLb1EES16_EEDaS11_S12_EUlS11_E_NS1_11comp_targetILNS1_3genE3ELNS1_11target_archE908ELNS1_3gpuE7ELNS1_3repE0EEENS1_30default_config_static_selectorELNS0_4arch9wavefront6targetE1EEEvT1_
                                        ; -- End function
	.section	.AMDGPU.csdata,"",@progbits
; Kernel info:
; codeLenInByte = 0
; NumSgprs: 4
; NumVgprs: 0
; NumAgprs: 0
; TotalNumVgprs: 0
; ScratchSize: 0
; MemoryBound: 0
; FloatMode: 240
; IeeeMode: 1
; LDSByteSize: 0 bytes/workgroup (compile time only)
; SGPRBlocks: 0
; VGPRBlocks: 0
; NumSGPRsForWavesPerEU: 4
; NumVGPRsForWavesPerEU: 1
; AccumOffset: 4
; Occupancy: 8
; WaveLimiterHint : 0
; COMPUTE_PGM_RSRC2:SCRATCH_EN: 0
; COMPUTE_PGM_RSRC2:USER_SGPR: 6
; COMPUTE_PGM_RSRC2:TRAP_HANDLER: 0
; COMPUTE_PGM_RSRC2:TGID_X_EN: 1
; COMPUTE_PGM_RSRC2:TGID_Y_EN: 0
; COMPUTE_PGM_RSRC2:TGID_Z_EN: 0
; COMPUTE_PGM_RSRC2:TIDIG_COMP_CNT: 0
; COMPUTE_PGM_RSRC3_GFX90A:ACCUM_OFFSET: 0
; COMPUTE_PGM_RSRC3_GFX90A:TG_SPLIT: 0
	.section	.text._ZN7rocprim17ROCPRIM_400000_NS6detail17trampoline_kernelINS0_14default_configENS1_25partition_config_selectorILNS1_17partition_subalgoE5EiNS0_10empty_typeEbEEZZNS1_14partition_implILS5_5ELb0ES3_mPiPS6_N6thrust23THRUST_200600_302600_NS18transform_iteratorIN6dUtils5isOneIiEES9_NSC_11use_defaultESH_EENS0_5tupleIJS9_S6_EEENSJ_IJSA_SA_EEES6_PlJS6_EEE10hipError_tPvRmT3_T4_T5_T6_T7_T9_mT8_P12ihipStream_tbDpT10_ENKUlT_T0_E_clISt17integral_constantIbLb1EES16_EEDaS11_S12_EUlS11_E_NS1_11comp_targetILNS1_3genE2ELNS1_11target_archE906ELNS1_3gpuE6ELNS1_3repE0EEENS1_30default_config_static_selectorELNS0_4arch9wavefront6targetE1EEEvT1_,"axG",@progbits,_ZN7rocprim17ROCPRIM_400000_NS6detail17trampoline_kernelINS0_14default_configENS1_25partition_config_selectorILNS1_17partition_subalgoE5EiNS0_10empty_typeEbEEZZNS1_14partition_implILS5_5ELb0ES3_mPiPS6_N6thrust23THRUST_200600_302600_NS18transform_iteratorIN6dUtils5isOneIiEES9_NSC_11use_defaultESH_EENS0_5tupleIJS9_S6_EEENSJ_IJSA_SA_EEES6_PlJS6_EEE10hipError_tPvRmT3_T4_T5_T6_T7_T9_mT8_P12ihipStream_tbDpT10_ENKUlT_T0_E_clISt17integral_constantIbLb1EES16_EEDaS11_S12_EUlS11_E_NS1_11comp_targetILNS1_3genE2ELNS1_11target_archE906ELNS1_3gpuE6ELNS1_3repE0EEENS1_30default_config_static_selectorELNS0_4arch9wavefront6targetE1EEEvT1_,comdat
	.protected	_ZN7rocprim17ROCPRIM_400000_NS6detail17trampoline_kernelINS0_14default_configENS1_25partition_config_selectorILNS1_17partition_subalgoE5EiNS0_10empty_typeEbEEZZNS1_14partition_implILS5_5ELb0ES3_mPiPS6_N6thrust23THRUST_200600_302600_NS18transform_iteratorIN6dUtils5isOneIiEES9_NSC_11use_defaultESH_EENS0_5tupleIJS9_S6_EEENSJ_IJSA_SA_EEES6_PlJS6_EEE10hipError_tPvRmT3_T4_T5_T6_T7_T9_mT8_P12ihipStream_tbDpT10_ENKUlT_T0_E_clISt17integral_constantIbLb1EES16_EEDaS11_S12_EUlS11_E_NS1_11comp_targetILNS1_3genE2ELNS1_11target_archE906ELNS1_3gpuE6ELNS1_3repE0EEENS1_30default_config_static_selectorELNS0_4arch9wavefront6targetE1EEEvT1_ ; -- Begin function _ZN7rocprim17ROCPRIM_400000_NS6detail17trampoline_kernelINS0_14default_configENS1_25partition_config_selectorILNS1_17partition_subalgoE5EiNS0_10empty_typeEbEEZZNS1_14partition_implILS5_5ELb0ES3_mPiPS6_N6thrust23THRUST_200600_302600_NS18transform_iteratorIN6dUtils5isOneIiEES9_NSC_11use_defaultESH_EENS0_5tupleIJS9_S6_EEENSJ_IJSA_SA_EEES6_PlJS6_EEE10hipError_tPvRmT3_T4_T5_T6_T7_T9_mT8_P12ihipStream_tbDpT10_ENKUlT_T0_E_clISt17integral_constantIbLb1EES16_EEDaS11_S12_EUlS11_E_NS1_11comp_targetILNS1_3genE2ELNS1_11target_archE906ELNS1_3gpuE6ELNS1_3repE0EEENS1_30default_config_static_selectorELNS0_4arch9wavefront6targetE1EEEvT1_
	.globl	_ZN7rocprim17ROCPRIM_400000_NS6detail17trampoline_kernelINS0_14default_configENS1_25partition_config_selectorILNS1_17partition_subalgoE5EiNS0_10empty_typeEbEEZZNS1_14partition_implILS5_5ELb0ES3_mPiPS6_N6thrust23THRUST_200600_302600_NS18transform_iteratorIN6dUtils5isOneIiEES9_NSC_11use_defaultESH_EENS0_5tupleIJS9_S6_EEENSJ_IJSA_SA_EEES6_PlJS6_EEE10hipError_tPvRmT3_T4_T5_T6_T7_T9_mT8_P12ihipStream_tbDpT10_ENKUlT_T0_E_clISt17integral_constantIbLb1EES16_EEDaS11_S12_EUlS11_E_NS1_11comp_targetILNS1_3genE2ELNS1_11target_archE906ELNS1_3gpuE6ELNS1_3repE0EEENS1_30default_config_static_selectorELNS0_4arch9wavefront6targetE1EEEvT1_
	.p2align	8
	.type	_ZN7rocprim17ROCPRIM_400000_NS6detail17trampoline_kernelINS0_14default_configENS1_25partition_config_selectorILNS1_17partition_subalgoE5EiNS0_10empty_typeEbEEZZNS1_14partition_implILS5_5ELb0ES3_mPiPS6_N6thrust23THRUST_200600_302600_NS18transform_iteratorIN6dUtils5isOneIiEES9_NSC_11use_defaultESH_EENS0_5tupleIJS9_S6_EEENSJ_IJSA_SA_EEES6_PlJS6_EEE10hipError_tPvRmT3_T4_T5_T6_T7_T9_mT8_P12ihipStream_tbDpT10_ENKUlT_T0_E_clISt17integral_constantIbLb1EES16_EEDaS11_S12_EUlS11_E_NS1_11comp_targetILNS1_3genE2ELNS1_11target_archE906ELNS1_3gpuE6ELNS1_3repE0EEENS1_30default_config_static_selectorELNS0_4arch9wavefront6targetE1EEEvT1_,@function
_ZN7rocprim17ROCPRIM_400000_NS6detail17trampoline_kernelINS0_14default_configENS1_25partition_config_selectorILNS1_17partition_subalgoE5EiNS0_10empty_typeEbEEZZNS1_14partition_implILS5_5ELb0ES3_mPiPS6_N6thrust23THRUST_200600_302600_NS18transform_iteratorIN6dUtils5isOneIiEES9_NSC_11use_defaultESH_EENS0_5tupleIJS9_S6_EEENSJ_IJSA_SA_EEES6_PlJS6_EEE10hipError_tPvRmT3_T4_T5_T6_T7_T9_mT8_P12ihipStream_tbDpT10_ENKUlT_T0_E_clISt17integral_constantIbLb1EES16_EEDaS11_S12_EUlS11_E_NS1_11comp_targetILNS1_3genE2ELNS1_11target_archE906ELNS1_3gpuE6ELNS1_3repE0EEENS1_30default_config_static_selectorELNS0_4arch9wavefront6targetE1EEEvT1_: ; @_ZN7rocprim17ROCPRIM_400000_NS6detail17trampoline_kernelINS0_14default_configENS1_25partition_config_selectorILNS1_17partition_subalgoE5EiNS0_10empty_typeEbEEZZNS1_14partition_implILS5_5ELb0ES3_mPiPS6_N6thrust23THRUST_200600_302600_NS18transform_iteratorIN6dUtils5isOneIiEES9_NSC_11use_defaultESH_EENS0_5tupleIJS9_S6_EEENSJ_IJSA_SA_EEES6_PlJS6_EEE10hipError_tPvRmT3_T4_T5_T6_T7_T9_mT8_P12ihipStream_tbDpT10_ENKUlT_T0_E_clISt17integral_constantIbLb1EES16_EEDaS11_S12_EUlS11_E_NS1_11comp_targetILNS1_3genE2ELNS1_11target_archE906ELNS1_3gpuE6ELNS1_3repE0EEENS1_30default_config_static_selectorELNS0_4arch9wavefront6targetE1EEEvT1_
; %bb.0:
	.section	.rodata,"a",@progbits
	.p2align	6, 0x0
	.amdhsa_kernel _ZN7rocprim17ROCPRIM_400000_NS6detail17trampoline_kernelINS0_14default_configENS1_25partition_config_selectorILNS1_17partition_subalgoE5EiNS0_10empty_typeEbEEZZNS1_14partition_implILS5_5ELb0ES3_mPiPS6_N6thrust23THRUST_200600_302600_NS18transform_iteratorIN6dUtils5isOneIiEES9_NSC_11use_defaultESH_EENS0_5tupleIJS9_S6_EEENSJ_IJSA_SA_EEES6_PlJS6_EEE10hipError_tPvRmT3_T4_T5_T6_T7_T9_mT8_P12ihipStream_tbDpT10_ENKUlT_T0_E_clISt17integral_constantIbLb1EES16_EEDaS11_S12_EUlS11_E_NS1_11comp_targetILNS1_3genE2ELNS1_11target_archE906ELNS1_3gpuE6ELNS1_3repE0EEENS1_30default_config_static_selectorELNS0_4arch9wavefront6targetE1EEEvT1_
		.amdhsa_group_segment_fixed_size 0
		.amdhsa_private_segment_fixed_size 0
		.amdhsa_kernarg_size 136
		.amdhsa_user_sgpr_count 6
		.amdhsa_user_sgpr_private_segment_buffer 1
		.amdhsa_user_sgpr_dispatch_ptr 0
		.amdhsa_user_sgpr_queue_ptr 0
		.amdhsa_user_sgpr_kernarg_segment_ptr 1
		.amdhsa_user_sgpr_dispatch_id 0
		.amdhsa_user_sgpr_flat_scratch_init 0
		.amdhsa_user_sgpr_kernarg_preload_length 0
		.amdhsa_user_sgpr_kernarg_preload_offset 0
		.amdhsa_user_sgpr_private_segment_size 0
		.amdhsa_uses_dynamic_stack 0
		.amdhsa_system_sgpr_private_segment_wavefront_offset 0
		.amdhsa_system_sgpr_workgroup_id_x 1
		.amdhsa_system_sgpr_workgroup_id_y 0
		.amdhsa_system_sgpr_workgroup_id_z 0
		.amdhsa_system_sgpr_workgroup_info 0
		.amdhsa_system_vgpr_workitem_id 0
		.amdhsa_next_free_vgpr 1
		.amdhsa_next_free_sgpr 0
		.amdhsa_accum_offset 4
		.amdhsa_reserve_vcc 0
		.amdhsa_reserve_flat_scratch 0
		.amdhsa_float_round_mode_32 0
		.amdhsa_float_round_mode_16_64 0
		.amdhsa_float_denorm_mode_32 3
		.amdhsa_float_denorm_mode_16_64 3
		.amdhsa_dx10_clamp 1
		.amdhsa_ieee_mode 1
		.amdhsa_fp16_overflow 0
		.amdhsa_tg_split 0
		.amdhsa_exception_fp_ieee_invalid_op 0
		.amdhsa_exception_fp_denorm_src 0
		.amdhsa_exception_fp_ieee_div_zero 0
		.amdhsa_exception_fp_ieee_overflow 0
		.amdhsa_exception_fp_ieee_underflow 0
		.amdhsa_exception_fp_ieee_inexact 0
		.amdhsa_exception_int_div_zero 0
	.end_amdhsa_kernel
	.section	.text._ZN7rocprim17ROCPRIM_400000_NS6detail17trampoline_kernelINS0_14default_configENS1_25partition_config_selectorILNS1_17partition_subalgoE5EiNS0_10empty_typeEbEEZZNS1_14partition_implILS5_5ELb0ES3_mPiPS6_N6thrust23THRUST_200600_302600_NS18transform_iteratorIN6dUtils5isOneIiEES9_NSC_11use_defaultESH_EENS0_5tupleIJS9_S6_EEENSJ_IJSA_SA_EEES6_PlJS6_EEE10hipError_tPvRmT3_T4_T5_T6_T7_T9_mT8_P12ihipStream_tbDpT10_ENKUlT_T0_E_clISt17integral_constantIbLb1EES16_EEDaS11_S12_EUlS11_E_NS1_11comp_targetILNS1_3genE2ELNS1_11target_archE906ELNS1_3gpuE6ELNS1_3repE0EEENS1_30default_config_static_selectorELNS0_4arch9wavefront6targetE1EEEvT1_,"axG",@progbits,_ZN7rocprim17ROCPRIM_400000_NS6detail17trampoline_kernelINS0_14default_configENS1_25partition_config_selectorILNS1_17partition_subalgoE5EiNS0_10empty_typeEbEEZZNS1_14partition_implILS5_5ELb0ES3_mPiPS6_N6thrust23THRUST_200600_302600_NS18transform_iteratorIN6dUtils5isOneIiEES9_NSC_11use_defaultESH_EENS0_5tupleIJS9_S6_EEENSJ_IJSA_SA_EEES6_PlJS6_EEE10hipError_tPvRmT3_T4_T5_T6_T7_T9_mT8_P12ihipStream_tbDpT10_ENKUlT_T0_E_clISt17integral_constantIbLb1EES16_EEDaS11_S12_EUlS11_E_NS1_11comp_targetILNS1_3genE2ELNS1_11target_archE906ELNS1_3gpuE6ELNS1_3repE0EEENS1_30default_config_static_selectorELNS0_4arch9wavefront6targetE1EEEvT1_,comdat
.Lfunc_end160:
	.size	_ZN7rocprim17ROCPRIM_400000_NS6detail17trampoline_kernelINS0_14default_configENS1_25partition_config_selectorILNS1_17partition_subalgoE5EiNS0_10empty_typeEbEEZZNS1_14partition_implILS5_5ELb0ES3_mPiPS6_N6thrust23THRUST_200600_302600_NS18transform_iteratorIN6dUtils5isOneIiEES9_NSC_11use_defaultESH_EENS0_5tupleIJS9_S6_EEENSJ_IJSA_SA_EEES6_PlJS6_EEE10hipError_tPvRmT3_T4_T5_T6_T7_T9_mT8_P12ihipStream_tbDpT10_ENKUlT_T0_E_clISt17integral_constantIbLb1EES16_EEDaS11_S12_EUlS11_E_NS1_11comp_targetILNS1_3genE2ELNS1_11target_archE906ELNS1_3gpuE6ELNS1_3repE0EEENS1_30default_config_static_selectorELNS0_4arch9wavefront6targetE1EEEvT1_, .Lfunc_end160-_ZN7rocprim17ROCPRIM_400000_NS6detail17trampoline_kernelINS0_14default_configENS1_25partition_config_selectorILNS1_17partition_subalgoE5EiNS0_10empty_typeEbEEZZNS1_14partition_implILS5_5ELb0ES3_mPiPS6_N6thrust23THRUST_200600_302600_NS18transform_iteratorIN6dUtils5isOneIiEES9_NSC_11use_defaultESH_EENS0_5tupleIJS9_S6_EEENSJ_IJSA_SA_EEES6_PlJS6_EEE10hipError_tPvRmT3_T4_T5_T6_T7_T9_mT8_P12ihipStream_tbDpT10_ENKUlT_T0_E_clISt17integral_constantIbLb1EES16_EEDaS11_S12_EUlS11_E_NS1_11comp_targetILNS1_3genE2ELNS1_11target_archE906ELNS1_3gpuE6ELNS1_3repE0EEENS1_30default_config_static_selectorELNS0_4arch9wavefront6targetE1EEEvT1_
                                        ; -- End function
	.section	.AMDGPU.csdata,"",@progbits
; Kernel info:
; codeLenInByte = 0
; NumSgprs: 4
; NumVgprs: 0
; NumAgprs: 0
; TotalNumVgprs: 0
; ScratchSize: 0
; MemoryBound: 0
; FloatMode: 240
; IeeeMode: 1
; LDSByteSize: 0 bytes/workgroup (compile time only)
; SGPRBlocks: 0
; VGPRBlocks: 0
; NumSGPRsForWavesPerEU: 4
; NumVGPRsForWavesPerEU: 1
; AccumOffset: 4
; Occupancy: 8
; WaveLimiterHint : 0
; COMPUTE_PGM_RSRC2:SCRATCH_EN: 0
; COMPUTE_PGM_RSRC2:USER_SGPR: 6
; COMPUTE_PGM_RSRC2:TRAP_HANDLER: 0
; COMPUTE_PGM_RSRC2:TGID_X_EN: 1
; COMPUTE_PGM_RSRC2:TGID_Y_EN: 0
; COMPUTE_PGM_RSRC2:TGID_Z_EN: 0
; COMPUTE_PGM_RSRC2:TIDIG_COMP_CNT: 0
; COMPUTE_PGM_RSRC3_GFX90A:ACCUM_OFFSET: 0
; COMPUTE_PGM_RSRC3_GFX90A:TG_SPLIT: 0
	.section	.text._ZN7rocprim17ROCPRIM_400000_NS6detail17trampoline_kernelINS0_14default_configENS1_25partition_config_selectorILNS1_17partition_subalgoE5EiNS0_10empty_typeEbEEZZNS1_14partition_implILS5_5ELb0ES3_mPiPS6_N6thrust23THRUST_200600_302600_NS18transform_iteratorIN6dUtils5isOneIiEES9_NSC_11use_defaultESH_EENS0_5tupleIJS9_S6_EEENSJ_IJSA_SA_EEES6_PlJS6_EEE10hipError_tPvRmT3_T4_T5_T6_T7_T9_mT8_P12ihipStream_tbDpT10_ENKUlT_T0_E_clISt17integral_constantIbLb1EES16_EEDaS11_S12_EUlS11_E_NS1_11comp_targetILNS1_3genE10ELNS1_11target_archE1200ELNS1_3gpuE4ELNS1_3repE0EEENS1_30default_config_static_selectorELNS0_4arch9wavefront6targetE1EEEvT1_,"axG",@progbits,_ZN7rocprim17ROCPRIM_400000_NS6detail17trampoline_kernelINS0_14default_configENS1_25partition_config_selectorILNS1_17partition_subalgoE5EiNS0_10empty_typeEbEEZZNS1_14partition_implILS5_5ELb0ES3_mPiPS6_N6thrust23THRUST_200600_302600_NS18transform_iteratorIN6dUtils5isOneIiEES9_NSC_11use_defaultESH_EENS0_5tupleIJS9_S6_EEENSJ_IJSA_SA_EEES6_PlJS6_EEE10hipError_tPvRmT3_T4_T5_T6_T7_T9_mT8_P12ihipStream_tbDpT10_ENKUlT_T0_E_clISt17integral_constantIbLb1EES16_EEDaS11_S12_EUlS11_E_NS1_11comp_targetILNS1_3genE10ELNS1_11target_archE1200ELNS1_3gpuE4ELNS1_3repE0EEENS1_30default_config_static_selectorELNS0_4arch9wavefront6targetE1EEEvT1_,comdat
	.protected	_ZN7rocprim17ROCPRIM_400000_NS6detail17trampoline_kernelINS0_14default_configENS1_25partition_config_selectorILNS1_17partition_subalgoE5EiNS0_10empty_typeEbEEZZNS1_14partition_implILS5_5ELb0ES3_mPiPS6_N6thrust23THRUST_200600_302600_NS18transform_iteratorIN6dUtils5isOneIiEES9_NSC_11use_defaultESH_EENS0_5tupleIJS9_S6_EEENSJ_IJSA_SA_EEES6_PlJS6_EEE10hipError_tPvRmT3_T4_T5_T6_T7_T9_mT8_P12ihipStream_tbDpT10_ENKUlT_T0_E_clISt17integral_constantIbLb1EES16_EEDaS11_S12_EUlS11_E_NS1_11comp_targetILNS1_3genE10ELNS1_11target_archE1200ELNS1_3gpuE4ELNS1_3repE0EEENS1_30default_config_static_selectorELNS0_4arch9wavefront6targetE1EEEvT1_ ; -- Begin function _ZN7rocprim17ROCPRIM_400000_NS6detail17trampoline_kernelINS0_14default_configENS1_25partition_config_selectorILNS1_17partition_subalgoE5EiNS0_10empty_typeEbEEZZNS1_14partition_implILS5_5ELb0ES3_mPiPS6_N6thrust23THRUST_200600_302600_NS18transform_iteratorIN6dUtils5isOneIiEES9_NSC_11use_defaultESH_EENS0_5tupleIJS9_S6_EEENSJ_IJSA_SA_EEES6_PlJS6_EEE10hipError_tPvRmT3_T4_T5_T6_T7_T9_mT8_P12ihipStream_tbDpT10_ENKUlT_T0_E_clISt17integral_constantIbLb1EES16_EEDaS11_S12_EUlS11_E_NS1_11comp_targetILNS1_3genE10ELNS1_11target_archE1200ELNS1_3gpuE4ELNS1_3repE0EEENS1_30default_config_static_selectorELNS0_4arch9wavefront6targetE1EEEvT1_
	.globl	_ZN7rocprim17ROCPRIM_400000_NS6detail17trampoline_kernelINS0_14default_configENS1_25partition_config_selectorILNS1_17partition_subalgoE5EiNS0_10empty_typeEbEEZZNS1_14partition_implILS5_5ELb0ES3_mPiPS6_N6thrust23THRUST_200600_302600_NS18transform_iteratorIN6dUtils5isOneIiEES9_NSC_11use_defaultESH_EENS0_5tupleIJS9_S6_EEENSJ_IJSA_SA_EEES6_PlJS6_EEE10hipError_tPvRmT3_T4_T5_T6_T7_T9_mT8_P12ihipStream_tbDpT10_ENKUlT_T0_E_clISt17integral_constantIbLb1EES16_EEDaS11_S12_EUlS11_E_NS1_11comp_targetILNS1_3genE10ELNS1_11target_archE1200ELNS1_3gpuE4ELNS1_3repE0EEENS1_30default_config_static_selectorELNS0_4arch9wavefront6targetE1EEEvT1_
	.p2align	8
	.type	_ZN7rocprim17ROCPRIM_400000_NS6detail17trampoline_kernelINS0_14default_configENS1_25partition_config_selectorILNS1_17partition_subalgoE5EiNS0_10empty_typeEbEEZZNS1_14partition_implILS5_5ELb0ES3_mPiPS6_N6thrust23THRUST_200600_302600_NS18transform_iteratorIN6dUtils5isOneIiEES9_NSC_11use_defaultESH_EENS0_5tupleIJS9_S6_EEENSJ_IJSA_SA_EEES6_PlJS6_EEE10hipError_tPvRmT3_T4_T5_T6_T7_T9_mT8_P12ihipStream_tbDpT10_ENKUlT_T0_E_clISt17integral_constantIbLb1EES16_EEDaS11_S12_EUlS11_E_NS1_11comp_targetILNS1_3genE10ELNS1_11target_archE1200ELNS1_3gpuE4ELNS1_3repE0EEENS1_30default_config_static_selectorELNS0_4arch9wavefront6targetE1EEEvT1_,@function
_ZN7rocprim17ROCPRIM_400000_NS6detail17trampoline_kernelINS0_14default_configENS1_25partition_config_selectorILNS1_17partition_subalgoE5EiNS0_10empty_typeEbEEZZNS1_14partition_implILS5_5ELb0ES3_mPiPS6_N6thrust23THRUST_200600_302600_NS18transform_iteratorIN6dUtils5isOneIiEES9_NSC_11use_defaultESH_EENS0_5tupleIJS9_S6_EEENSJ_IJSA_SA_EEES6_PlJS6_EEE10hipError_tPvRmT3_T4_T5_T6_T7_T9_mT8_P12ihipStream_tbDpT10_ENKUlT_T0_E_clISt17integral_constantIbLb1EES16_EEDaS11_S12_EUlS11_E_NS1_11comp_targetILNS1_3genE10ELNS1_11target_archE1200ELNS1_3gpuE4ELNS1_3repE0EEENS1_30default_config_static_selectorELNS0_4arch9wavefront6targetE1EEEvT1_: ; @_ZN7rocprim17ROCPRIM_400000_NS6detail17trampoline_kernelINS0_14default_configENS1_25partition_config_selectorILNS1_17partition_subalgoE5EiNS0_10empty_typeEbEEZZNS1_14partition_implILS5_5ELb0ES3_mPiPS6_N6thrust23THRUST_200600_302600_NS18transform_iteratorIN6dUtils5isOneIiEES9_NSC_11use_defaultESH_EENS0_5tupleIJS9_S6_EEENSJ_IJSA_SA_EEES6_PlJS6_EEE10hipError_tPvRmT3_T4_T5_T6_T7_T9_mT8_P12ihipStream_tbDpT10_ENKUlT_T0_E_clISt17integral_constantIbLb1EES16_EEDaS11_S12_EUlS11_E_NS1_11comp_targetILNS1_3genE10ELNS1_11target_archE1200ELNS1_3gpuE4ELNS1_3repE0EEENS1_30default_config_static_selectorELNS0_4arch9wavefront6targetE1EEEvT1_
; %bb.0:
	.section	.rodata,"a",@progbits
	.p2align	6, 0x0
	.amdhsa_kernel _ZN7rocprim17ROCPRIM_400000_NS6detail17trampoline_kernelINS0_14default_configENS1_25partition_config_selectorILNS1_17partition_subalgoE5EiNS0_10empty_typeEbEEZZNS1_14partition_implILS5_5ELb0ES3_mPiPS6_N6thrust23THRUST_200600_302600_NS18transform_iteratorIN6dUtils5isOneIiEES9_NSC_11use_defaultESH_EENS0_5tupleIJS9_S6_EEENSJ_IJSA_SA_EEES6_PlJS6_EEE10hipError_tPvRmT3_T4_T5_T6_T7_T9_mT8_P12ihipStream_tbDpT10_ENKUlT_T0_E_clISt17integral_constantIbLb1EES16_EEDaS11_S12_EUlS11_E_NS1_11comp_targetILNS1_3genE10ELNS1_11target_archE1200ELNS1_3gpuE4ELNS1_3repE0EEENS1_30default_config_static_selectorELNS0_4arch9wavefront6targetE1EEEvT1_
		.amdhsa_group_segment_fixed_size 0
		.amdhsa_private_segment_fixed_size 0
		.amdhsa_kernarg_size 136
		.amdhsa_user_sgpr_count 6
		.amdhsa_user_sgpr_private_segment_buffer 1
		.amdhsa_user_sgpr_dispatch_ptr 0
		.amdhsa_user_sgpr_queue_ptr 0
		.amdhsa_user_sgpr_kernarg_segment_ptr 1
		.amdhsa_user_sgpr_dispatch_id 0
		.amdhsa_user_sgpr_flat_scratch_init 0
		.amdhsa_user_sgpr_kernarg_preload_length 0
		.amdhsa_user_sgpr_kernarg_preload_offset 0
		.amdhsa_user_sgpr_private_segment_size 0
		.amdhsa_uses_dynamic_stack 0
		.amdhsa_system_sgpr_private_segment_wavefront_offset 0
		.amdhsa_system_sgpr_workgroup_id_x 1
		.amdhsa_system_sgpr_workgroup_id_y 0
		.amdhsa_system_sgpr_workgroup_id_z 0
		.amdhsa_system_sgpr_workgroup_info 0
		.amdhsa_system_vgpr_workitem_id 0
		.amdhsa_next_free_vgpr 1
		.amdhsa_next_free_sgpr 0
		.amdhsa_accum_offset 4
		.amdhsa_reserve_vcc 0
		.amdhsa_reserve_flat_scratch 0
		.amdhsa_float_round_mode_32 0
		.amdhsa_float_round_mode_16_64 0
		.amdhsa_float_denorm_mode_32 3
		.amdhsa_float_denorm_mode_16_64 3
		.amdhsa_dx10_clamp 1
		.amdhsa_ieee_mode 1
		.amdhsa_fp16_overflow 0
		.amdhsa_tg_split 0
		.amdhsa_exception_fp_ieee_invalid_op 0
		.amdhsa_exception_fp_denorm_src 0
		.amdhsa_exception_fp_ieee_div_zero 0
		.amdhsa_exception_fp_ieee_overflow 0
		.amdhsa_exception_fp_ieee_underflow 0
		.amdhsa_exception_fp_ieee_inexact 0
		.amdhsa_exception_int_div_zero 0
	.end_amdhsa_kernel
	.section	.text._ZN7rocprim17ROCPRIM_400000_NS6detail17trampoline_kernelINS0_14default_configENS1_25partition_config_selectorILNS1_17partition_subalgoE5EiNS0_10empty_typeEbEEZZNS1_14partition_implILS5_5ELb0ES3_mPiPS6_N6thrust23THRUST_200600_302600_NS18transform_iteratorIN6dUtils5isOneIiEES9_NSC_11use_defaultESH_EENS0_5tupleIJS9_S6_EEENSJ_IJSA_SA_EEES6_PlJS6_EEE10hipError_tPvRmT3_T4_T5_T6_T7_T9_mT8_P12ihipStream_tbDpT10_ENKUlT_T0_E_clISt17integral_constantIbLb1EES16_EEDaS11_S12_EUlS11_E_NS1_11comp_targetILNS1_3genE10ELNS1_11target_archE1200ELNS1_3gpuE4ELNS1_3repE0EEENS1_30default_config_static_selectorELNS0_4arch9wavefront6targetE1EEEvT1_,"axG",@progbits,_ZN7rocprim17ROCPRIM_400000_NS6detail17trampoline_kernelINS0_14default_configENS1_25partition_config_selectorILNS1_17partition_subalgoE5EiNS0_10empty_typeEbEEZZNS1_14partition_implILS5_5ELb0ES3_mPiPS6_N6thrust23THRUST_200600_302600_NS18transform_iteratorIN6dUtils5isOneIiEES9_NSC_11use_defaultESH_EENS0_5tupleIJS9_S6_EEENSJ_IJSA_SA_EEES6_PlJS6_EEE10hipError_tPvRmT3_T4_T5_T6_T7_T9_mT8_P12ihipStream_tbDpT10_ENKUlT_T0_E_clISt17integral_constantIbLb1EES16_EEDaS11_S12_EUlS11_E_NS1_11comp_targetILNS1_3genE10ELNS1_11target_archE1200ELNS1_3gpuE4ELNS1_3repE0EEENS1_30default_config_static_selectorELNS0_4arch9wavefront6targetE1EEEvT1_,comdat
.Lfunc_end161:
	.size	_ZN7rocprim17ROCPRIM_400000_NS6detail17trampoline_kernelINS0_14default_configENS1_25partition_config_selectorILNS1_17partition_subalgoE5EiNS0_10empty_typeEbEEZZNS1_14partition_implILS5_5ELb0ES3_mPiPS6_N6thrust23THRUST_200600_302600_NS18transform_iteratorIN6dUtils5isOneIiEES9_NSC_11use_defaultESH_EENS0_5tupleIJS9_S6_EEENSJ_IJSA_SA_EEES6_PlJS6_EEE10hipError_tPvRmT3_T4_T5_T6_T7_T9_mT8_P12ihipStream_tbDpT10_ENKUlT_T0_E_clISt17integral_constantIbLb1EES16_EEDaS11_S12_EUlS11_E_NS1_11comp_targetILNS1_3genE10ELNS1_11target_archE1200ELNS1_3gpuE4ELNS1_3repE0EEENS1_30default_config_static_selectorELNS0_4arch9wavefront6targetE1EEEvT1_, .Lfunc_end161-_ZN7rocprim17ROCPRIM_400000_NS6detail17trampoline_kernelINS0_14default_configENS1_25partition_config_selectorILNS1_17partition_subalgoE5EiNS0_10empty_typeEbEEZZNS1_14partition_implILS5_5ELb0ES3_mPiPS6_N6thrust23THRUST_200600_302600_NS18transform_iteratorIN6dUtils5isOneIiEES9_NSC_11use_defaultESH_EENS0_5tupleIJS9_S6_EEENSJ_IJSA_SA_EEES6_PlJS6_EEE10hipError_tPvRmT3_T4_T5_T6_T7_T9_mT8_P12ihipStream_tbDpT10_ENKUlT_T0_E_clISt17integral_constantIbLb1EES16_EEDaS11_S12_EUlS11_E_NS1_11comp_targetILNS1_3genE10ELNS1_11target_archE1200ELNS1_3gpuE4ELNS1_3repE0EEENS1_30default_config_static_selectorELNS0_4arch9wavefront6targetE1EEEvT1_
                                        ; -- End function
	.section	.AMDGPU.csdata,"",@progbits
; Kernel info:
; codeLenInByte = 0
; NumSgprs: 4
; NumVgprs: 0
; NumAgprs: 0
; TotalNumVgprs: 0
; ScratchSize: 0
; MemoryBound: 0
; FloatMode: 240
; IeeeMode: 1
; LDSByteSize: 0 bytes/workgroup (compile time only)
; SGPRBlocks: 0
; VGPRBlocks: 0
; NumSGPRsForWavesPerEU: 4
; NumVGPRsForWavesPerEU: 1
; AccumOffset: 4
; Occupancy: 8
; WaveLimiterHint : 0
; COMPUTE_PGM_RSRC2:SCRATCH_EN: 0
; COMPUTE_PGM_RSRC2:USER_SGPR: 6
; COMPUTE_PGM_RSRC2:TRAP_HANDLER: 0
; COMPUTE_PGM_RSRC2:TGID_X_EN: 1
; COMPUTE_PGM_RSRC2:TGID_Y_EN: 0
; COMPUTE_PGM_RSRC2:TGID_Z_EN: 0
; COMPUTE_PGM_RSRC2:TIDIG_COMP_CNT: 0
; COMPUTE_PGM_RSRC3_GFX90A:ACCUM_OFFSET: 0
; COMPUTE_PGM_RSRC3_GFX90A:TG_SPLIT: 0
	.section	.text._ZN7rocprim17ROCPRIM_400000_NS6detail17trampoline_kernelINS0_14default_configENS1_25partition_config_selectorILNS1_17partition_subalgoE5EiNS0_10empty_typeEbEEZZNS1_14partition_implILS5_5ELb0ES3_mPiPS6_N6thrust23THRUST_200600_302600_NS18transform_iteratorIN6dUtils5isOneIiEES9_NSC_11use_defaultESH_EENS0_5tupleIJS9_S6_EEENSJ_IJSA_SA_EEES6_PlJS6_EEE10hipError_tPvRmT3_T4_T5_T6_T7_T9_mT8_P12ihipStream_tbDpT10_ENKUlT_T0_E_clISt17integral_constantIbLb1EES16_EEDaS11_S12_EUlS11_E_NS1_11comp_targetILNS1_3genE9ELNS1_11target_archE1100ELNS1_3gpuE3ELNS1_3repE0EEENS1_30default_config_static_selectorELNS0_4arch9wavefront6targetE1EEEvT1_,"axG",@progbits,_ZN7rocprim17ROCPRIM_400000_NS6detail17trampoline_kernelINS0_14default_configENS1_25partition_config_selectorILNS1_17partition_subalgoE5EiNS0_10empty_typeEbEEZZNS1_14partition_implILS5_5ELb0ES3_mPiPS6_N6thrust23THRUST_200600_302600_NS18transform_iteratorIN6dUtils5isOneIiEES9_NSC_11use_defaultESH_EENS0_5tupleIJS9_S6_EEENSJ_IJSA_SA_EEES6_PlJS6_EEE10hipError_tPvRmT3_T4_T5_T6_T7_T9_mT8_P12ihipStream_tbDpT10_ENKUlT_T0_E_clISt17integral_constantIbLb1EES16_EEDaS11_S12_EUlS11_E_NS1_11comp_targetILNS1_3genE9ELNS1_11target_archE1100ELNS1_3gpuE3ELNS1_3repE0EEENS1_30default_config_static_selectorELNS0_4arch9wavefront6targetE1EEEvT1_,comdat
	.protected	_ZN7rocprim17ROCPRIM_400000_NS6detail17trampoline_kernelINS0_14default_configENS1_25partition_config_selectorILNS1_17partition_subalgoE5EiNS0_10empty_typeEbEEZZNS1_14partition_implILS5_5ELb0ES3_mPiPS6_N6thrust23THRUST_200600_302600_NS18transform_iteratorIN6dUtils5isOneIiEES9_NSC_11use_defaultESH_EENS0_5tupleIJS9_S6_EEENSJ_IJSA_SA_EEES6_PlJS6_EEE10hipError_tPvRmT3_T4_T5_T6_T7_T9_mT8_P12ihipStream_tbDpT10_ENKUlT_T0_E_clISt17integral_constantIbLb1EES16_EEDaS11_S12_EUlS11_E_NS1_11comp_targetILNS1_3genE9ELNS1_11target_archE1100ELNS1_3gpuE3ELNS1_3repE0EEENS1_30default_config_static_selectorELNS0_4arch9wavefront6targetE1EEEvT1_ ; -- Begin function _ZN7rocprim17ROCPRIM_400000_NS6detail17trampoline_kernelINS0_14default_configENS1_25partition_config_selectorILNS1_17partition_subalgoE5EiNS0_10empty_typeEbEEZZNS1_14partition_implILS5_5ELb0ES3_mPiPS6_N6thrust23THRUST_200600_302600_NS18transform_iteratorIN6dUtils5isOneIiEES9_NSC_11use_defaultESH_EENS0_5tupleIJS9_S6_EEENSJ_IJSA_SA_EEES6_PlJS6_EEE10hipError_tPvRmT3_T4_T5_T6_T7_T9_mT8_P12ihipStream_tbDpT10_ENKUlT_T0_E_clISt17integral_constantIbLb1EES16_EEDaS11_S12_EUlS11_E_NS1_11comp_targetILNS1_3genE9ELNS1_11target_archE1100ELNS1_3gpuE3ELNS1_3repE0EEENS1_30default_config_static_selectorELNS0_4arch9wavefront6targetE1EEEvT1_
	.globl	_ZN7rocprim17ROCPRIM_400000_NS6detail17trampoline_kernelINS0_14default_configENS1_25partition_config_selectorILNS1_17partition_subalgoE5EiNS0_10empty_typeEbEEZZNS1_14partition_implILS5_5ELb0ES3_mPiPS6_N6thrust23THRUST_200600_302600_NS18transform_iteratorIN6dUtils5isOneIiEES9_NSC_11use_defaultESH_EENS0_5tupleIJS9_S6_EEENSJ_IJSA_SA_EEES6_PlJS6_EEE10hipError_tPvRmT3_T4_T5_T6_T7_T9_mT8_P12ihipStream_tbDpT10_ENKUlT_T0_E_clISt17integral_constantIbLb1EES16_EEDaS11_S12_EUlS11_E_NS1_11comp_targetILNS1_3genE9ELNS1_11target_archE1100ELNS1_3gpuE3ELNS1_3repE0EEENS1_30default_config_static_selectorELNS0_4arch9wavefront6targetE1EEEvT1_
	.p2align	8
	.type	_ZN7rocprim17ROCPRIM_400000_NS6detail17trampoline_kernelINS0_14default_configENS1_25partition_config_selectorILNS1_17partition_subalgoE5EiNS0_10empty_typeEbEEZZNS1_14partition_implILS5_5ELb0ES3_mPiPS6_N6thrust23THRUST_200600_302600_NS18transform_iteratorIN6dUtils5isOneIiEES9_NSC_11use_defaultESH_EENS0_5tupleIJS9_S6_EEENSJ_IJSA_SA_EEES6_PlJS6_EEE10hipError_tPvRmT3_T4_T5_T6_T7_T9_mT8_P12ihipStream_tbDpT10_ENKUlT_T0_E_clISt17integral_constantIbLb1EES16_EEDaS11_S12_EUlS11_E_NS1_11comp_targetILNS1_3genE9ELNS1_11target_archE1100ELNS1_3gpuE3ELNS1_3repE0EEENS1_30default_config_static_selectorELNS0_4arch9wavefront6targetE1EEEvT1_,@function
_ZN7rocprim17ROCPRIM_400000_NS6detail17trampoline_kernelINS0_14default_configENS1_25partition_config_selectorILNS1_17partition_subalgoE5EiNS0_10empty_typeEbEEZZNS1_14partition_implILS5_5ELb0ES3_mPiPS6_N6thrust23THRUST_200600_302600_NS18transform_iteratorIN6dUtils5isOneIiEES9_NSC_11use_defaultESH_EENS0_5tupleIJS9_S6_EEENSJ_IJSA_SA_EEES6_PlJS6_EEE10hipError_tPvRmT3_T4_T5_T6_T7_T9_mT8_P12ihipStream_tbDpT10_ENKUlT_T0_E_clISt17integral_constantIbLb1EES16_EEDaS11_S12_EUlS11_E_NS1_11comp_targetILNS1_3genE9ELNS1_11target_archE1100ELNS1_3gpuE3ELNS1_3repE0EEENS1_30default_config_static_selectorELNS0_4arch9wavefront6targetE1EEEvT1_: ; @_ZN7rocprim17ROCPRIM_400000_NS6detail17trampoline_kernelINS0_14default_configENS1_25partition_config_selectorILNS1_17partition_subalgoE5EiNS0_10empty_typeEbEEZZNS1_14partition_implILS5_5ELb0ES3_mPiPS6_N6thrust23THRUST_200600_302600_NS18transform_iteratorIN6dUtils5isOneIiEES9_NSC_11use_defaultESH_EENS0_5tupleIJS9_S6_EEENSJ_IJSA_SA_EEES6_PlJS6_EEE10hipError_tPvRmT3_T4_T5_T6_T7_T9_mT8_P12ihipStream_tbDpT10_ENKUlT_T0_E_clISt17integral_constantIbLb1EES16_EEDaS11_S12_EUlS11_E_NS1_11comp_targetILNS1_3genE9ELNS1_11target_archE1100ELNS1_3gpuE3ELNS1_3repE0EEENS1_30default_config_static_selectorELNS0_4arch9wavefront6targetE1EEEvT1_
; %bb.0:
	.section	.rodata,"a",@progbits
	.p2align	6, 0x0
	.amdhsa_kernel _ZN7rocprim17ROCPRIM_400000_NS6detail17trampoline_kernelINS0_14default_configENS1_25partition_config_selectorILNS1_17partition_subalgoE5EiNS0_10empty_typeEbEEZZNS1_14partition_implILS5_5ELb0ES3_mPiPS6_N6thrust23THRUST_200600_302600_NS18transform_iteratorIN6dUtils5isOneIiEES9_NSC_11use_defaultESH_EENS0_5tupleIJS9_S6_EEENSJ_IJSA_SA_EEES6_PlJS6_EEE10hipError_tPvRmT3_T4_T5_T6_T7_T9_mT8_P12ihipStream_tbDpT10_ENKUlT_T0_E_clISt17integral_constantIbLb1EES16_EEDaS11_S12_EUlS11_E_NS1_11comp_targetILNS1_3genE9ELNS1_11target_archE1100ELNS1_3gpuE3ELNS1_3repE0EEENS1_30default_config_static_selectorELNS0_4arch9wavefront6targetE1EEEvT1_
		.amdhsa_group_segment_fixed_size 0
		.amdhsa_private_segment_fixed_size 0
		.amdhsa_kernarg_size 136
		.amdhsa_user_sgpr_count 6
		.amdhsa_user_sgpr_private_segment_buffer 1
		.amdhsa_user_sgpr_dispatch_ptr 0
		.amdhsa_user_sgpr_queue_ptr 0
		.amdhsa_user_sgpr_kernarg_segment_ptr 1
		.amdhsa_user_sgpr_dispatch_id 0
		.amdhsa_user_sgpr_flat_scratch_init 0
		.amdhsa_user_sgpr_kernarg_preload_length 0
		.amdhsa_user_sgpr_kernarg_preload_offset 0
		.amdhsa_user_sgpr_private_segment_size 0
		.amdhsa_uses_dynamic_stack 0
		.amdhsa_system_sgpr_private_segment_wavefront_offset 0
		.amdhsa_system_sgpr_workgroup_id_x 1
		.amdhsa_system_sgpr_workgroup_id_y 0
		.amdhsa_system_sgpr_workgroup_id_z 0
		.amdhsa_system_sgpr_workgroup_info 0
		.amdhsa_system_vgpr_workitem_id 0
		.amdhsa_next_free_vgpr 1
		.amdhsa_next_free_sgpr 0
		.amdhsa_accum_offset 4
		.amdhsa_reserve_vcc 0
		.amdhsa_reserve_flat_scratch 0
		.amdhsa_float_round_mode_32 0
		.amdhsa_float_round_mode_16_64 0
		.amdhsa_float_denorm_mode_32 3
		.amdhsa_float_denorm_mode_16_64 3
		.amdhsa_dx10_clamp 1
		.amdhsa_ieee_mode 1
		.amdhsa_fp16_overflow 0
		.amdhsa_tg_split 0
		.amdhsa_exception_fp_ieee_invalid_op 0
		.amdhsa_exception_fp_denorm_src 0
		.amdhsa_exception_fp_ieee_div_zero 0
		.amdhsa_exception_fp_ieee_overflow 0
		.amdhsa_exception_fp_ieee_underflow 0
		.amdhsa_exception_fp_ieee_inexact 0
		.amdhsa_exception_int_div_zero 0
	.end_amdhsa_kernel
	.section	.text._ZN7rocprim17ROCPRIM_400000_NS6detail17trampoline_kernelINS0_14default_configENS1_25partition_config_selectorILNS1_17partition_subalgoE5EiNS0_10empty_typeEbEEZZNS1_14partition_implILS5_5ELb0ES3_mPiPS6_N6thrust23THRUST_200600_302600_NS18transform_iteratorIN6dUtils5isOneIiEES9_NSC_11use_defaultESH_EENS0_5tupleIJS9_S6_EEENSJ_IJSA_SA_EEES6_PlJS6_EEE10hipError_tPvRmT3_T4_T5_T6_T7_T9_mT8_P12ihipStream_tbDpT10_ENKUlT_T0_E_clISt17integral_constantIbLb1EES16_EEDaS11_S12_EUlS11_E_NS1_11comp_targetILNS1_3genE9ELNS1_11target_archE1100ELNS1_3gpuE3ELNS1_3repE0EEENS1_30default_config_static_selectorELNS0_4arch9wavefront6targetE1EEEvT1_,"axG",@progbits,_ZN7rocprim17ROCPRIM_400000_NS6detail17trampoline_kernelINS0_14default_configENS1_25partition_config_selectorILNS1_17partition_subalgoE5EiNS0_10empty_typeEbEEZZNS1_14partition_implILS5_5ELb0ES3_mPiPS6_N6thrust23THRUST_200600_302600_NS18transform_iteratorIN6dUtils5isOneIiEES9_NSC_11use_defaultESH_EENS0_5tupleIJS9_S6_EEENSJ_IJSA_SA_EEES6_PlJS6_EEE10hipError_tPvRmT3_T4_T5_T6_T7_T9_mT8_P12ihipStream_tbDpT10_ENKUlT_T0_E_clISt17integral_constantIbLb1EES16_EEDaS11_S12_EUlS11_E_NS1_11comp_targetILNS1_3genE9ELNS1_11target_archE1100ELNS1_3gpuE3ELNS1_3repE0EEENS1_30default_config_static_selectorELNS0_4arch9wavefront6targetE1EEEvT1_,comdat
.Lfunc_end162:
	.size	_ZN7rocprim17ROCPRIM_400000_NS6detail17trampoline_kernelINS0_14default_configENS1_25partition_config_selectorILNS1_17partition_subalgoE5EiNS0_10empty_typeEbEEZZNS1_14partition_implILS5_5ELb0ES3_mPiPS6_N6thrust23THRUST_200600_302600_NS18transform_iteratorIN6dUtils5isOneIiEES9_NSC_11use_defaultESH_EENS0_5tupleIJS9_S6_EEENSJ_IJSA_SA_EEES6_PlJS6_EEE10hipError_tPvRmT3_T4_T5_T6_T7_T9_mT8_P12ihipStream_tbDpT10_ENKUlT_T0_E_clISt17integral_constantIbLb1EES16_EEDaS11_S12_EUlS11_E_NS1_11comp_targetILNS1_3genE9ELNS1_11target_archE1100ELNS1_3gpuE3ELNS1_3repE0EEENS1_30default_config_static_selectorELNS0_4arch9wavefront6targetE1EEEvT1_, .Lfunc_end162-_ZN7rocprim17ROCPRIM_400000_NS6detail17trampoline_kernelINS0_14default_configENS1_25partition_config_selectorILNS1_17partition_subalgoE5EiNS0_10empty_typeEbEEZZNS1_14partition_implILS5_5ELb0ES3_mPiPS6_N6thrust23THRUST_200600_302600_NS18transform_iteratorIN6dUtils5isOneIiEES9_NSC_11use_defaultESH_EENS0_5tupleIJS9_S6_EEENSJ_IJSA_SA_EEES6_PlJS6_EEE10hipError_tPvRmT3_T4_T5_T6_T7_T9_mT8_P12ihipStream_tbDpT10_ENKUlT_T0_E_clISt17integral_constantIbLb1EES16_EEDaS11_S12_EUlS11_E_NS1_11comp_targetILNS1_3genE9ELNS1_11target_archE1100ELNS1_3gpuE3ELNS1_3repE0EEENS1_30default_config_static_selectorELNS0_4arch9wavefront6targetE1EEEvT1_
                                        ; -- End function
	.section	.AMDGPU.csdata,"",@progbits
; Kernel info:
; codeLenInByte = 0
; NumSgprs: 4
; NumVgprs: 0
; NumAgprs: 0
; TotalNumVgprs: 0
; ScratchSize: 0
; MemoryBound: 0
; FloatMode: 240
; IeeeMode: 1
; LDSByteSize: 0 bytes/workgroup (compile time only)
; SGPRBlocks: 0
; VGPRBlocks: 0
; NumSGPRsForWavesPerEU: 4
; NumVGPRsForWavesPerEU: 1
; AccumOffset: 4
; Occupancy: 8
; WaveLimiterHint : 0
; COMPUTE_PGM_RSRC2:SCRATCH_EN: 0
; COMPUTE_PGM_RSRC2:USER_SGPR: 6
; COMPUTE_PGM_RSRC2:TRAP_HANDLER: 0
; COMPUTE_PGM_RSRC2:TGID_X_EN: 1
; COMPUTE_PGM_RSRC2:TGID_Y_EN: 0
; COMPUTE_PGM_RSRC2:TGID_Z_EN: 0
; COMPUTE_PGM_RSRC2:TIDIG_COMP_CNT: 0
; COMPUTE_PGM_RSRC3_GFX90A:ACCUM_OFFSET: 0
; COMPUTE_PGM_RSRC3_GFX90A:TG_SPLIT: 0
	.section	.text._ZN7rocprim17ROCPRIM_400000_NS6detail17trampoline_kernelINS0_14default_configENS1_25partition_config_selectorILNS1_17partition_subalgoE5EiNS0_10empty_typeEbEEZZNS1_14partition_implILS5_5ELb0ES3_mPiPS6_N6thrust23THRUST_200600_302600_NS18transform_iteratorIN6dUtils5isOneIiEES9_NSC_11use_defaultESH_EENS0_5tupleIJS9_S6_EEENSJ_IJSA_SA_EEES6_PlJS6_EEE10hipError_tPvRmT3_T4_T5_T6_T7_T9_mT8_P12ihipStream_tbDpT10_ENKUlT_T0_E_clISt17integral_constantIbLb1EES16_EEDaS11_S12_EUlS11_E_NS1_11comp_targetILNS1_3genE8ELNS1_11target_archE1030ELNS1_3gpuE2ELNS1_3repE0EEENS1_30default_config_static_selectorELNS0_4arch9wavefront6targetE1EEEvT1_,"axG",@progbits,_ZN7rocprim17ROCPRIM_400000_NS6detail17trampoline_kernelINS0_14default_configENS1_25partition_config_selectorILNS1_17partition_subalgoE5EiNS0_10empty_typeEbEEZZNS1_14partition_implILS5_5ELb0ES3_mPiPS6_N6thrust23THRUST_200600_302600_NS18transform_iteratorIN6dUtils5isOneIiEES9_NSC_11use_defaultESH_EENS0_5tupleIJS9_S6_EEENSJ_IJSA_SA_EEES6_PlJS6_EEE10hipError_tPvRmT3_T4_T5_T6_T7_T9_mT8_P12ihipStream_tbDpT10_ENKUlT_T0_E_clISt17integral_constantIbLb1EES16_EEDaS11_S12_EUlS11_E_NS1_11comp_targetILNS1_3genE8ELNS1_11target_archE1030ELNS1_3gpuE2ELNS1_3repE0EEENS1_30default_config_static_selectorELNS0_4arch9wavefront6targetE1EEEvT1_,comdat
	.protected	_ZN7rocprim17ROCPRIM_400000_NS6detail17trampoline_kernelINS0_14default_configENS1_25partition_config_selectorILNS1_17partition_subalgoE5EiNS0_10empty_typeEbEEZZNS1_14partition_implILS5_5ELb0ES3_mPiPS6_N6thrust23THRUST_200600_302600_NS18transform_iteratorIN6dUtils5isOneIiEES9_NSC_11use_defaultESH_EENS0_5tupleIJS9_S6_EEENSJ_IJSA_SA_EEES6_PlJS6_EEE10hipError_tPvRmT3_T4_T5_T6_T7_T9_mT8_P12ihipStream_tbDpT10_ENKUlT_T0_E_clISt17integral_constantIbLb1EES16_EEDaS11_S12_EUlS11_E_NS1_11comp_targetILNS1_3genE8ELNS1_11target_archE1030ELNS1_3gpuE2ELNS1_3repE0EEENS1_30default_config_static_selectorELNS0_4arch9wavefront6targetE1EEEvT1_ ; -- Begin function _ZN7rocprim17ROCPRIM_400000_NS6detail17trampoline_kernelINS0_14default_configENS1_25partition_config_selectorILNS1_17partition_subalgoE5EiNS0_10empty_typeEbEEZZNS1_14partition_implILS5_5ELb0ES3_mPiPS6_N6thrust23THRUST_200600_302600_NS18transform_iteratorIN6dUtils5isOneIiEES9_NSC_11use_defaultESH_EENS0_5tupleIJS9_S6_EEENSJ_IJSA_SA_EEES6_PlJS6_EEE10hipError_tPvRmT3_T4_T5_T6_T7_T9_mT8_P12ihipStream_tbDpT10_ENKUlT_T0_E_clISt17integral_constantIbLb1EES16_EEDaS11_S12_EUlS11_E_NS1_11comp_targetILNS1_3genE8ELNS1_11target_archE1030ELNS1_3gpuE2ELNS1_3repE0EEENS1_30default_config_static_selectorELNS0_4arch9wavefront6targetE1EEEvT1_
	.globl	_ZN7rocprim17ROCPRIM_400000_NS6detail17trampoline_kernelINS0_14default_configENS1_25partition_config_selectorILNS1_17partition_subalgoE5EiNS0_10empty_typeEbEEZZNS1_14partition_implILS5_5ELb0ES3_mPiPS6_N6thrust23THRUST_200600_302600_NS18transform_iteratorIN6dUtils5isOneIiEES9_NSC_11use_defaultESH_EENS0_5tupleIJS9_S6_EEENSJ_IJSA_SA_EEES6_PlJS6_EEE10hipError_tPvRmT3_T4_T5_T6_T7_T9_mT8_P12ihipStream_tbDpT10_ENKUlT_T0_E_clISt17integral_constantIbLb1EES16_EEDaS11_S12_EUlS11_E_NS1_11comp_targetILNS1_3genE8ELNS1_11target_archE1030ELNS1_3gpuE2ELNS1_3repE0EEENS1_30default_config_static_selectorELNS0_4arch9wavefront6targetE1EEEvT1_
	.p2align	8
	.type	_ZN7rocprim17ROCPRIM_400000_NS6detail17trampoline_kernelINS0_14default_configENS1_25partition_config_selectorILNS1_17partition_subalgoE5EiNS0_10empty_typeEbEEZZNS1_14partition_implILS5_5ELb0ES3_mPiPS6_N6thrust23THRUST_200600_302600_NS18transform_iteratorIN6dUtils5isOneIiEES9_NSC_11use_defaultESH_EENS0_5tupleIJS9_S6_EEENSJ_IJSA_SA_EEES6_PlJS6_EEE10hipError_tPvRmT3_T4_T5_T6_T7_T9_mT8_P12ihipStream_tbDpT10_ENKUlT_T0_E_clISt17integral_constantIbLb1EES16_EEDaS11_S12_EUlS11_E_NS1_11comp_targetILNS1_3genE8ELNS1_11target_archE1030ELNS1_3gpuE2ELNS1_3repE0EEENS1_30default_config_static_selectorELNS0_4arch9wavefront6targetE1EEEvT1_,@function
_ZN7rocprim17ROCPRIM_400000_NS6detail17trampoline_kernelINS0_14default_configENS1_25partition_config_selectorILNS1_17partition_subalgoE5EiNS0_10empty_typeEbEEZZNS1_14partition_implILS5_5ELb0ES3_mPiPS6_N6thrust23THRUST_200600_302600_NS18transform_iteratorIN6dUtils5isOneIiEES9_NSC_11use_defaultESH_EENS0_5tupleIJS9_S6_EEENSJ_IJSA_SA_EEES6_PlJS6_EEE10hipError_tPvRmT3_T4_T5_T6_T7_T9_mT8_P12ihipStream_tbDpT10_ENKUlT_T0_E_clISt17integral_constantIbLb1EES16_EEDaS11_S12_EUlS11_E_NS1_11comp_targetILNS1_3genE8ELNS1_11target_archE1030ELNS1_3gpuE2ELNS1_3repE0EEENS1_30default_config_static_selectorELNS0_4arch9wavefront6targetE1EEEvT1_: ; @_ZN7rocprim17ROCPRIM_400000_NS6detail17trampoline_kernelINS0_14default_configENS1_25partition_config_selectorILNS1_17partition_subalgoE5EiNS0_10empty_typeEbEEZZNS1_14partition_implILS5_5ELb0ES3_mPiPS6_N6thrust23THRUST_200600_302600_NS18transform_iteratorIN6dUtils5isOneIiEES9_NSC_11use_defaultESH_EENS0_5tupleIJS9_S6_EEENSJ_IJSA_SA_EEES6_PlJS6_EEE10hipError_tPvRmT3_T4_T5_T6_T7_T9_mT8_P12ihipStream_tbDpT10_ENKUlT_T0_E_clISt17integral_constantIbLb1EES16_EEDaS11_S12_EUlS11_E_NS1_11comp_targetILNS1_3genE8ELNS1_11target_archE1030ELNS1_3gpuE2ELNS1_3repE0EEENS1_30default_config_static_selectorELNS0_4arch9wavefront6targetE1EEEvT1_
; %bb.0:
	.section	.rodata,"a",@progbits
	.p2align	6, 0x0
	.amdhsa_kernel _ZN7rocprim17ROCPRIM_400000_NS6detail17trampoline_kernelINS0_14default_configENS1_25partition_config_selectorILNS1_17partition_subalgoE5EiNS0_10empty_typeEbEEZZNS1_14partition_implILS5_5ELb0ES3_mPiPS6_N6thrust23THRUST_200600_302600_NS18transform_iteratorIN6dUtils5isOneIiEES9_NSC_11use_defaultESH_EENS0_5tupleIJS9_S6_EEENSJ_IJSA_SA_EEES6_PlJS6_EEE10hipError_tPvRmT3_T4_T5_T6_T7_T9_mT8_P12ihipStream_tbDpT10_ENKUlT_T0_E_clISt17integral_constantIbLb1EES16_EEDaS11_S12_EUlS11_E_NS1_11comp_targetILNS1_3genE8ELNS1_11target_archE1030ELNS1_3gpuE2ELNS1_3repE0EEENS1_30default_config_static_selectorELNS0_4arch9wavefront6targetE1EEEvT1_
		.amdhsa_group_segment_fixed_size 0
		.amdhsa_private_segment_fixed_size 0
		.amdhsa_kernarg_size 136
		.amdhsa_user_sgpr_count 6
		.amdhsa_user_sgpr_private_segment_buffer 1
		.amdhsa_user_sgpr_dispatch_ptr 0
		.amdhsa_user_sgpr_queue_ptr 0
		.amdhsa_user_sgpr_kernarg_segment_ptr 1
		.amdhsa_user_sgpr_dispatch_id 0
		.amdhsa_user_sgpr_flat_scratch_init 0
		.amdhsa_user_sgpr_kernarg_preload_length 0
		.amdhsa_user_sgpr_kernarg_preload_offset 0
		.amdhsa_user_sgpr_private_segment_size 0
		.amdhsa_uses_dynamic_stack 0
		.amdhsa_system_sgpr_private_segment_wavefront_offset 0
		.amdhsa_system_sgpr_workgroup_id_x 1
		.amdhsa_system_sgpr_workgroup_id_y 0
		.amdhsa_system_sgpr_workgroup_id_z 0
		.amdhsa_system_sgpr_workgroup_info 0
		.amdhsa_system_vgpr_workitem_id 0
		.amdhsa_next_free_vgpr 1
		.amdhsa_next_free_sgpr 0
		.amdhsa_accum_offset 4
		.amdhsa_reserve_vcc 0
		.amdhsa_reserve_flat_scratch 0
		.amdhsa_float_round_mode_32 0
		.amdhsa_float_round_mode_16_64 0
		.amdhsa_float_denorm_mode_32 3
		.amdhsa_float_denorm_mode_16_64 3
		.amdhsa_dx10_clamp 1
		.amdhsa_ieee_mode 1
		.amdhsa_fp16_overflow 0
		.amdhsa_tg_split 0
		.amdhsa_exception_fp_ieee_invalid_op 0
		.amdhsa_exception_fp_denorm_src 0
		.amdhsa_exception_fp_ieee_div_zero 0
		.amdhsa_exception_fp_ieee_overflow 0
		.amdhsa_exception_fp_ieee_underflow 0
		.amdhsa_exception_fp_ieee_inexact 0
		.amdhsa_exception_int_div_zero 0
	.end_amdhsa_kernel
	.section	.text._ZN7rocprim17ROCPRIM_400000_NS6detail17trampoline_kernelINS0_14default_configENS1_25partition_config_selectorILNS1_17partition_subalgoE5EiNS0_10empty_typeEbEEZZNS1_14partition_implILS5_5ELb0ES3_mPiPS6_N6thrust23THRUST_200600_302600_NS18transform_iteratorIN6dUtils5isOneIiEES9_NSC_11use_defaultESH_EENS0_5tupleIJS9_S6_EEENSJ_IJSA_SA_EEES6_PlJS6_EEE10hipError_tPvRmT3_T4_T5_T6_T7_T9_mT8_P12ihipStream_tbDpT10_ENKUlT_T0_E_clISt17integral_constantIbLb1EES16_EEDaS11_S12_EUlS11_E_NS1_11comp_targetILNS1_3genE8ELNS1_11target_archE1030ELNS1_3gpuE2ELNS1_3repE0EEENS1_30default_config_static_selectorELNS0_4arch9wavefront6targetE1EEEvT1_,"axG",@progbits,_ZN7rocprim17ROCPRIM_400000_NS6detail17trampoline_kernelINS0_14default_configENS1_25partition_config_selectorILNS1_17partition_subalgoE5EiNS0_10empty_typeEbEEZZNS1_14partition_implILS5_5ELb0ES3_mPiPS6_N6thrust23THRUST_200600_302600_NS18transform_iteratorIN6dUtils5isOneIiEES9_NSC_11use_defaultESH_EENS0_5tupleIJS9_S6_EEENSJ_IJSA_SA_EEES6_PlJS6_EEE10hipError_tPvRmT3_T4_T5_T6_T7_T9_mT8_P12ihipStream_tbDpT10_ENKUlT_T0_E_clISt17integral_constantIbLb1EES16_EEDaS11_S12_EUlS11_E_NS1_11comp_targetILNS1_3genE8ELNS1_11target_archE1030ELNS1_3gpuE2ELNS1_3repE0EEENS1_30default_config_static_selectorELNS0_4arch9wavefront6targetE1EEEvT1_,comdat
.Lfunc_end163:
	.size	_ZN7rocprim17ROCPRIM_400000_NS6detail17trampoline_kernelINS0_14default_configENS1_25partition_config_selectorILNS1_17partition_subalgoE5EiNS0_10empty_typeEbEEZZNS1_14partition_implILS5_5ELb0ES3_mPiPS6_N6thrust23THRUST_200600_302600_NS18transform_iteratorIN6dUtils5isOneIiEES9_NSC_11use_defaultESH_EENS0_5tupleIJS9_S6_EEENSJ_IJSA_SA_EEES6_PlJS6_EEE10hipError_tPvRmT3_T4_T5_T6_T7_T9_mT8_P12ihipStream_tbDpT10_ENKUlT_T0_E_clISt17integral_constantIbLb1EES16_EEDaS11_S12_EUlS11_E_NS1_11comp_targetILNS1_3genE8ELNS1_11target_archE1030ELNS1_3gpuE2ELNS1_3repE0EEENS1_30default_config_static_selectorELNS0_4arch9wavefront6targetE1EEEvT1_, .Lfunc_end163-_ZN7rocprim17ROCPRIM_400000_NS6detail17trampoline_kernelINS0_14default_configENS1_25partition_config_selectorILNS1_17partition_subalgoE5EiNS0_10empty_typeEbEEZZNS1_14partition_implILS5_5ELb0ES3_mPiPS6_N6thrust23THRUST_200600_302600_NS18transform_iteratorIN6dUtils5isOneIiEES9_NSC_11use_defaultESH_EENS0_5tupleIJS9_S6_EEENSJ_IJSA_SA_EEES6_PlJS6_EEE10hipError_tPvRmT3_T4_T5_T6_T7_T9_mT8_P12ihipStream_tbDpT10_ENKUlT_T0_E_clISt17integral_constantIbLb1EES16_EEDaS11_S12_EUlS11_E_NS1_11comp_targetILNS1_3genE8ELNS1_11target_archE1030ELNS1_3gpuE2ELNS1_3repE0EEENS1_30default_config_static_selectorELNS0_4arch9wavefront6targetE1EEEvT1_
                                        ; -- End function
	.section	.AMDGPU.csdata,"",@progbits
; Kernel info:
; codeLenInByte = 0
; NumSgprs: 4
; NumVgprs: 0
; NumAgprs: 0
; TotalNumVgprs: 0
; ScratchSize: 0
; MemoryBound: 0
; FloatMode: 240
; IeeeMode: 1
; LDSByteSize: 0 bytes/workgroup (compile time only)
; SGPRBlocks: 0
; VGPRBlocks: 0
; NumSGPRsForWavesPerEU: 4
; NumVGPRsForWavesPerEU: 1
; AccumOffset: 4
; Occupancy: 8
; WaveLimiterHint : 0
; COMPUTE_PGM_RSRC2:SCRATCH_EN: 0
; COMPUTE_PGM_RSRC2:USER_SGPR: 6
; COMPUTE_PGM_RSRC2:TRAP_HANDLER: 0
; COMPUTE_PGM_RSRC2:TGID_X_EN: 1
; COMPUTE_PGM_RSRC2:TGID_Y_EN: 0
; COMPUTE_PGM_RSRC2:TGID_Z_EN: 0
; COMPUTE_PGM_RSRC2:TIDIG_COMP_CNT: 0
; COMPUTE_PGM_RSRC3_GFX90A:ACCUM_OFFSET: 0
; COMPUTE_PGM_RSRC3_GFX90A:TG_SPLIT: 0
	.section	.text._ZN7rocprim17ROCPRIM_400000_NS6detail17trampoline_kernelINS0_14default_configENS1_25partition_config_selectorILNS1_17partition_subalgoE5EiNS0_10empty_typeEbEEZZNS1_14partition_implILS5_5ELb0ES3_mPiPS6_N6thrust23THRUST_200600_302600_NS18transform_iteratorIN6dUtils5isOneIiEES9_NSC_11use_defaultESH_EENS0_5tupleIJS9_S6_EEENSJ_IJSA_SA_EEES6_PlJS6_EEE10hipError_tPvRmT3_T4_T5_T6_T7_T9_mT8_P12ihipStream_tbDpT10_ENKUlT_T0_E_clISt17integral_constantIbLb1EES15_IbLb0EEEEDaS11_S12_EUlS11_E_NS1_11comp_targetILNS1_3genE0ELNS1_11target_archE4294967295ELNS1_3gpuE0ELNS1_3repE0EEENS1_30default_config_static_selectorELNS0_4arch9wavefront6targetE1EEEvT1_,"axG",@progbits,_ZN7rocprim17ROCPRIM_400000_NS6detail17trampoline_kernelINS0_14default_configENS1_25partition_config_selectorILNS1_17partition_subalgoE5EiNS0_10empty_typeEbEEZZNS1_14partition_implILS5_5ELb0ES3_mPiPS6_N6thrust23THRUST_200600_302600_NS18transform_iteratorIN6dUtils5isOneIiEES9_NSC_11use_defaultESH_EENS0_5tupleIJS9_S6_EEENSJ_IJSA_SA_EEES6_PlJS6_EEE10hipError_tPvRmT3_T4_T5_T6_T7_T9_mT8_P12ihipStream_tbDpT10_ENKUlT_T0_E_clISt17integral_constantIbLb1EES15_IbLb0EEEEDaS11_S12_EUlS11_E_NS1_11comp_targetILNS1_3genE0ELNS1_11target_archE4294967295ELNS1_3gpuE0ELNS1_3repE0EEENS1_30default_config_static_selectorELNS0_4arch9wavefront6targetE1EEEvT1_,comdat
	.protected	_ZN7rocprim17ROCPRIM_400000_NS6detail17trampoline_kernelINS0_14default_configENS1_25partition_config_selectorILNS1_17partition_subalgoE5EiNS0_10empty_typeEbEEZZNS1_14partition_implILS5_5ELb0ES3_mPiPS6_N6thrust23THRUST_200600_302600_NS18transform_iteratorIN6dUtils5isOneIiEES9_NSC_11use_defaultESH_EENS0_5tupleIJS9_S6_EEENSJ_IJSA_SA_EEES6_PlJS6_EEE10hipError_tPvRmT3_T4_T5_T6_T7_T9_mT8_P12ihipStream_tbDpT10_ENKUlT_T0_E_clISt17integral_constantIbLb1EES15_IbLb0EEEEDaS11_S12_EUlS11_E_NS1_11comp_targetILNS1_3genE0ELNS1_11target_archE4294967295ELNS1_3gpuE0ELNS1_3repE0EEENS1_30default_config_static_selectorELNS0_4arch9wavefront6targetE1EEEvT1_ ; -- Begin function _ZN7rocprim17ROCPRIM_400000_NS6detail17trampoline_kernelINS0_14default_configENS1_25partition_config_selectorILNS1_17partition_subalgoE5EiNS0_10empty_typeEbEEZZNS1_14partition_implILS5_5ELb0ES3_mPiPS6_N6thrust23THRUST_200600_302600_NS18transform_iteratorIN6dUtils5isOneIiEES9_NSC_11use_defaultESH_EENS0_5tupleIJS9_S6_EEENSJ_IJSA_SA_EEES6_PlJS6_EEE10hipError_tPvRmT3_T4_T5_T6_T7_T9_mT8_P12ihipStream_tbDpT10_ENKUlT_T0_E_clISt17integral_constantIbLb1EES15_IbLb0EEEEDaS11_S12_EUlS11_E_NS1_11comp_targetILNS1_3genE0ELNS1_11target_archE4294967295ELNS1_3gpuE0ELNS1_3repE0EEENS1_30default_config_static_selectorELNS0_4arch9wavefront6targetE1EEEvT1_
	.globl	_ZN7rocprim17ROCPRIM_400000_NS6detail17trampoline_kernelINS0_14default_configENS1_25partition_config_selectorILNS1_17partition_subalgoE5EiNS0_10empty_typeEbEEZZNS1_14partition_implILS5_5ELb0ES3_mPiPS6_N6thrust23THRUST_200600_302600_NS18transform_iteratorIN6dUtils5isOneIiEES9_NSC_11use_defaultESH_EENS0_5tupleIJS9_S6_EEENSJ_IJSA_SA_EEES6_PlJS6_EEE10hipError_tPvRmT3_T4_T5_T6_T7_T9_mT8_P12ihipStream_tbDpT10_ENKUlT_T0_E_clISt17integral_constantIbLb1EES15_IbLb0EEEEDaS11_S12_EUlS11_E_NS1_11comp_targetILNS1_3genE0ELNS1_11target_archE4294967295ELNS1_3gpuE0ELNS1_3repE0EEENS1_30default_config_static_selectorELNS0_4arch9wavefront6targetE1EEEvT1_
	.p2align	8
	.type	_ZN7rocprim17ROCPRIM_400000_NS6detail17trampoline_kernelINS0_14default_configENS1_25partition_config_selectorILNS1_17partition_subalgoE5EiNS0_10empty_typeEbEEZZNS1_14partition_implILS5_5ELb0ES3_mPiPS6_N6thrust23THRUST_200600_302600_NS18transform_iteratorIN6dUtils5isOneIiEES9_NSC_11use_defaultESH_EENS0_5tupleIJS9_S6_EEENSJ_IJSA_SA_EEES6_PlJS6_EEE10hipError_tPvRmT3_T4_T5_T6_T7_T9_mT8_P12ihipStream_tbDpT10_ENKUlT_T0_E_clISt17integral_constantIbLb1EES15_IbLb0EEEEDaS11_S12_EUlS11_E_NS1_11comp_targetILNS1_3genE0ELNS1_11target_archE4294967295ELNS1_3gpuE0ELNS1_3repE0EEENS1_30default_config_static_selectorELNS0_4arch9wavefront6targetE1EEEvT1_,@function
_ZN7rocprim17ROCPRIM_400000_NS6detail17trampoline_kernelINS0_14default_configENS1_25partition_config_selectorILNS1_17partition_subalgoE5EiNS0_10empty_typeEbEEZZNS1_14partition_implILS5_5ELb0ES3_mPiPS6_N6thrust23THRUST_200600_302600_NS18transform_iteratorIN6dUtils5isOneIiEES9_NSC_11use_defaultESH_EENS0_5tupleIJS9_S6_EEENSJ_IJSA_SA_EEES6_PlJS6_EEE10hipError_tPvRmT3_T4_T5_T6_T7_T9_mT8_P12ihipStream_tbDpT10_ENKUlT_T0_E_clISt17integral_constantIbLb1EES15_IbLb0EEEEDaS11_S12_EUlS11_E_NS1_11comp_targetILNS1_3genE0ELNS1_11target_archE4294967295ELNS1_3gpuE0ELNS1_3repE0EEENS1_30default_config_static_selectorELNS0_4arch9wavefront6targetE1EEEvT1_: ; @_ZN7rocprim17ROCPRIM_400000_NS6detail17trampoline_kernelINS0_14default_configENS1_25partition_config_selectorILNS1_17partition_subalgoE5EiNS0_10empty_typeEbEEZZNS1_14partition_implILS5_5ELb0ES3_mPiPS6_N6thrust23THRUST_200600_302600_NS18transform_iteratorIN6dUtils5isOneIiEES9_NSC_11use_defaultESH_EENS0_5tupleIJS9_S6_EEENSJ_IJSA_SA_EEES6_PlJS6_EEE10hipError_tPvRmT3_T4_T5_T6_T7_T9_mT8_P12ihipStream_tbDpT10_ENKUlT_T0_E_clISt17integral_constantIbLb1EES15_IbLb0EEEEDaS11_S12_EUlS11_E_NS1_11comp_targetILNS1_3genE0ELNS1_11target_archE4294967295ELNS1_3gpuE0ELNS1_3repE0EEENS1_30default_config_static_selectorELNS0_4arch9wavefront6targetE1EEEvT1_
; %bb.0:
	.section	.rodata,"a",@progbits
	.p2align	6, 0x0
	.amdhsa_kernel _ZN7rocprim17ROCPRIM_400000_NS6detail17trampoline_kernelINS0_14default_configENS1_25partition_config_selectorILNS1_17partition_subalgoE5EiNS0_10empty_typeEbEEZZNS1_14partition_implILS5_5ELb0ES3_mPiPS6_N6thrust23THRUST_200600_302600_NS18transform_iteratorIN6dUtils5isOneIiEES9_NSC_11use_defaultESH_EENS0_5tupleIJS9_S6_EEENSJ_IJSA_SA_EEES6_PlJS6_EEE10hipError_tPvRmT3_T4_T5_T6_T7_T9_mT8_P12ihipStream_tbDpT10_ENKUlT_T0_E_clISt17integral_constantIbLb1EES15_IbLb0EEEEDaS11_S12_EUlS11_E_NS1_11comp_targetILNS1_3genE0ELNS1_11target_archE4294967295ELNS1_3gpuE0ELNS1_3repE0EEENS1_30default_config_static_selectorELNS0_4arch9wavefront6targetE1EEEvT1_
		.amdhsa_group_segment_fixed_size 0
		.amdhsa_private_segment_fixed_size 0
		.amdhsa_kernarg_size 120
		.amdhsa_user_sgpr_count 6
		.amdhsa_user_sgpr_private_segment_buffer 1
		.amdhsa_user_sgpr_dispatch_ptr 0
		.amdhsa_user_sgpr_queue_ptr 0
		.amdhsa_user_sgpr_kernarg_segment_ptr 1
		.amdhsa_user_sgpr_dispatch_id 0
		.amdhsa_user_sgpr_flat_scratch_init 0
		.amdhsa_user_sgpr_kernarg_preload_length 0
		.amdhsa_user_sgpr_kernarg_preload_offset 0
		.amdhsa_user_sgpr_private_segment_size 0
		.amdhsa_uses_dynamic_stack 0
		.amdhsa_system_sgpr_private_segment_wavefront_offset 0
		.amdhsa_system_sgpr_workgroup_id_x 1
		.amdhsa_system_sgpr_workgroup_id_y 0
		.amdhsa_system_sgpr_workgroup_id_z 0
		.amdhsa_system_sgpr_workgroup_info 0
		.amdhsa_system_vgpr_workitem_id 0
		.amdhsa_next_free_vgpr 1
		.amdhsa_next_free_sgpr 0
		.amdhsa_accum_offset 4
		.amdhsa_reserve_vcc 0
		.amdhsa_reserve_flat_scratch 0
		.amdhsa_float_round_mode_32 0
		.amdhsa_float_round_mode_16_64 0
		.amdhsa_float_denorm_mode_32 3
		.amdhsa_float_denorm_mode_16_64 3
		.amdhsa_dx10_clamp 1
		.amdhsa_ieee_mode 1
		.amdhsa_fp16_overflow 0
		.amdhsa_tg_split 0
		.amdhsa_exception_fp_ieee_invalid_op 0
		.amdhsa_exception_fp_denorm_src 0
		.amdhsa_exception_fp_ieee_div_zero 0
		.amdhsa_exception_fp_ieee_overflow 0
		.amdhsa_exception_fp_ieee_underflow 0
		.amdhsa_exception_fp_ieee_inexact 0
		.amdhsa_exception_int_div_zero 0
	.end_amdhsa_kernel
	.section	.text._ZN7rocprim17ROCPRIM_400000_NS6detail17trampoline_kernelINS0_14default_configENS1_25partition_config_selectorILNS1_17partition_subalgoE5EiNS0_10empty_typeEbEEZZNS1_14partition_implILS5_5ELb0ES3_mPiPS6_N6thrust23THRUST_200600_302600_NS18transform_iteratorIN6dUtils5isOneIiEES9_NSC_11use_defaultESH_EENS0_5tupleIJS9_S6_EEENSJ_IJSA_SA_EEES6_PlJS6_EEE10hipError_tPvRmT3_T4_T5_T6_T7_T9_mT8_P12ihipStream_tbDpT10_ENKUlT_T0_E_clISt17integral_constantIbLb1EES15_IbLb0EEEEDaS11_S12_EUlS11_E_NS1_11comp_targetILNS1_3genE0ELNS1_11target_archE4294967295ELNS1_3gpuE0ELNS1_3repE0EEENS1_30default_config_static_selectorELNS0_4arch9wavefront6targetE1EEEvT1_,"axG",@progbits,_ZN7rocprim17ROCPRIM_400000_NS6detail17trampoline_kernelINS0_14default_configENS1_25partition_config_selectorILNS1_17partition_subalgoE5EiNS0_10empty_typeEbEEZZNS1_14partition_implILS5_5ELb0ES3_mPiPS6_N6thrust23THRUST_200600_302600_NS18transform_iteratorIN6dUtils5isOneIiEES9_NSC_11use_defaultESH_EENS0_5tupleIJS9_S6_EEENSJ_IJSA_SA_EEES6_PlJS6_EEE10hipError_tPvRmT3_T4_T5_T6_T7_T9_mT8_P12ihipStream_tbDpT10_ENKUlT_T0_E_clISt17integral_constantIbLb1EES15_IbLb0EEEEDaS11_S12_EUlS11_E_NS1_11comp_targetILNS1_3genE0ELNS1_11target_archE4294967295ELNS1_3gpuE0ELNS1_3repE0EEENS1_30default_config_static_selectorELNS0_4arch9wavefront6targetE1EEEvT1_,comdat
.Lfunc_end164:
	.size	_ZN7rocprim17ROCPRIM_400000_NS6detail17trampoline_kernelINS0_14default_configENS1_25partition_config_selectorILNS1_17partition_subalgoE5EiNS0_10empty_typeEbEEZZNS1_14partition_implILS5_5ELb0ES3_mPiPS6_N6thrust23THRUST_200600_302600_NS18transform_iteratorIN6dUtils5isOneIiEES9_NSC_11use_defaultESH_EENS0_5tupleIJS9_S6_EEENSJ_IJSA_SA_EEES6_PlJS6_EEE10hipError_tPvRmT3_T4_T5_T6_T7_T9_mT8_P12ihipStream_tbDpT10_ENKUlT_T0_E_clISt17integral_constantIbLb1EES15_IbLb0EEEEDaS11_S12_EUlS11_E_NS1_11comp_targetILNS1_3genE0ELNS1_11target_archE4294967295ELNS1_3gpuE0ELNS1_3repE0EEENS1_30default_config_static_selectorELNS0_4arch9wavefront6targetE1EEEvT1_, .Lfunc_end164-_ZN7rocprim17ROCPRIM_400000_NS6detail17trampoline_kernelINS0_14default_configENS1_25partition_config_selectorILNS1_17partition_subalgoE5EiNS0_10empty_typeEbEEZZNS1_14partition_implILS5_5ELb0ES3_mPiPS6_N6thrust23THRUST_200600_302600_NS18transform_iteratorIN6dUtils5isOneIiEES9_NSC_11use_defaultESH_EENS0_5tupleIJS9_S6_EEENSJ_IJSA_SA_EEES6_PlJS6_EEE10hipError_tPvRmT3_T4_T5_T6_T7_T9_mT8_P12ihipStream_tbDpT10_ENKUlT_T0_E_clISt17integral_constantIbLb1EES15_IbLb0EEEEDaS11_S12_EUlS11_E_NS1_11comp_targetILNS1_3genE0ELNS1_11target_archE4294967295ELNS1_3gpuE0ELNS1_3repE0EEENS1_30default_config_static_selectorELNS0_4arch9wavefront6targetE1EEEvT1_
                                        ; -- End function
	.section	.AMDGPU.csdata,"",@progbits
; Kernel info:
; codeLenInByte = 0
; NumSgprs: 4
; NumVgprs: 0
; NumAgprs: 0
; TotalNumVgprs: 0
; ScratchSize: 0
; MemoryBound: 0
; FloatMode: 240
; IeeeMode: 1
; LDSByteSize: 0 bytes/workgroup (compile time only)
; SGPRBlocks: 0
; VGPRBlocks: 0
; NumSGPRsForWavesPerEU: 4
; NumVGPRsForWavesPerEU: 1
; AccumOffset: 4
; Occupancy: 8
; WaveLimiterHint : 0
; COMPUTE_PGM_RSRC2:SCRATCH_EN: 0
; COMPUTE_PGM_RSRC2:USER_SGPR: 6
; COMPUTE_PGM_RSRC2:TRAP_HANDLER: 0
; COMPUTE_PGM_RSRC2:TGID_X_EN: 1
; COMPUTE_PGM_RSRC2:TGID_Y_EN: 0
; COMPUTE_PGM_RSRC2:TGID_Z_EN: 0
; COMPUTE_PGM_RSRC2:TIDIG_COMP_CNT: 0
; COMPUTE_PGM_RSRC3_GFX90A:ACCUM_OFFSET: 0
; COMPUTE_PGM_RSRC3_GFX90A:TG_SPLIT: 0
	.section	.text._ZN7rocprim17ROCPRIM_400000_NS6detail17trampoline_kernelINS0_14default_configENS1_25partition_config_selectorILNS1_17partition_subalgoE5EiNS0_10empty_typeEbEEZZNS1_14partition_implILS5_5ELb0ES3_mPiPS6_N6thrust23THRUST_200600_302600_NS18transform_iteratorIN6dUtils5isOneIiEES9_NSC_11use_defaultESH_EENS0_5tupleIJS9_S6_EEENSJ_IJSA_SA_EEES6_PlJS6_EEE10hipError_tPvRmT3_T4_T5_T6_T7_T9_mT8_P12ihipStream_tbDpT10_ENKUlT_T0_E_clISt17integral_constantIbLb1EES15_IbLb0EEEEDaS11_S12_EUlS11_E_NS1_11comp_targetILNS1_3genE5ELNS1_11target_archE942ELNS1_3gpuE9ELNS1_3repE0EEENS1_30default_config_static_selectorELNS0_4arch9wavefront6targetE1EEEvT1_,"axG",@progbits,_ZN7rocprim17ROCPRIM_400000_NS6detail17trampoline_kernelINS0_14default_configENS1_25partition_config_selectorILNS1_17partition_subalgoE5EiNS0_10empty_typeEbEEZZNS1_14partition_implILS5_5ELb0ES3_mPiPS6_N6thrust23THRUST_200600_302600_NS18transform_iteratorIN6dUtils5isOneIiEES9_NSC_11use_defaultESH_EENS0_5tupleIJS9_S6_EEENSJ_IJSA_SA_EEES6_PlJS6_EEE10hipError_tPvRmT3_T4_T5_T6_T7_T9_mT8_P12ihipStream_tbDpT10_ENKUlT_T0_E_clISt17integral_constantIbLb1EES15_IbLb0EEEEDaS11_S12_EUlS11_E_NS1_11comp_targetILNS1_3genE5ELNS1_11target_archE942ELNS1_3gpuE9ELNS1_3repE0EEENS1_30default_config_static_selectorELNS0_4arch9wavefront6targetE1EEEvT1_,comdat
	.protected	_ZN7rocprim17ROCPRIM_400000_NS6detail17trampoline_kernelINS0_14default_configENS1_25partition_config_selectorILNS1_17partition_subalgoE5EiNS0_10empty_typeEbEEZZNS1_14partition_implILS5_5ELb0ES3_mPiPS6_N6thrust23THRUST_200600_302600_NS18transform_iteratorIN6dUtils5isOneIiEES9_NSC_11use_defaultESH_EENS0_5tupleIJS9_S6_EEENSJ_IJSA_SA_EEES6_PlJS6_EEE10hipError_tPvRmT3_T4_T5_T6_T7_T9_mT8_P12ihipStream_tbDpT10_ENKUlT_T0_E_clISt17integral_constantIbLb1EES15_IbLb0EEEEDaS11_S12_EUlS11_E_NS1_11comp_targetILNS1_3genE5ELNS1_11target_archE942ELNS1_3gpuE9ELNS1_3repE0EEENS1_30default_config_static_selectorELNS0_4arch9wavefront6targetE1EEEvT1_ ; -- Begin function _ZN7rocprim17ROCPRIM_400000_NS6detail17trampoline_kernelINS0_14default_configENS1_25partition_config_selectorILNS1_17partition_subalgoE5EiNS0_10empty_typeEbEEZZNS1_14partition_implILS5_5ELb0ES3_mPiPS6_N6thrust23THRUST_200600_302600_NS18transform_iteratorIN6dUtils5isOneIiEES9_NSC_11use_defaultESH_EENS0_5tupleIJS9_S6_EEENSJ_IJSA_SA_EEES6_PlJS6_EEE10hipError_tPvRmT3_T4_T5_T6_T7_T9_mT8_P12ihipStream_tbDpT10_ENKUlT_T0_E_clISt17integral_constantIbLb1EES15_IbLb0EEEEDaS11_S12_EUlS11_E_NS1_11comp_targetILNS1_3genE5ELNS1_11target_archE942ELNS1_3gpuE9ELNS1_3repE0EEENS1_30default_config_static_selectorELNS0_4arch9wavefront6targetE1EEEvT1_
	.globl	_ZN7rocprim17ROCPRIM_400000_NS6detail17trampoline_kernelINS0_14default_configENS1_25partition_config_selectorILNS1_17partition_subalgoE5EiNS0_10empty_typeEbEEZZNS1_14partition_implILS5_5ELb0ES3_mPiPS6_N6thrust23THRUST_200600_302600_NS18transform_iteratorIN6dUtils5isOneIiEES9_NSC_11use_defaultESH_EENS0_5tupleIJS9_S6_EEENSJ_IJSA_SA_EEES6_PlJS6_EEE10hipError_tPvRmT3_T4_T5_T6_T7_T9_mT8_P12ihipStream_tbDpT10_ENKUlT_T0_E_clISt17integral_constantIbLb1EES15_IbLb0EEEEDaS11_S12_EUlS11_E_NS1_11comp_targetILNS1_3genE5ELNS1_11target_archE942ELNS1_3gpuE9ELNS1_3repE0EEENS1_30default_config_static_selectorELNS0_4arch9wavefront6targetE1EEEvT1_
	.p2align	8
	.type	_ZN7rocprim17ROCPRIM_400000_NS6detail17trampoline_kernelINS0_14default_configENS1_25partition_config_selectorILNS1_17partition_subalgoE5EiNS0_10empty_typeEbEEZZNS1_14partition_implILS5_5ELb0ES3_mPiPS6_N6thrust23THRUST_200600_302600_NS18transform_iteratorIN6dUtils5isOneIiEES9_NSC_11use_defaultESH_EENS0_5tupleIJS9_S6_EEENSJ_IJSA_SA_EEES6_PlJS6_EEE10hipError_tPvRmT3_T4_T5_T6_T7_T9_mT8_P12ihipStream_tbDpT10_ENKUlT_T0_E_clISt17integral_constantIbLb1EES15_IbLb0EEEEDaS11_S12_EUlS11_E_NS1_11comp_targetILNS1_3genE5ELNS1_11target_archE942ELNS1_3gpuE9ELNS1_3repE0EEENS1_30default_config_static_selectorELNS0_4arch9wavefront6targetE1EEEvT1_,@function
_ZN7rocprim17ROCPRIM_400000_NS6detail17trampoline_kernelINS0_14default_configENS1_25partition_config_selectorILNS1_17partition_subalgoE5EiNS0_10empty_typeEbEEZZNS1_14partition_implILS5_5ELb0ES3_mPiPS6_N6thrust23THRUST_200600_302600_NS18transform_iteratorIN6dUtils5isOneIiEES9_NSC_11use_defaultESH_EENS0_5tupleIJS9_S6_EEENSJ_IJSA_SA_EEES6_PlJS6_EEE10hipError_tPvRmT3_T4_T5_T6_T7_T9_mT8_P12ihipStream_tbDpT10_ENKUlT_T0_E_clISt17integral_constantIbLb1EES15_IbLb0EEEEDaS11_S12_EUlS11_E_NS1_11comp_targetILNS1_3genE5ELNS1_11target_archE942ELNS1_3gpuE9ELNS1_3repE0EEENS1_30default_config_static_selectorELNS0_4arch9wavefront6targetE1EEEvT1_: ; @_ZN7rocprim17ROCPRIM_400000_NS6detail17trampoline_kernelINS0_14default_configENS1_25partition_config_selectorILNS1_17partition_subalgoE5EiNS0_10empty_typeEbEEZZNS1_14partition_implILS5_5ELb0ES3_mPiPS6_N6thrust23THRUST_200600_302600_NS18transform_iteratorIN6dUtils5isOneIiEES9_NSC_11use_defaultESH_EENS0_5tupleIJS9_S6_EEENSJ_IJSA_SA_EEES6_PlJS6_EEE10hipError_tPvRmT3_T4_T5_T6_T7_T9_mT8_P12ihipStream_tbDpT10_ENKUlT_T0_E_clISt17integral_constantIbLb1EES15_IbLb0EEEEDaS11_S12_EUlS11_E_NS1_11comp_targetILNS1_3genE5ELNS1_11target_archE942ELNS1_3gpuE9ELNS1_3repE0EEENS1_30default_config_static_selectorELNS0_4arch9wavefront6targetE1EEEvT1_
; %bb.0:
	.section	.rodata,"a",@progbits
	.p2align	6, 0x0
	.amdhsa_kernel _ZN7rocprim17ROCPRIM_400000_NS6detail17trampoline_kernelINS0_14default_configENS1_25partition_config_selectorILNS1_17partition_subalgoE5EiNS0_10empty_typeEbEEZZNS1_14partition_implILS5_5ELb0ES3_mPiPS6_N6thrust23THRUST_200600_302600_NS18transform_iteratorIN6dUtils5isOneIiEES9_NSC_11use_defaultESH_EENS0_5tupleIJS9_S6_EEENSJ_IJSA_SA_EEES6_PlJS6_EEE10hipError_tPvRmT3_T4_T5_T6_T7_T9_mT8_P12ihipStream_tbDpT10_ENKUlT_T0_E_clISt17integral_constantIbLb1EES15_IbLb0EEEEDaS11_S12_EUlS11_E_NS1_11comp_targetILNS1_3genE5ELNS1_11target_archE942ELNS1_3gpuE9ELNS1_3repE0EEENS1_30default_config_static_selectorELNS0_4arch9wavefront6targetE1EEEvT1_
		.amdhsa_group_segment_fixed_size 0
		.amdhsa_private_segment_fixed_size 0
		.amdhsa_kernarg_size 120
		.amdhsa_user_sgpr_count 6
		.amdhsa_user_sgpr_private_segment_buffer 1
		.amdhsa_user_sgpr_dispatch_ptr 0
		.amdhsa_user_sgpr_queue_ptr 0
		.amdhsa_user_sgpr_kernarg_segment_ptr 1
		.amdhsa_user_sgpr_dispatch_id 0
		.amdhsa_user_sgpr_flat_scratch_init 0
		.amdhsa_user_sgpr_kernarg_preload_length 0
		.amdhsa_user_sgpr_kernarg_preload_offset 0
		.amdhsa_user_sgpr_private_segment_size 0
		.amdhsa_uses_dynamic_stack 0
		.amdhsa_system_sgpr_private_segment_wavefront_offset 0
		.amdhsa_system_sgpr_workgroup_id_x 1
		.amdhsa_system_sgpr_workgroup_id_y 0
		.amdhsa_system_sgpr_workgroup_id_z 0
		.amdhsa_system_sgpr_workgroup_info 0
		.amdhsa_system_vgpr_workitem_id 0
		.amdhsa_next_free_vgpr 1
		.amdhsa_next_free_sgpr 0
		.amdhsa_accum_offset 4
		.amdhsa_reserve_vcc 0
		.amdhsa_reserve_flat_scratch 0
		.amdhsa_float_round_mode_32 0
		.amdhsa_float_round_mode_16_64 0
		.amdhsa_float_denorm_mode_32 3
		.amdhsa_float_denorm_mode_16_64 3
		.amdhsa_dx10_clamp 1
		.amdhsa_ieee_mode 1
		.amdhsa_fp16_overflow 0
		.amdhsa_tg_split 0
		.amdhsa_exception_fp_ieee_invalid_op 0
		.amdhsa_exception_fp_denorm_src 0
		.amdhsa_exception_fp_ieee_div_zero 0
		.amdhsa_exception_fp_ieee_overflow 0
		.amdhsa_exception_fp_ieee_underflow 0
		.amdhsa_exception_fp_ieee_inexact 0
		.amdhsa_exception_int_div_zero 0
	.end_amdhsa_kernel
	.section	.text._ZN7rocprim17ROCPRIM_400000_NS6detail17trampoline_kernelINS0_14default_configENS1_25partition_config_selectorILNS1_17partition_subalgoE5EiNS0_10empty_typeEbEEZZNS1_14partition_implILS5_5ELb0ES3_mPiPS6_N6thrust23THRUST_200600_302600_NS18transform_iteratorIN6dUtils5isOneIiEES9_NSC_11use_defaultESH_EENS0_5tupleIJS9_S6_EEENSJ_IJSA_SA_EEES6_PlJS6_EEE10hipError_tPvRmT3_T4_T5_T6_T7_T9_mT8_P12ihipStream_tbDpT10_ENKUlT_T0_E_clISt17integral_constantIbLb1EES15_IbLb0EEEEDaS11_S12_EUlS11_E_NS1_11comp_targetILNS1_3genE5ELNS1_11target_archE942ELNS1_3gpuE9ELNS1_3repE0EEENS1_30default_config_static_selectorELNS0_4arch9wavefront6targetE1EEEvT1_,"axG",@progbits,_ZN7rocprim17ROCPRIM_400000_NS6detail17trampoline_kernelINS0_14default_configENS1_25partition_config_selectorILNS1_17partition_subalgoE5EiNS0_10empty_typeEbEEZZNS1_14partition_implILS5_5ELb0ES3_mPiPS6_N6thrust23THRUST_200600_302600_NS18transform_iteratorIN6dUtils5isOneIiEES9_NSC_11use_defaultESH_EENS0_5tupleIJS9_S6_EEENSJ_IJSA_SA_EEES6_PlJS6_EEE10hipError_tPvRmT3_T4_T5_T6_T7_T9_mT8_P12ihipStream_tbDpT10_ENKUlT_T0_E_clISt17integral_constantIbLb1EES15_IbLb0EEEEDaS11_S12_EUlS11_E_NS1_11comp_targetILNS1_3genE5ELNS1_11target_archE942ELNS1_3gpuE9ELNS1_3repE0EEENS1_30default_config_static_selectorELNS0_4arch9wavefront6targetE1EEEvT1_,comdat
.Lfunc_end165:
	.size	_ZN7rocprim17ROCPRIM_400000_NS6detail17trampoline_kernelINS0_14default_configENS1_25partition_config_selectorILNS1_17partition_subalgoE5EiNS0_10empty_typeEbEEZZNS1_14partition_implILS5_5ELb0ES3_mPiPS6_N6thrust23THRUST_200600_302600_NS18transform_iteratorIN6dUtils5isOneIiEES9_NSC_11use_defaultESH_EENS0_5tupleIJS9_S6_EEENSJ_IJSA_SA_EEES6_PlJS6_EEE10hipError_tPvRmT3_T4_T5_T6_T7_T9_mT8_P12ihipStream_tbDpT10_ENKUlT_T0_E_clISt17integral_constantIbLb1EES15_IbLb0EEEEDaS11_S12_EUlS11_E_NS1_11comp_targetILNS1_3genE5ELNS1_11target_archE942ELNS1_3gpuE9ELNS1_3repE0EEENS1_30default_config_static_selectorELNS0_4arch9wavefront6targetE1EEEvT1_, .Lfunc_end165-_ZN7rocprim17ROCPRIM_400000_NS6detail17trampoline_kernelINS0_14default_configENS1_25partition_config_selectorILNS1_17partition_subalgoE5EiNS0_10empty_typeEbEEZZNS1_14partition_implILS5_5ELb0ES3_mPiPS6_N6thrust23THRUST_200600_302600_NS18transform_iteratorIN6dUtils5isOneIiEES9_NSC_11use_defaultESH_EENS0_5tupleIJS9_S6_EEENSJ_IJSA_SA_EEES6_PlJS6_EEE10hipError_tPvRmT3_T4_T5_T6_T7_T9_mT8_P12ihipStream_tbDpT10_ENKUlT_T0_E_clISt17integral_constantIbLb1EES15_IbLb0EEEEDaS11_S12_EUlS11_E_NS1_11comp_targetILNS1_3genE5ELNS1_11target_archE942ELNS1_3gpuE9ELNS1_3repE0EEENS1_30default_config_static_selectorELNS0_4arch9wavefront6targetE1EEEvT1_
                                        ; -- End function
	.section	.AMDGPU.csdata,"",@progbits
; Kernel info:
; codeLenInByte = 0
; NumSgprs: 4
; NumVgprs: 0
; NumAgprs: 0
; TotalNumVgprs: 0
; ScratchSize: 0
; MemoryBound: 0
; FloatMode: 240
; IeeeMode: 1
; LDSByteSize: 0 bytes/workgroup (compile time only)
; SGPRBlocks: 0
; VGPRBlocks: 0
; NumSGPRsForWavesPerEU: 4
; NumVGPRsForWavesPerEU: 1
; AccumOffset: 4
; Occupancy: 8
; WaveLimiterHint : 0
; COMPUTE_PGM_RSRC2:SCRATCH_EN: 0
; COMPUTE_PGM_RSRC2:USER_SGPR: 6
; COMPUTE_PGM_RSRC2:TRAP_HANDLER: 0
; COMPUTE_PGM_RSRC2:TGID_X_EN: 1
; COMPUTE_PGM_RSRC2:TGID_Y_EN: 0
; COMPUTE_PGM_RSRC2:TGID_Z_EN: 0
; COMPUTE_PGM_RSRC2:TIDIG_COMP_CNT: 0
; COMPUTE_PGM_RSRC3_GFX90A:ACCUM_OFFSET: 0
; COMPUTE_PGM_RSRC3_GFX90A:TG_SPLIT: 0
	.section	.text._ZN7rocprim17ROCPRIM_400000_NS6detail17trampoline_kernelINS0_14default_configENS1_25partition_config_selectorILNS1_17partition_subalgoE5EiNS0_10empty_typeEbEEZZNS1_14partition_implILS5_5ELb0ES3_mPiPS6_N6thrust23THRUST_200600_302600_NS18transform_iteratorIN6dUtils5isOneIiEES9_NSC_11use_defaultESH_EENS0_5tupleIJS9_S6_EEENSJ_IJSA_SA_EEES6_PlJS6_EEE10hipError_tPvRmT3_T4_T5_T6_T7_T9_mT8_P12ihipStream_tbDpT10_ENKUlT_T0_E_clISt17integral_constantIbLb1EES15_IbLb0EEEEDaS11_S12_EUlS11_E_NS1_11comp_targetILNS1_3genE4ELNS1_11target_archE910ELNS1_3gpuE8ELNS1_3repE0EEENS1_30default_config_static_selectorELNS0_4arch9wavefront6targetE1EEEvT1_,"axG",@progbits,_ZN7rocprim17ROCPRIM_400000_NS6detail17trampoline_kernelINS0_14default_configENS1_25partition_config_selectorILNS1_17partition_subalgoE5EiNS0_10empty_typeEbEEZZNS1_14partition_implILS5_5ELb0ES3_mPiPS6_N6thrust23THRUST_200600_302600_NS18transform_iteratorIN6dUtils5isOneIiEES9_NSC_11use_defaultESH_EENS0_5tupleIJS9_S6_EEENSJ_IJSA_SA_EEES6_PlJS6_EEE10hipError_tPvRmT3_T4_T5_T6_T7_T9_mT8_P12ihipStream_tbDpT10_ENKUlT_T0_E_clISt17integral_constantIbLb1EES15_IbLb0EEEEDaS11_S12_EUlS11_E_NS1_11comp_targetILNS1_3genE4ELNS1_11target_archE910ELNS1_3gpuE8ELNS1_3repE0EEENS1_30default_config_static_selectorELNS0_4arch9wavefront6targetE1EEEvT1_,comdat
	.protected	_ZN7rocprim17ROCPRIM_400000_NS6detail17trampoline_kernelINS0_14default_configENS1_25partition_config_selectorILNS1_17partition_subalgoE5EiNS0_10empty_typeEbEEZZNS1_14partition_implILS5_5ELb0ES3_mPiPS6_N6thrust23THRUST_200600_302600_NS18transform_iteratorIN6dUtils5isOneIiEES9_NSC_11use_defaultESH_EENS0_5tupleIJS9_S6_EEENSJ_IJSA_SA_EEES6_PlJS6_EEE10hipError_tPvRmT3_T4_T5_T6_T7_T9_mT8_P12ihipStream_tbDpT10_ENKUlT_T0_E_clISt17integral_constantIbLb1EES15_IbLb0EEEEDaS11_S12_EUlS11_E_NS1_11comp_targetILNS1_3genE4ELNS1_11target_archE910ELNS1_3gpuE8ELNS1_3repE0EEENS1_30default_config_static_selectorELNS0_4arch9wavefront6targetE1EEEvT1_ ; -- Begin function _ZN7rocprim17ROCPRIM_400000_NS6detail17trampoline_kernelINS0_14default_configENS1_25partition_config_selectorILNS1_17partition_subalgoE5EiNS0_10empty_typeEbEEZZNS1_14partition_implILS5_5ELb0ES3_mPiPS6_N6thrust23THRUST_200600_302600_NS18transform_iteratorIN6dUtils5isOneIiEES9_NSC_11use_defaultESH_EENS0_5tupleIJS9_S6_EEENSJ_IJSA_SA_EEES6_PlJS6_EEE10hipError_tPvRmT3_T4_T5_T6_T7_T9_mT8_P12ihipStream_tbDpT10_ENKUlT_T0_E_clISt17integral_constantIbLb1EES15_IbLb0EEEEDaS11_S12_EUlS11_E_NS1_11comp_targetILNS1_3genE4ELNS1_11target_archE910ELNS1_3gpuE8ELNS1_3repE0EEENS1_30default_config_static_selectorELNS0_4arch9wavefront6targetE1EEEvT1_
	.globl	_ZN7rocprim17ROCPRIM_400000_NS6detail17trampoline_kernelINS0_14default_configENS1_25partition_config_selectorILNS1_17partition_subalgoE5EiNS0_10empty_typeEbEEZZNS1_14partition_implILS5_5ELb0ES3_mPiPS6_N6thrust23THRUST_200600_302600_NS18transform_iteratorIN6dUtils5isOneIiEES9_NSC_11use_defaultESH_EENS0_5tupleIJS9_S6_EEENSJ_IJSA_SA_EEES6_PlJS6_EEE10hipError_tPvRmT3_T4_T5_T6_T7_T9_mT8_P12ihipStream_tbDpT10_ENKUlT_T0_E_clISt17integral_constantIbLb1EES15_IbLb0EEEEDaS11_S12_EUlS11_E_NS1_11comp_targetILNS1_3genE4ELNS1_11target_archE910ELNS1_3gpuE8ELNS1_3repE0EEENS1_30default_config_static_selectorELNS0_4arch9wavefront6targetE1EEEvT1_
	.p2align	8
	.type	_ZN7rocprim17ROCPRIM_400000_NS6detail17trampoline_kernelINS0_14default_configENS1_25partition_config_selectorILNS1_17partition_subalgoE5EiNS0_10empty_typeEbEEZZNS1_14partition_implILS5_5ELb0ES3_mPiPS6_N6thrust23THRUST_200600_302600_NS18transform_iteratorIN6dUtils5isOneIiEES9_NSC_11use_defaultESH_EENS0_5tupleIJS9_S6_EEENSJ_IJSA_SA_EEES6_PlJS6_EEE10hipError_tPvRmT3_T4_T5_T6_T7_T9_mT8_P12ihipStream_tbDpT10_ENKUlT_T0_E_clISt17integral_constantIbLb1EES15_IbLb0EEEEDaS11_S12_EUlS11_E_NS1_11comp_targetILNS1_3genE4ELNS1_11target_archE910ELNS1_3gpuE8ELNS1_3repE0EEENS1_30default_config_static_selectorELNS0_4arch9wavefront6targetE1EEEvT1_,@function
_ZN7rocprim17ROCPRIM_400000_NS6detail17trampoline_kernelINS0_14default_configENS1_25partition_config_selectorILNS1_17partition_subalgoE5EiNS0_10empty_typeEbEEZZNS1_14partition_implILS5_5ELb0ES3_mPiPS6_N6thrust23THRUST_200600_302600_NS18transform_iteratorIN6dUtils5isOneIiEES9_NSC_11use_defaultESH_EENS0_5tupleIJS9_S6_EEENSJ_IJSA_SA_EEES6_PlJS6_EEE10hipError_tPvRmT3_T4_T5_T6_T7_T9_mT8_P12ihipStream_tbDpT10_ENKUlT_T0_E_clISt17integral_constantIbLb1EES15_IbLb0EEEEDaS11_S12_EUlS11_E_NS1_11comp_targetILNS1_3genE4ELNS1_11target_archE910ELNS1_3gpuE8ELNS1_3repE0EEENS1_30default_config_static_selectorELNS0_4arch9wavefront6targetE1EEEvT1_: ; @_ZN7rocprim17ROCPRIM_400000_NS6detail17trampoline_kernelINS0_14default_configENS1_25partition_config_selectorILNS1_17partition_subalgoE5EiNS0_10empty_typeEbEEZZNS1_14partition_implILS5_5ELb0ES3_mPiPS6_N6thrust23THRUST_200600_302600_NS18transform_iteratorIN6dUtils5isOneIiEES9_NSC_11use_defaultESH_EENS0_5tupleIJS9_S6_EEENSJ_IJSA_SA_EEES6_PlJS6_EEE10hipError_tPvRmT3_T4_T5_T6_T7_T9_mT8_P12ihipStream_tbDpT10_ENKUlT_T0_E_clISt17integral_constantIbLb1EES15_IbLb0EEEEDaS11_S12_EUlS11_E_NS1_11comp_targetILNS1_3genE4ELNS1_11target_archE910ELNS1_3gpuE8ELNS1_3repE0EEENS1_30default_config_static_selectorELNS0_4arch9wavefront6targetE1EEEvT1_
; %bb.0:
	s_load_dwordx2 s[0:1], s[4:5], 0x58
	s_load_dwordx4 s[12:15], s[4:5], 0x8
	s_load_dwordx2 s[2:3], s[4:5], 0x20
	s_load_dwordx4 s[16:19], s[4:5], 0x48
	s_mul_i32 s10, s6, 0x700
	s_waitcnt lgkmcnt(0)
	v_mov_b32_e32 v3, s1
	s_load_dword s1, s[4:5], 0x70
	s_lshl_b64 s[8:9], s[14:15], 2
	s_add_u32 s24, s12, s8
	s_addc_u32 s25, s13, s9
	v_mov_b32_e32 v2, s0
	s_waitcnt lgkmcnt(0)
	s_add_i32 s12, s1, -1
	s_mulk_i32 s1, 0x700
	s_add_i32 s7, s1, s14
	s_sub_i32 s7, s0, s7
	s_addk_i32 s7, 0x700
	s_add_u32 s0, s14, s1
	s_addc_u32 s1, s15, 0
	s_cmp_eq_u32 s6, s12
	s_load_dwordx2 s[18:19], s[18:19], 0x0
	v_cmp_ge_u64_e32 vcc, s[0:1], v[2:3]
	s_cselect_b64 s[20:21], -1, 0
	s_mov_b32 s11, 0
	s_and_b64 s[12:13], s[20:21], vcc
	s_xor_b64 s[22:23], s[12:13], -1
	s_lshl_b64 s[10:11], s[10:11], 2
	s_add_u32 s12, s24, s10
	s_mov_b64 s[0:1], -1
	s_addc_u32 s13, s25, s11
	s_and_b64 vcc, exec, s[22:23]
	s_cbranch_vccz .LBB166_2
; %bb.1:
	v_lshlrev_b32_e32 v1, 2, v0
	v_mov_b32_e32 v2, s13
	v_add_co_u32_e32 v3, vcc, s12, v1
	v_addc_co_u32_e32 v4, vcc, 0, v2, vcc
	v_add_co_u32_e32 v2, vcc, 0x1000, v3
	v_addc_co_u32_e32 v3, vcc, 0, v4, vcc
	global_load_dword v4, v1, s[12:13]
	global_load_dword v5, v1, s[12:13] offset:1024
	global_load_dword v6, v1, s[12:13] offset:2048
	;; [unrolled: 1-line block ×3, first 2 shown]
	global_load_dword v8, v[2:3], off
	global_load_dword v9, v[2:3], off offset:1024
	global_load_dword v10, v[2:3], off offset:2048
	s_mov_b64 s[0:1], 0
	s_waitcnt vmcnt(5)
	ds_write2st64_b32 v1, v4, v5 offset1:4
	s_waitcnt vmcnt(3)
	ds_write2st64_b32 v1, v6, v7 offset0:8 offset1:12
	s_waitcnt vmcnt(1)
	ds_write2st64_b32 v1, v8, v9 offset0:16 offset1:20
	s_waitcnt vmcnt(0)
	ds_write_b32 v1, v10 offset:6144
	s_waitcnt lgkmcnt(0)
	s_barrier
.LBB166_2:
	s_andn2_b64 vcc, exec, s[0:1]
	v_cmp_gt_u32_e64 s[0:1], s7, v0
	s_cbranch_vccnz .LBB166_18
; %bb.3:
                                        ; implicit-def: $vgpr2_vgpr3_vgpr4_vgpr5_vgpr6_vgpr7_vgpr8
	s_and_saveexec_b64 s[14:15], s[0:1]
	s_cbranch_execz .LBB166_5
; %bb.4:
	v_lshlrev_b32_e32 v1, 2, v0
	global_load_dword v2, v1, s[12:13]
.LBB166_5:
	s_or_b64 exec, exec, s[14:15]
	v_or_b32_e32 v1, 0x100, v0
	v_cmp_gt_u32_e32 vcc, s7, v1
	s_and_saveexec_b64 s[0:1], vcc
	s_cbranch_execz .LBB166_7
; %bb.6:
	v_lshlrev_b32_e32 v1, 2, v0
	global_load_dword v3, v1, s[12:13] offset:1024
.LBB166_7:
	s_or_b64 exec, exec, s[0:1]
	v_or_b32_e32 v1, 0x200, v0
	v_cmp_gt_u32_e32 vcc, s7, v1
	s_and_saveexec_b64 s[0:1], vcc
	s_cbranch_execz .LBB166_9
; %bb.8:
	v_lshlrev_b32_e32 v1, 2, v0
	global_load_dword v4, v1, s[12:13] offset:2048
.LBB166_9:
	;; [unrolled: 9-line block ×3, first 2 shown]
	s_or_b64 exec, exec, s[0:1]
	v_or_b32_e32 v1, 0x400, v0
	v_cmp_gt_u32_e32 vcc, s7, v1
	s_and_saveexec_b64 s[0:1], vcc
	s_cbranch_execz .LBB166_13
; %bb.12:
	v_lshlrev_b32_e32 v1, 2, v1
	global_load_dword v6, v1, s[12:13]
.LBB166_13:
	s_or_b64 exec, exec, s[0:1]
	v_or_b32_e32 v1, 0x500, v0
	v_cmp_gt_u32_e32 vcc, s7, v1
	s_and_saveexec_b64 s[0:1], vcc
	s_cbranch_execz .LBB166_15
; %bb.14:
	v_lshlrev_b32_e32 v1, 2, v1
	global_load_dword v7, v1, s[12:13]
.LBB166_15:
	;; [unrolled: 9-line block ×3, first 2 shown]
	s_or_b64 exec, exec, s[0:1]
	v_lshlrev_b32_e32 v1, 2, v0
	s_waitcnt vmcnt(0)
	ds_write2st64_b32 v1, v2, v3 offset1:4
	ds_write2st64_b32 v1, v4, v5 offset0:8 offset1:12
	ds_write2st64_b32 v1, v6, v7 offset0:16 offset1:20
	ds_write_b32 v1, v8 offset:6144
	s_waitcnt lgkmcnt(0)
	s_barrier
.LBB166_18:
	v_mul_u32_u24_e32 v1, 7, v0
	v_lshlrev_b32_e32 v1, 2, v1
	s_waitcnt lgkmcnt(0)
	ds_read2_b32 v[14:15], v1 offset1:1
	ds_read2_b32 v[12:13], v1 offset0:2 offset1:3
	ds_read2_b32 v[10:11], v1 offset0:4 offset1:5
	ds_read_b32 v17, v1 offset:24
	s_add_u32 s0, s2, s8
	s_addc_u32 s1, s3, s9
	s_add_u32 s0, s0, s10
	s_addc_u32 s1, s1, s11
	s_mov_b64 s[2:3], -1
	s_and_b64 vcc, exec, s[22:23]
	s_waitcnt lgkmcnt(0)
	s_barrier
	s_cbranch_vccz .LBB166_20
; %bb.19:
	v_lshlrev_b32_e32 v2, 2, v0
	v_mov_b32_e32 v3, s1
	global_load_dword v4, v2, s[0:1]
	global_load_dword v5, v2, s[0:1] offset:1024
	global_load_dword v6, v2, s[0:1] offset:2048
	v_add_co_u32_e32 v7, vcc, s0, v2
	v_addc_co_u32_e32 v3, vcc, 0, v3, vcc
	global_load_dword v8, v2, s[0:1] offset:3072
	s_movk_i32 s2, 0x1000
	v_add_co_u32_e32 v2, vcc, s2, v7
	v_addc_co_u32_e32 v3, vcc, 0, v3, vcc
	global_load_dword v7, v[2:3], off
	global_load_dword v9, v[2:3], off offset:1024
	global_load_dword v16, v[2:3], off offset:2048
	s_mov_b64 s[2:3], 0
	s_waitcnt vmcnt(6)
	v_cmp_eq_u32_e32 vcc, 1, v4
	v_cndmask_b32_e64 v2, 0, 1, vcc
	s_waitcnt vmcnt(5)
	v_cmp_eq_u32_e32 vcc, 1, v5
	v_cndmask_b32_e64 v3, 0, 1, vcc
	;; [unrolled: 3-line block ×4, first 2 shown]
	ds_write_b8 v0, v2
	ds_write_b8 v0, v3 offset:256
	ds_write_b8 v0, v4 offset:512
	;; [unrolled: 1-line block ×3, first 2 shown]
	s_waitcnt vmcnt(2)
	v_cmp_eq_u32_e32 vcc, 1, v7
	v_cndmask_b32_e64 v2, 0, 1, vcc
	s_waitcnt vmcnt(1)
	v_cmp_eq_u32_e32 vcc, 1, v9
	v_cndmask_b32_e64 v3, 0, 1, vcc
	;; [unrolled: 3-line block ×3, first 2 shown]
	ds_write_b8 v0, v2 offset:1024
	ds_write_b8 v0, v3 offset:1280
	;; [unrolled: 1-line block ×3, first 2 shown]
	s_waitcnt lgkmcnt(0)
	s_barrier
.LBB166_20:
	s_load_dwordx2 s[24:25], s[4:5], 0x68
	s_andn2_b64 vcc, exec, s[2:3]
	s_cbranch_vccnz .LBB166_36
; %bb.21:
	v_cmp_gt_u32_e32 vcc, s7, v0
	v_mov_b32_e32 v2, 0
	v_mov_b32_e32 v3, 0
	s_and_saveexec_b64 s[2:3], vcc
	s_cbranch_execz .LBB166_23
; %bb.22:
	v_lshlrev_b32_e32 v3, 2, v0
	global_load_dword v3, v3, s[0:1]
	s_waitcnt vmcnt(0)
	v_cmp_eq_u32_e32 vcc, 1, v3
	v_cndmask_b32_e64 v3, 0, 1, vcc
.LBB166_23:
	s_or_b64 exec, exec, s[2:3]
	v_or_b32_e32 v4, 0x100, v0
	v_cmp_gt_u32_e32 vcc, s7, v4
	s_and_saveexec_b64 s[2:3], vcc
	s_cbranch_execz .LBB166_25
; %bb.24:
	v_lshlrev_b32_e32 v2, 2, v0
	global_load_dword v2, v2, s[0:1] offset:1024
	s_waitcnt vmcnt(0)
	v_cmp_eq_u32_e32 vcc, 1, v2
	v_cndmask_b32_e64 v2, 0, 1, vcc
.LBB166_25:
	s_or_b64 exec, exec, s[2:3]
	v_or_b32_e32 v4, 0x200, v0
	v_cmp_gt_u32_e32 vcc, s7, v4
	v_mov_b32_e32 v4, 0
	v_mov_b32_e32 v5, 0
	s_and_saveexec_b64 s[2:3], vcc
	s_cbranch_execz .LBB166_27
; %bb.26:
	v_lshlrev_b32_e32 v5, 2, v0
	global_load_dword v5, v5, s[0:1] offset:2048
	s_waitcnt vmcnt(0)
	v_cmp_eq_u32_e32 vcc, 1, v5
	v_cndmask_b32_e64 v5, 0, 1, vcc
.LBB166_27:
	s_or_b64 exec, exec, s[2:3]
	v_or_b32_e32 v6, 0x300, v0
	v_cmp_gt_u32_e32 vcc, s7, v6
	s_and_saveexec_b64 s[2:3], vcc
	s_cbranch_execz .LBB166_29
; %bb.28:
	v_lshlrev_b32_e32 v4, 2, v0
	global_load_dword v4, v4, s[0:1] offset:3072
	s_waitcnt vmcnt(0)
	v_cmp_eq_u32_e32 vcc, 1, v4
	v_cndmask_b32_e64 v4, 0, 1, vcc
.LBB166_29:
	s_or_b64 exec, exec, s[2:3]
	v_or_b32_e32 v8, 0x400, v0
	v_cmp_gt_u32_e32 vcc, s7, v8
	v_mov_b32_e32 v6, 0
	v_mov_b32_e32 v7, 0
	s_and_saveexec_b64 s[2:3], vcc
	s_cbranch_execz .LBB166_31
; %bb.30:
	v_lshlrev_b32_e32 v7, 2, v8
	global_load_dword v7, v7, s[0:1]
	s_waitcnt vmcnt(0)
	v_cmp_eq_u32_e32 vcc, 1, v7
	v_cndmask_b32_e64 v7, 0, 1, vcc
.LBB166_31:
	s_or_b64 exec, exec, s[2:3]
	v_or_b32_e32 v8, 0x500, v0
	v_cmp_gt_u32_e32 vcc, s7, v8
	s_and_saveexec_b64 s[2:3], vcc
	s_cbranch_execz .LBB166_33
; %bb.32:
	v_lshlrev_b32_e32 v6, 2, v8
	global_load_dword v6, v6, s[0:1]
	s_waitcnt vmcnt(0)
	v_cmp_eq_u32_e32 vcc, 1, v6
	v_cndmask_b32_e64 v6, 0, 1, vcc
.LBB166_33:
	s_or_b64 exec, exec, s[2:3]
	v_or_b32_e32 v9, 0x600, v0
	v_cmp_gt_u32_e32 vcc, s7, v9
	v_mov_b32_e32 v8, 0
	s_and_saveexec_b64 s[2:3], vcc
	s_cbranch_execz .LBB166_35
; %bb.34:
	v_lshlrev_b32_e32 v8, 2, v9
	global_load_dword v8, v8, s[0:1]
	s_waitcnt vmcnt(0)
	v_cmp_eq_u32_e32 vcc, 1, v8
	v_cndmask_b32_e64 v8, 0, 1, vcc
.LBB166_35:
	s_or_b64 exec, exec, s[2:3]
	ds_write_b8 v0, v3
	ds_write_b8 v0, v2 offset:256
	ds_write_b8 v0, v5 offset:512
	;; [unrolled: 1-line block ×6, first 2 shown]
	s_waitcnt lgkmcnt(0)
	s_barrier
.LBB166_36:
	s_movk_i32 s0, 0xffeb
	v_mad_i32_i24 v23, v0, s0, v1
	s_waitcnt lgkmcnt(0)
	ds_read_u8 v1, v23
	ds_read_u8 v2, v23 offset:1
	ds_read_u8 v3, v23 offset:2
	;; [unrolled: 1-line block ×6, first 2 shown]
	s_waitcnt lgkmcnt(6)
	v_and_b32_e32 v26, 1, v1
	s_waitcnt lgkmcnt(5)
	v_and_b32_e32 v24, 1, v2
	;; [unrolled: 2-line block ×3, first 2 shown]
	v_add_co_u32_e32 v2, vcc, v24, v26
	v_addc_co_u32_e64 v3, s[0:1], 0, 0, vcc
	v_add_co_u32_e32 v2, vcc, v2, v22
	s_waitcnt lgkmcnt(3)
	v_and_b32_e32 v20, 1, v4
	v_addc_co_u32_e32 v3, vcc, 0, v3, vcc
	v_add_co_u32_e32 v2, vcc, v2, v20
	s_waitcnt lgkmcnt(2)
	v_and_b32_e32 v18, 1, v5
	v_addc_co_u32_e32 v3, vcc, 0, v3, vcc
	;; [unrolled: 4-line block ×4, first 2 shown]
	v_add_co_u32_e32 v28, vcc, v2, v19
	v_mbcnt_lo_u32_b32 v2, -1, 0
	v_mbcnt_hi_u32_b32 v21, -1, v2
	v_addc_co_u32_e32 v29, vcc, 0, v3, vcc
	v_and_b32_e32 v27, 15, v21
	s_cmp_lg_u32 s6, 0
	v_mov_b32_e32 v1, 0
	v_cmp_eq_u32_e64 s[2:3], 0, v27
	v_cmp_lt_u32_e64 s[0:1], 1, v27
	v_cmp_lt_u32_e64 s[10:11], 3, v27
	;; [unrolled: 1-line block ×3, first 2 shown]
	v_and_b32_e32 v25, 16, v21
	v_cmp_eq_u32_e64 s[12:13], 0, v21
	v_cmp_ne_u32_e32 vcc, 0, v21
	s_barrier
	s_cbranch_scc0 .LBB166_69
; %bb.37:
	v_mov_b32_dpp v2, v28 row_shr:1 row_mask:0xf bank_mask:0xf
	v_add_co_u32_e64 v2, s[14:15], v28, v2
	v_addc_co_u32_e64 v3, s[14:15], 0, v29, s[14:15]
	v_mov_b32_dpp v1, v1 row_shr:1 row_mask:0xf bank_mask:0xf
	v_add_co_u32_e64 v4, s[14:15], 0, v2
	v_addc_co_u32_e64 v1, s[14:15], v1, v3, s[14:15]
	v_cndmask_b32_e64 v2, v2, v28, s[2:3]
	v_cndmask_b32_e64 v3, v1, 0, s[2:3]
	v_cndmask_b32_e64 v4, v4, v28, s[2:3]
	v_mov_b32_dpp v5, v2 row_shr:2 row_mask:0xf bank_mask:0xf
	v_cndmask_b32_e64 v1, v1, v29, s[2:3]
	v_mov_b32_dpp v6, v3 row_shr:2 row_mask:0xf bank_mask:0xf
	v_add_co_u32_e64 v5, s[14:15], v5, v4
	v_addc_co_u32_e64 v6, s[14:15], v6, v1, s[14:15]
	v_cndmask_b32_e64 v2, v2, v5, s[0:1]
	v_cndmask_b32_e64 v3, v3, v6, s[0:1]
	v_cndmask_b32_e64 v4, v4, v5, s[0:1]
	v_mov_b32_dpp v5, v2 row_shr:4 row_mask:0xf bank_mask:0xf
	v_cndmask_b32_e64 v1, v1, v6, s[0:1]
	;; [unrolled: 8-line block ×3, first 2 shown]
	v_mov_b32_dpp v6, v3 row_shr:8 row_mask:0xf bank_mask:0xf
	v_add_co_u32_e64 v5, s[10:11], v5, v4
	v_addc_co_u32_e64 v6, s[10:11], v6, v1, s[10:11]
	v_cndmask_b32_e64 v2, v2, v5, s[8:9]
	v_cndmask_b32_e64 v3, v3, v6, s[8:9]
	v_cndmask_b32_e64 v4, v4, v5, s[8:9]
	v_mov_b32_dpp v5, v2 row_bcast:15 row_mask:0xf bank_mask:0xf
	v_cndmask_b32_e64 v1, v1, v6, s[8:9]
	v_mov_b32_dpp v6, v3 row_bcast:15 row_mask:0xf bank_mask:0xf
	v_add_co_u32_e64 v5, s[8:9], v5, v4
	v_addc_co_u32_e64 v7, s[8:9], v6, v1, s[8:9]
	v_cmp_eq_u32_e64 s[8:9], 0, v25
	v_cndmask_b32_e64 v3, v7, v3, s[8:9]
	v_cndmask_b32_e64 v2, v5, v2, s[8:9]
	s_nop 0
	v_mov_b32_dpp v8, v3 row_bcast:31 row_mask:0xf bank_mask:0xf
	v_mov_b32_dpp v6, v2 row_bcast:31 row_mask:0xf bank_mask:0xf
	v_pk_mov_b32 v[2:3], v[28:29], v[28:29] op_sel:[0,1]
	s_and_saveexec_b64 s[10:11], vcc
; %bb.38:
	v_cmp_lt_u32_e32 vcc, 31, v21
	v_cndmask_b32_e64 v2, v5, v4, s[8:9]
	v_cndmask_b32_e32 v4, 0, v6, vcc
	v_cndmask_b32_e64 v1, v7, v1, s[8:9]
	v_cndmask_b32_e32 v3, 0, v8, vcc
	v_add_co_u32_e32 v2, vcc, v4, v2
	v_addc_co_u32_e32 v3, vcc, v3, v1, vcc
; %bb.39:
	s_or_b64 exec, exec, s[10:11]
	v_or_b32_e32 v4, 63, v0
	v_lshrrev_b32_e32 v1, 6, v0
	v_cmp_eq_u32_e32 vcc, v4, v0
	s_and_saveexec_b64 s[8:9], vcc
	s_cbranch_execz .LBB166_41
; %bb.40:
	v_lshlrev_b32_e32 v4, 3, v1
	ds_write_b64 v4, v[2:3]
.LBB166_41:
	s_or_b64 exec, exec, s[8:9]
	v_cmp_gt_u32_e32 vcc, 4, v0
	s_waitcnt lgkmcnt(0)
	s_barrier
	s_and_saveexec_b64 s[10:11], vcc
	s_cbranch_execz .LBB166_43
; %bb.42:
	v_lshlrev_b32_e32 v6, 3, v0
	ds_read_b64 v[4:5], v6
	v_and_b32_e32 v7, 3, v21
	v_cmp_ne_u32_e64 s[8:9], 1, v7
	s_waitcnt lgkmcnt(0)
	v_mov_b32_dpp v8, v4 row_shr:1 row_mask:0xf bank_mask:0xf
	v_add_co_u32_e32 v8, vcc, v4, v8
	v_addc_co_u32_e32 v30, vcc, 0, v5, vcc
	v_mov_b32_dpp v9, v5 row_shr:1 row_mask:0xf bank_mask:0xf
	v_add_co_u32_e32 v31, vcc, 0, v8
	v_addc_co_u32_e32 v9, vcc, v9, v30, vcc
	v_cmp_eq_u32_e32 vcc, 0, v7
	v_cndmask_b32_e32 v8, v8, v4, vcc
	v_cndmask_b32_e32 v30, v9, v5, vcc
	s_nop 0
	v_mov_b32_dpp v8, v8 row_shr:2 row_mask:0xf bank_mask:0xf
	v_mov_b32_dpp v30, v30 row_shr:2 row_mask:0xf bank_mask:0xf
	v_cndmask_b32_e64 v7, 0, v8, s[8:9]
	v_cndmask_b32_e64 v8, 0, v30, s[8:9]
	v_add_co_u32_e64 v7, s[8:9], v7, v31
	v_addc_co_u32_e64 v8, s[8:9], v8, v9, s[8:9]
	v_cndmask_b32_e32 v5, v8, v5, vcc
	v_cndmask_b32_e32 v4, v7, v4, vcc
	ds_write_b64 v6, v[4:5]
.LBB166_43:
	s_or_b64 exec, exec, s[10:11]
	v_cmp_gt_u32_e32 vcc, 64, v0
	v_cmp_lt_u32_e64 s[8:9], 63, v0
	s_waitcnt lgkmcnt(0)
	s_barrier
	s_waitcnt lgkmcnt(0)
                                        ; implicit-def: $vgpr30_vgpr31
	s_and_saveexec_b64 s[10:11], s[8:9]
	s_cbranch_execz .LBB166_45
; %bb.44:
	v_lshl_add_u32 v1, v1, 3, -8
	ds_read_b64 v[30:31], v1
	s_waitcnt lgkmcnt(0)
	v_add_co_u32_e64 v2, s[8:9], v30, v2
	v_addc_co_u32_e64 v3, s[8:9], v31, v3, s[8:9]
.LBB166_45:
	s_or_b64 exec, exec, s[10:11]
	v_add_u32_e32 v1, -1, v21
	v_and_b32_e32 v4, 64, v21
	v_cmp_lt_i32_e64 s[8:9], v1, v4
	v_cndmask_b32_e64 v1, v1, v21, s[8:9]
	v_lshlrev_b32_e32 v4, 2, v1
	ds_bpermute_b32 v1, v4, v2
	ds_bpermute_b32 v38, v4, v3
	s_and_saveexec_b64 s[14:15], vcc
	s_cbranch_execz .LBB166_68
; %bb.46:
	v_mov_b32_e32 v5, 0
	ds_read_b64 v[2:3], v5 offset:24
	s_and_saveexec_b64 s[8:9], s[12:13]
	s_cbranch_execz .LBB166_48
; %bb.47:
	s_add_i32 s10, s6, 64
	s_mov_b32 s11, 0
	s_lshl_b64 s[10:11], s[10:11], 4
	s_add_u32 s10, s24, s10
	s_addc_u32 s11, s25, s11
	v_mov_b32_e32 v4, 1
	v_pk_mov_b32 v[6:7], s[10:11], s[10:11] op_sel:[0,1]
	s_waitcnt lgkmcnt(0)
	;;#ASMSTART
	global_store_dwordx4 v[6:7], v[2:5] off	
s_waitcnt vmcnt(0)
	;;#ASMEND
.LBB166_48:
	s_or_b64 exec, exec, s[8:9]
	v_xad_u32 v32, v21, -1, s6
	v_add_u32_e32 v4, 64, v32
	v_lshlrev_b64 v[6:7], 4, v[4:5]
	v_mov_b32_e32 v4, s25
	v_add_co_u32_e32 v34, vcc, s24, v6
	v_addc_co_u32_e32 v35, vcc, v4, v7, vcc
	;;#ASMSTART
	global_load_dwordx4 v[6:9], v[34:35] off glc	
s_waitcnt vmcnt(0)
	;;#ASMEND
	v_and_b32_e32 v4, 0xff, v7
	v_and_b32_e32 v9, 0xff00, v7
	v_or3_b32 v4, 0, v4, v9
	v_or3_b32 v6, v6, 0, 0
	v_and_b32_e32 v9, 0xff000000, v7
	v_and_b32_e32 v7, 0xff0000, v7
	v_or3_b32 v7, v4, v7, v9
	v_or3_b32 v6, v6, 0, 0
	v_cmp_eq_u16_sdwa s[10:11], v8, v5 src0_sel:BYTE_0 src1_sel:DWORD
	s_and_saveexec_b64 s[8:9], s[10:11]
	s_cbranch_execz .LBB166_54
; %bb.49:
	s_mov_b32 s7, 1
	s_mov_b64 s[10:11], 0
	v_mov_b32_e32 v4, 0
.LBB166_50:                             ; =>This Loop Header: Depth=1
                                        ;     Child Loop BB166_51 Depth 2
	s_max_u32 s26, s7, 1
.LBB166_51:                             ;   Parent Loop BB166_50 Depth=1
                                        ; =>  This Inner Loop Header: Depth=2
	s_add_i32 s26, s26, -1
	s_cmp_eq_u32 s26, 0
	s_sleep 1
	s_cbranch_scc0 .LBB166_51
; %bb.52:                               ;   in Loop: Header=BB166_50 Depth=1
	s_cmp_lt_u32 s7, 32
	s_cselect_b64 s[26:27], -1, 0
	s_cmp_lg_u64 s[26:27], 0
	s_addc_u32 s7, s7, 0
	;;#ASMSTART
	global_load_dwordx4 v[6:9], v[34:35] off glc	
s_waitcnt vmcnt(0)
	;;#ASMEND
	v_cmp_ne_u16_sdwa s[26:27], v8, v4 src0_sel:BYTE_0 src1_sel:DWORD
	s_or_b64 s[10:11], s[26:27], s[10:11]
	s_andn2_b64 exec, exec, s[10:11]
	s_cbranch_execnz .LBB166_50
; %bb.53:
	s_or_b64 exec, exec, s[10:11]
.LBB166_54:
	s_or_b64 exec, exec, s[8:9]
	v_and_b32_e32 v40, 63, v21
	v_mov_b32_e32 v39, 2
	v_cmp_ne_u32_e32 vcc, 63, v40
	v_cmp_eq_u16_sdwa s[8:9], v8, v39 src0_sel:BYTE_0 src1_sel:DWORD
	v_lshlrev_b64 v[34:35], v21, -1
	v_addc_co_u32_e32 v9, vcc, 0, v21, vcc
	v_and_b32_e32 v4, s9, v35
	v_lshlrev_b32_e32 v41, 2, v9
	v_or_b32_e32 v4, 0x80000000, v4
	ds_bpermute_b32 v9, v41, v6
	v_and_b32_e32 v5, s8, v34
	v_ffbl_b32_e32 v4, v4
	v_add_u32_e32 v4, 32, v4
	v_ffbl_b32_e32 v5, v5
	v_min_u32_e32 v4, v5, v4
	ds_bpermute_b32 v5, v41, v7
	s_waitcnt lgkmcnt(1)
	v_add_co_u32_e32 v9, vcc, v6, v9
	v_addc_co_u32_e32 v36, vcc, 0, v7, vcc
	v_add_co_u32_e32 v37, vcc, 0, v9
	v_cmp_gt_u32_e64 s[8:9], 62, v40
	s_waitcnt lgkmcnt(0)
	v_addc_co_u32_e32 v5, vcc, v5, v36, vcc
	v_cndmask_b32_e64 v36, 0, 1, s[8:9]
	v_cmp_lt_u32_e32 vcc, v40, v4
	v_lshlrev_b32_e32 v36, 1, v36
	v_cndmask_b32_e32 v9, v6, v9, vcc
	v_add_lshl_u32 v42, v36, v21, 2
	v_cndmask_b32_e32 v5, v7, v5, vcc
	ds_bpermute_b32 v36, v42, v9
	ds_bpermute_b32 v44, v42, v5
	v_cndmask_b32_e32 v37, v6, v37, vcc
	v_add_u32_e32 v43, 2, v40
	v_cmp_gt_u32_e64 s[10:11], 60, v40
	s_waitcnt lgkmcnt(1)
	v_add_co_u32_e64 v36, s[8:9], v36, v37
	s_waitcnt lgkmcnt(0)
	v_addc_co_u32_e64 v44, s[8:9], v44, v5, s[8:9]
	v_cmp_gt_u32_e64 s[8:9], v43, v4
	v_cndmask_b32_e64 v5, v44, v5, s[8:9]
	v_cndmask_b32_e64 v44, 0, 1, s[10:11]
	v_lshlrev_b32_e32 v44, 2, v44
	v_cndmask_b32_e64 v9, v36, v9, s[8:9]
	v_add_lshl_u32 v44, v44, v21, 2
	ds_bpermute_b32 v46, v44, v9
	v_cndmask_b32_e64 v36, v36, v37, s[8:9]
	ds_bpermute_b32 v37, v44, v5
	v_add_u32_e32 v45, 4, v40
	v_cmp_gt_u32_e64 s[10:11], 56, v40
	s_waitcnt lgkmcnt(1)
	v_add_co_u32_e64 v47, s[8:9], v46, v36
	s_waitcnt lgkmcnt(0)
	v_addc_co_u32_e64 v37, s[8:9], v37, v5, s[8:9]
	v_cmp_gt_u32_e64 s[8:9], v45, v4
	v_cndmask_b32_e64 v5, v37, v5, s[8:9]
	v_cndmask_b32_e64 v37, 0, 1, s[10:11]
	v_lshlrev_b32_e32 v37, 3, v37
	v_cndmask_b32_e64 v9, v47, v9, s[8:9]
	v_add_lshl_u32 v46, v37, v21, 2
	ds_bpermute_b32 v37, v46, v9
	ds_bpermute_b32 v48, v46, v5
	v_cndmask_b32_e64 v36, v47, v36, s[8:9]
	v_add_u32_e32 v47, 8, v40
	v_cmp_gt_u32_e64 s[10:11], 48, v40
	s_waitcnt lgkmcnt(1)
	v_add_co_u32_e64 v37, s[8:9], v37, v36
	s_waitcnt lgkmcnt(0)
	v_addc_co_u32_e64 v48, s[8:9], v48, v5, s[8:9]
	v_cmp_gt_u32_e64 s[8:9], v47, v4
	v_cndmask_b32_e64 v5, v48, v5, s[8:9]
	v_cndmask_b32_e64 v48, 0, 1, s[10:11]
	v_lshlrev_b32_e32 v48, 4, v48
	v_cndmask_b32_e64 v9, v37, v9, s[8:9]
	v_add_lshl_u32 v48, v48, v21, 2
	ds_bpermute_b32 v50, v48, v9
	v_cndmask_b32_e64 v36, v37, v36, s[8:9]
	ds_bpermute_b32 v37, v48, v5
	v_cmp_gt_u32_e64 s[10:11], 32, v40
	v_add_u32_e32 v49, 16, v40
	s_waitcnt lgkmcnt(1)
	v_add_co_u32_e64 v52, s[8:9], v50, v36
	s_waitcnt lgkmcnt(0)
	v_addc_co_u32_e64 v37, s[8:9], v37, v5, s[8:9]
	v_cndmask_b32_e64 v50, 0, 1, s[10:11]
	v_cmp_gt_u32_e64 s[8:9], v49, v4
	v_lshlrev_b32_e32 v50, 5, v50
	v_cndmask_b32_e64 v9, v52, v9, s[8:9]
	v_add_lshl_u32 v50, v50, v21, 2
	v_cndmask_b32_e64 v5, v37, v5, s[8:9]
	ds_bpermute_b32 v9, v50, v9
	ds_bpermute_b32 v37, v50, v5
	v_add_u32_e32 v51, 32, v40
	v_cndmask_b32_e64 v36, v52, v36, s[8:9]
	v_cmp_le_u32_e64 s[8:9], v51, v4
	s_waitcnt lgkmcnt(1)
	v_cndmask_b32_e64 v9, 0, v9, s[8:9]
	s_waitcnt lgkmcnt(0)
	v_cndmask_b32_e64 v4, 0, v37, s[8:9]
	v_add_co_u32_e64 v9, s[8:9], v9, v36
	v_addc_co_u32_e64 v4, s[8:9], v4, v5, s[8:9]
	v_mov_b32_e32 v33, 0
	v_cndmask_b32_e32 v7, v7, v4, vcc
	v_cndmask_b32_e32 v6, v6, v9, vcc
	s_branch .LBB166_56
.LBB166_55:                             ;   in Loop: Header=BB166_56 Depth=1
	s_or_b64 exec, exec, s[8:9]
	v_cmp_eq_u16_sdwa s[8:9], v8, v39 src0_sel:BYTE_0 src1_sel:DWORD
	v_and_b32_e32 v9, s9, v35
	v_or_b32_e32 v9, 0x80000000, v9
	ds_bpermute_b32 v37, v41, v6
	v_and_b32_e32 v36, s8, v34
	v_ffbl_b32_e32 v9, v9
	v_add_u32_e32 v9, 32, v9
	v_ffbl_b32_e32 v36, v36
	v_min_u32_e32 v9, v36, v9
	ds_bpermute_b32 v36, v41, v7
	s_waitcnt lgkmcnt(1)
	v_add_co_u32_e32 v37, vcc, v6, v37
	v_addc_co_u32_e32 v52, vcc, 0, v7, vcc
	v_add_co_u32_e32 v53, vcc, 0, v37
	s_waitcnt lgkmcnt(0)
	v_addc_co_u32_e32 v36, vcc, v36, v52, vcc
	v_cmp_lt_u32_e32 vcc, v40, v9
	v_cndmask_b32_e32 v37, v6, v37, vcc
	ds_bpermute_b32 v52, v42, v37
	v_cndmask_b32_e32 v36, v7, v36, vcc
	ds_bpermute_b32 v54, v42, v36
	v_cndmask_b32_e32 v53, v6, v53, vcc
	v_subrev_u32_e32 v32, 64, v32
	s_waitcnt lgkmcnt(1)
	v_add_co_u32_e64 v52, s[8:9], v52, v53
	s_waitcnt lgkmcnt(0)
	v_addc_co_u32_e64 v54, s[8:9], v54, v36, s[8:9]
	v_cmp_gt_u32_e64 s[8:9], v43, v9
	v_cndmask_b32_e64 v37, v52, v37, s[8:9]
	ds_bpermute_b32 v55, v44, v37
	v_cndmask_b32_e64 v36, v54, v36, s[8:9]
	ds_bpermute_b32 v54, v44, v36
	v_cndmask_b32_e64 v52, v52, v53, s[8:9]
	s_waitcnt lgkmcnt(1)
	v_add_co_u32_e64 v53, s[8:9], v55, v52
	s_waitcnt lgkmcnt(0)
	v_addc_co_u32_e64 v54, s[8:9], v54, v36, s[8:9]
	v_cmp_gt_u32_e64 s[8:9], v45, v9
	v_cndmask_b32_e64 v37, v53, v37, s[8:9]
	ds_bpermute_b32 v55, v46, v37
	v_cndmask_b32_e64 v36, v54, v36, s[8:9]
	ds_bpermute_b32 v54, v46, v36
	v_cndmask_b32_e64 v52, v53, v52, s[8:9]
	s_waitcnt lgkmcnt(1)
	v_add_co_u32_e64 v53, s[8:9], v55, v52
	s_waitcnt lgkmcnt(0)
	v_addc_co_u32_e64 v54, s[8:9], v54, v36, s[8:9]
	v_cmp_gt_u32_e64 s[8:9], v47, v9
	v_cndmask_b32_e64 v37, v53, v37, s[8:9]
	ds_bpermute_b32 v55, v48, v37
	v_cndmask_b32_e64 v36, v54, v36, s[8:9]
	ds_bpermute_b32 v54, v48, v36
	v_cndmask_b32_e64 v52, v53, v52, s[8:9]
	s_waitcnt lgkmcnt(1)
	v_add_co_u32_e64 v53, s[8:9], v55, v52
	s_waitcnt lgkmcnt(0)
	v_addc_co_u32_e64 v54, s[8:9], v54, v36, s[8:9]
	v_cmp_gt_u32_e64 s[8:9], v49, v9
	v_cndmask_b32_e64 v37, v53, v37, s[8:9]
	v_cndmask_b32_e64 v36, v54, v36, s[8:9]
	ds_bpermute_b32 v37, v50, v37
	ds_bpermute_b32 v54, v50, v36
	v_cndmask_b32_e64 v52, v53, v52, s[8:9]
	v_cmp_le_u32_e64 s[8:9], v51, v9
	s_waitcnt lgkmcnt(1)
	v_cndmask_b32_e64 v37, 0, v37, s[8:9]
	s_waitcnt lgkmcnt(0)
	v_cndmask_b32_e64 v9, 0, v54, s[8:9]
	v_add_co_u32_e64 v37, s[8:9], v37, v52
	v_addc_co_u32_e64 v9, s[8:9], v9, v36, s[8:9]
	v_cndmask_b32_e32 v6, v6, v37, vcc
	v_cndmask_b32_e32 v7, v7, v9, vcc
	v_add_co_u32_e32 v6, vcc, v6, v4
	v_addc_co_u32_e32 v7, vcc, v7, v5, vcc
.LBB166_56:                             ; =>This Loop Header: Depth=1
                                        ;     Child Loop BB166_59 Depth 2
                                        ;       Child Loop BB166_60 Depth 3
	v_cmp_ne_u16_sdwa s[8:9], v8, v39 src0_sel:BYTE_0 src1_sel:DWORD
	v_cndmask_b32_e64 v4, 0, 1, s[8:9]
	;;#ASMSTART
	;;#ASMEND
	v_cmp_ne_u32_e32 vcc, 0, v4
	s_cmp_lg_u64 vcc, exec
	v_pk_mov_b32 v[4:5], v[6:7], v[6:7] op_sel:[0,1]
	s_cbranch_scc1 .LBB166_63
; %bb.57:                               ;   in Loop: Header=BB166_56 Depth=1
	v_lshlrev_b64 v[6:7], 4, v[32:33]
	v_mov_b32_e32 v8, s25
	v_add_co_u32_e32 v36, vcc, s24, v6
	v_addc_co_u32_e32 v37, vcc, v8, v7, vcc
	;;#ASMSTART
	global_load_dwordx4 v[6:9], v[36:37] off glc	
s_waitcnt vmcnt(0)
	;;#ASMEND
	v_and_b32_e32 v9, 0xff, v7
	v_and_b32_e32 v52, 0xff00, v7
	v_or3_b32 v9, 0, v9, v52
	v_or3_b32 v6, v6, 0, 0
	v_and_b32_e32 v52, 0xff000000, v7
	v_and_b32_e32 v7, 0xff0000, v7
	v_or3_b32 v7, v9, v7, v52
	v_or3_b32 v6, v6, 0, 0
	v_cmp_eq_u16_sdwa s[10:11], v8, v33 src0_sel:BYTE_0 src1_sel:DWORD
	s_and_saveexec_b64 s[8:9], s[10:11]
	s_cbranch_execz .LBB166_55
; %bb.58:                               ;   in Loop: Header=BB166_56 Depth=1
	s_mov_b32 s7, 1
	s_mov_b64 s[10:11], 0
.LBB166_59:                             ;   Parent Loop BB166_56 Depth=1
                                        ; =>  This Loop Header: Depth=2
                                        ;       Child Loop BB166_60 Depth 3
	s_max_u32 s26, s7, 1
.LBB166_60:                             ;   Parent Loop BB166_56 Depth=1
                                        ;     Parent Loop BB166_59 Depth=2
                                        ; =>    This Inner Loop Header: Depth=3
	s_add_i32 s26, s26, -1
	s_cmp_eq_u32 s26, 0
	s_sleep 1
	s_cbranch_scc0 .LBB166_60
; %bb.61:                               ;   in Loop: Header=BB166_59 Depth=2
	s_cmp_lt_u32 s7, 32
	s_cselect_b64 s[26:27], -1, 0
	s_cmp_lg_u64 s[26:27], 0
	s_addc_u32 s7, s7, 0
	;;#ASMSTART
	global_load_dwordx4 v[6:9], v[36:37] off glc	
s_waitcnt vmcnt(0)
	;;#ASMEND
	v_cmp_ne_u16_sdwa s[26:27], v8, v33 src0_sel:BYTE_0 src1_sel:DWORD
	s_or_b64 s[10:11], s[26:27], s[10:11]
	s_andn2_b64 exec, exec, s[10:11]
	s_cbranch_execnz .LBB166_59
; %bb.62:                               ;   in Loop: Header=BB166_56 Depth=1
	s_or_b64 exec, exec, s[10:11]
	s_branch .LBB166_55
.LBB166_63:                             ;   in Loop: Header=BB166_56 Depth=1
                                        ; implicit-def: $vgpr6_vgpr7
                                        ; implicit-def: $vgpr8
	s_cbranch_execz .LBB166_56
; %bb.64:
	s_and_saveexec_b64 s[8:9], s[12:13]
	s_cbranch_execz .LBB166_66
; %bb.65:
	s_add_i32 s6, s6, 64
	s_mov_b32 s7, 0
	s_lshl_b64 s[6:7], s[6:7], 4
	s_add_u32 s6, s24, s6
	v_add_co_u32_e32 v6, vcc, v4, v2
	s_addc_u32 s7, s25, s7
	v_addc_co_u32_e32 v7, vcc, v5, v3, vcc
	v_mov_b32_e32 v8, 2
	v_mov_b32_e32 v9, 0
	v_pk_mov_b32 v[32:33], s[6:7], s[6:7] op_sel:[0,1]
	;;#ASMSTART
	global_store_dwordx4 v[32:33], v[6:9] off	
s_waitcnt vmcnt(0)
	;;#ASMEND
	ds_write_b128 v9, v[2:5] offset:7168
.LBB166_66:
	s_or_b64 exec, exec, s[8:9]
	v_cmp_eq_u32_e32 vcc, 0, v0
	s_and_b64 exec, exec, vcc
	s_cbranch_execz .LBB166_68
; %bb.67:
	v_mov_b32_e32 v2, 0
	ds_write_b64 v2, v[4:5] offset:24
.LBB166_68:
	s_or_b64 exec, exec, s[14:15]
	v_mov_b32_e32 v5, 0
	s_waitcnt lgkmcnt(0)
	s_barrier
	ds_read_b64 v[2:3], v5 offset:24
	v_cndmask_b32_e64 v1, v1, v30, s[12:13]
	v_cmp_ne_u32_e32 vcc, 0, v0
	v_cndmask_b32_e64 v4, v38, v31, s[12:13]
	v_cndmask_b32_e32 v1, 0, v1, vcc
	v_cndmask_b32_e32 v4, 0, v4, vcc
	s_waitcnt lgkmcnt(0)
	v_add_co_u32_e32 v38, vcc, v2, v1
	v_addc_co_u32_e32 v39, vcc, v3, v4, vcc
	v_add_co_u32_e32 v36, vcc, v38, v26
	v_addc_co_u32_e32 v37, vcc, 0, v39, vcc
	;; [unrolled: 2-line block ×4, first 2 shown]
	v_add_co_u32_e32 v30, vcc, v32, v20
	s_barrier
	ds_read_b128 v[4:7], v5 offset:7168
	v_addc_co_u32_e32 v31, vcc, 0, v33, vcc
	v_add_co_u32_e32 v2, vcc, v30, v18
	v_addc_co_u32_e32 v3, vcc, 0, v31, vcc
	v_add_co_u32_e32 v8, vcc, v2, v16
	v_addc_co_u32_e32 v9, vcc, 0, v3, vcc
	s_waitcnt lgkmcnt(0)
	v_readfirstlane_b32 s9, v7
	v_readfirstlane_b32 s8, v6
	s_load_dwordx2 s[6:7], s[4:5], 0x30
	s_branch .LBB166_81
.LBB166_69:
                                        ; implicit-def: $sgpr8_sgpr9
                                        ; implicit-def: $vgpr4_vgpr5
                                        ; implicit-def: $vgpr8_vgpr9
                                        ; implicit-def: $vgpr2_vgpr3
                                        ; implicit-def: $vgpr30_vgpr31
                                        ; implicit-def: $vgpr32_vgpr33
                                        ; implicit-def: $vgpr34_vgpr35
                                        ; implicit-def: $vgpr36_vgpr37
                                        ; implicit-def: $vgpr38_vgpr39
	s_load_dwordx2 s[6:7], s[4:5], 0x30
	s_cbranch_execz .LBB166_81
; %bb.70:
	v_mov_b32_dpp v1, v28 row_shr:1 row_mask:0xf bank_mask:0xf
	v_add_co_u32_e32 v1, vcc, v28, v1
	v_mov_b32_e32 v2, 0
	v_addc_co_u32_e32 v3, vcc, 0, v29, vcc
	s_nop 0
	v_mov_b32_dpp v2, v2 row_shr:1 row_mask:0xf bank_mask:0xf
	v_add_co_u32_e32 v4, vcc, 0, v1
	v_addc_co_u32_e32 v2, vcc, v2, v3, vcc
	v_cndmask_b32_e64 v1, v1, v28, s[2:3]
	v_cndmask_b32_e64 v3, v2, 0, s[2:3]
	;; [unrolled: 1-line block ×3, first 2 shown]
	v_mov_b32_dpp v5, v1 row_shr:2 row_mask:0xf bank_mask:0xf
	v_cndmask_b32_e64 v2, v2, v29, s[2:3]
	v_mov_b32_dpp v6, v3 row_shr:2 row_mask:0xf bank_mask:0xf
	v_add_co_u32_e32 v5, vcc, v5, v4
	v_addc_co_u32_e32 v6, vcc, v6, v2, vcc
	v_cndmask_b32_e64 v1, v1, v5, s[0:1]
	v_cndmask_b32_e64 v3, v3, v6, s[0:1]
	;; [unrolled: 1-line block ×3, first 2 shown]
	v_mov_b32_dpp v5, v1 row_shr:4 row_mask:0xf bank_mask:0xf
	v_cndmask_b32_e64 v2, v2, v6, s[0:1]
	v_mov_b32_dpp v6, v3 row_shr:4 row_mask:0xf bank_mask:0xf
	v_add_co_u32_e32 v5, vcc, v5, v4
	v_addc_co_u32_e32 v6, vcc, v6, v2, vcc
	v_cmp_lt_u32_e32 vcc, 3, v27
	v_cndmask_b32_e32 v1, v1, v5, vcc
	v_cndmask_b32_e32 v3, v3, v6, vcc
	;; [unrolled: 1-line block ×3, first 2 shown]
	v_mov_b32_dpp v5, v1 row_shr:8 row_mask:0xf bank_mask:0xf
	v_cndmask_b32_e32 v2, v2, v6, vcc
	v_mov_b32_dpp v6, v3 row_shr:8 row_mask:0xf bank_mask:0xf
	v_add_co_u32_e32 v5, vcc, v5, v4
	v_addc_co_u32_e32 v6, vcc, v6, v2, vcc
	v_cmp_lt_u32_e32 vcc, 7, v27
	v_cndmask_b32_e32 v8, v1, v5, vcc
	v_cndmask_b32_e32 v7, v3, v6, vcc
	;; [unrolled: 1-line block ×4, first 2 shown]
	v_mov_b32_dpp v3, v8 row_bcast:15 row_mask:0xf bank_mask:0xf
	v_mov_b32_dpp v4, v7 row_bcast:15 row_mask:0xf bank_mask:0xf
	v_add_co_u32_e32 v3, vcc, v3, v2
	v_addc_co_u32_e32 v5, vcc, v4, v1, vcc
	v_cmp_eq_u32_e64 s[0:1], 0, v25
	v_cndmask_b32_e64 v6, v5, v7, s[0:1]
	v_cndmask_b32_e64 v4, v3, v8, s[0:1]
	v_cmp_eq_u32_e32 vcc, 0, v21
	v_mov_b32_dpp v6, v6 row_bcast:31 row_mask:0xf bank_mask:0xf
	v_mov_b32_dpp v4, v4 row_bcast:31 row_mask:0xf bank_mask:0xf
	v_cmp_ne_u32_e64 s[2:3], 0, v21
	s_and_saveexec_b64 s[4:5], s[2:3]
; %bb.71:
	v_cndmask_b32_e64 v1, v5, v1, s[0:1]
	v_cndmask_b32_e64 v2, v3, v2, s[0:1]
	v_cmp_lt_u32_e64 s[0:1], 31, v21
	v_cndmask_b32_e64 v4, 0, v4, s[0:1]
	v_cndmask_b32_e64 v3, 0, v6, s[0:1]
	v_add_co_u32_e64 v28, s[0:1], v4, v2
	v_addc_co_u32_e64 v29, s[0:1], v3, v1, s[0:1]
; %bb.72:
	s_or_b64 exec, exec, s[4:5]
	v_or_b32_e32 v2, 63, v0
	v_lshrrev_b32_e32 v1, 6, v0
	v_cmp_eq_u32_e64 s[0:1], v2, v0
	s_and_saveexec_b64 s[2:3], s[0:1]
	s_cbranch_execz .LBB166_74
; %bb.73:
	v_lshlrev_b32_e32 v2, 3, v1
	ds_write_b64 v2, v[28:29]
.LBB166_74:
	s_or_b64 exec, exec, s[2:3]
	v_cmp_gt_u32_e64 s[0:1], 4, v0
	s_waitcnt lgkmcnt(0)
	s_barrier
	s_and_saveexec_b64 s[4:5], s[0:1]
	s_cbranch_execz .LBB166_76
; %bb.75:
	v_add_u32_e32 v4, v23, v0
	ds_read_b64 v[2:3], v4
	v_and_b32_e32 v5, 3, v21
	v_cmp_ne_u32_e64 s[2:3], 1, v5
	s_waitcnt lgkmcnt(0)
	v_mov_b32_dpp v6, v2 row_shr:1 row_mask:0xf bank_mask:0xf
	v_add_co_u32_e64 v6, s[0:1], v2, v6
	v_addc_co_u32_e64 v8, s[0:1], 0, v3, s[0:1]
	v_mov_b32_dpp v7, v3 row_shr:1 row_mask:0xf bank_mask:0xf
	v_add_co_u32_e64 v9, s[0:1], 0, v6
	v_addc_co_u32_e64 v7, s[0:1], v7, v8, s[0:1]
	v_cmp_eq_u32_e64 s[0:1], 0, v5
	v_cndmask_b32_e64 v6, v6, v2, s[0:1]
	v_cndmask_b32_e64 v8, v7, v3, s[0:1]
	s_nop 0
	v_mov_b32_dpp v6, v6 row_shr:2 row_mask:0xf bank_mask:0xf
	v_mov_b32_dpp v8, v8 row_shr:2 row_mask:0xf bank_mask:0xf
	v_cndmask_b32_e64 v5, 0, v6, s[2:3]
	v_cndmask_b32_e64 v6, 0, v8, s[2:3]
	v_add_co_u32_e64 v5, s[2:3], v5, v9
	v_addc_co_u32_e64 v6, s[2:3], v6, v7, s[2:3]
	v_cndmask_b32_e64 v3, v6, v3, s[0:1]
	v_cndmask_b32_e64 v2, v5, v2, s[0:1]
	ds_write_b64 v4, v[2:3]
.LBB166_76:
	s_or_b64 exec, exec, s[4:5]
	v_cmp_lt_u32_e64 s[0:1], 63, v0
	v_pk_mov_b32 v[2:3], 0, 0
	s_waitcnt lgkmcnt(0)
	s_barrier
	s_and_saveexec_b64 s[2:3], s[0:1]
	s_cbranch_execz .LBB166_78
; %bb.77:
	v_lshl_add_u32 v1, v1, 3, -8
	ds_read_b64 v[2:3], v1
.LBB166_78:
	s_or_b64 exec, exec, s[2:3]
	s_waitcnt lgkmcnt(0)
	v_add_co_u32_e64 v1, s[0:1], v2, v28
	v_addc_co_u32_e64 v4, s[0:1], v3, v29, s[0:1]
	v_add_u32_e32 v5, -1, v21
	v_and_b32_e32 v6, 64, v21
	v_cmp_lt_i32_e64 s[0:1], v5, v6
	v_cndmask_b32_e64 v5, v5, v21, s[0:1]
	v_lshlrev_b32_e32 v5, 2, v5
	v_mov_b32_e32 v7, 0
	ds_bpermute_b32 v1, v5, v1
	ds_bpermute_b32 v8, v5, v4
	ds_read_b64 v[4:5], v7 offset:24
	v_cmp_eq_u32_e64 s[0:1], 0, v0
	s_and_saveexec_b64 s[2:3], s[0:1]
	s_cbranch_execz .LBB166_80
; %bb.79:
	s_add_u32 s4, s24, 0x400
	s_addc_u32 s5, s25, 0
	v_mov_b32_e32 v6, 2
	v_pk_mov_b32 v[28:29], s[4:5], s[4:5] op_sel:[0,1]
	s_waitcnt lgkmcnt(0)
	;;#ASMSTART
	global_store_dwordx4 v[28:29], v[4:7] off	
s_waitcnt vmcnt(0)
	;;#ASMEND
.LBB166_80:
	s_or_b64 exec, exec, s[2:3]
	s_waitcnt lgkmcnt(2)
	v_cndmask_b32_e32 v1, v1, v2, vcc
	s_waitcnt lgkmcnt(1)
	v_cndmask_b32_e32 v2, v8, v3, vcc
	v_cndmask_b32_e64 v38, v1, 0, s[0:1]
	v_cndmask_b32_e64 v39, v2, 0, s[0:1]
	v_add_co_u32_e32 v36, vcc, v38, v26
	v_addc_co_u32_e32 v37, vcc, 0, v39, vcc
	v_add_co_u32_e32 v34, vcc, v36, v24
	v_addc_co_u32_e32 v35, vcc, 0, v37, vcc
	;; [unrolled: 2-line block ×6, first 2 shown]
	s_waitcnt lgkmcnt(0)
	s_barrier
	s_mov_b64 s[8:9], 0
.LBB166_81:
	s_mov_b64 s[0:1], 0x101
	v_cmp_gt_u64_e32 vcc, s[0:1], v[4:5]
	s_mov_b64 s[0:1], -1
	s_cbranch_vccnz .LBB166_85
; %bb.82:
	s_and_b64 vcc, exec, s[0:1]
	s_cbranch_vccnz .LBB166_107
.LBB166_83:
	v_cmp_eq_u32_e32 vcc, 0, v0
	s_and_b64 s[0:1], vcc, s[20:21]
	s_and_saveexec_b64 s[2:3], s[0:1]
	s_cbranch_execnz .LBB166_126
.LBB166_84:
	s_endpgm
.LBB166_85:
	v_mov_b32_e32 v1, s9
	v_add_co_u32_e32 v6, vcc, s8, v4
	v_addc_co_u32_e32 v7, vcc, v1, v5, vcc
	s_lshl_b64 s[0:1], s[18:19], 2
	s_waitcnt lgkmcnt(0)
	s_add_u32 s2, s6, s0
	v_cmp_lt_u64_e32 vcc, v[38:39], v[6:7]
	s_addc_u32 s3, s7, s1
	s_or_b64 s[4:5], s[22:23], vcc
	s_and_saveexec_b64 s[0:1], s[4:5]
	s_cbranch_execz .LBB166_88
; %bb.86:
	v_cmp_eq_u32_e32 vcc, 1, v26
	s_and_b64 exec, exec, vcc
	s_cbranch_execz .LBB166_88
; %bb.87:
	v_lshlrev_b64 v[28:29], 2, v[38:39]
	v_mov_b32_e32 v1, s3
	v_add_co_u32_e32 v28, vcc, s2, v28
	v_addc_co_u32_e32 v29, vcc, v1, v29, vcc
	global_store_dword v[28:29], v14, off
.LBB166_88:
	s_or_b64 exec, exec, s[0:1]
	v_cmp_lt_u64_e32 vcc, v[36:37], v[6:7]
	s_or_b64 s[4:5], s[22:23], vcc
	s_and_saveexec_b64 s[0:1], s[4:5]
	s_cbranch_execz .LBB166_91
; %bb.89:
	v_cmp_eq_u32_e32 vcc, 1, v24
	s_and_b64 exec, exec, vcc
	s_cbranch_execz .LBB166_91
; %bb.90:
	v_lshlrev_b64 v[28:29], 2, v[36:37]
	v_mov_b32_e32 v1, s3
	v_add_co_u32_e32 v28, vcc, s2, v28
	v_addc_co_u32_e32 v29, vcc, v1, v29, vcc
	global_store_dword v[28:29], v15, off
.LBB166_91:
	s_or_b64 exec, exec, s[0:1]
	v_cmp_lt_u64_e32 vcc, v[34:35], v[6:7]
	;; [unrolled: 16-line block ×6, first 2 shown]
	s_or_b64 s[4:5], s[22:23], vcc
	s_and_saveexec_b64 s[0:1], s[4:5]
	s_cbranch_execz .LBB166_106
; %bb.104:
	v_cmp_eq_u32_e32 vcc, 1, v19
	s_and_b64 exec, exec, vcc
	s_cbranch_execz .LBB166_106
; %bb.105:
	v_lshlrev_b64 v[6:7], 2, v[8:9]
	v_mov_b32_e32 v1, s3
	v_add_co_u32_e32 v6, vcc, s2, v6
	v_addc_co_u32_e32 v7, vcc, v1, v7, vcc
	global_store_dword v[6:7], v17, off
.LBB166_106:
	s_or_b64 exec, exec, s[0:1]
	s_branch .LBB166_83
.LBB166_107:
	v_cmp_eq_u32_e32 vcc, 1, v26
	s_and_saveexec_b64 s[0:1], vcc
	s_cbranch_execnz .LBB166_127
; %bb.108:
	s_or_b64 exec, exec, s[0:1]
	v_cmp_eq_u32_e32 vcc, 1, v24
	s_and_saveexec_b64 s[0:1], vcc
	s_cbranch_execnz .LBB166_128
.LBB166_109:
	s_or_b64 exec, exec, s[0:1]
	v_cmp_eq_u32_e32 vcc, 1, v22
	s_and_saveexec_b64 s[0:1], vcc
	s_cbranch_execnz .LBB166_129
.LBB166_110:
	s_or_b64 exec, exec, s[0:1]
	v_cmp_eq_u32_e32 vcc, 1, v20
	s_and_saveexec_b64 s[0:1], vcc
	s_cbranch_execnz .LBB166_130
.LBB166_111:
	s_or_b64 exec, exec, s[0:1]
	v_cmp_eq_u32_e32 vcc, 1, v18
	s_and_saveexec_b64 s[0:1], vcc
	s_cbranch_execnz .LBB166_131
.LBB166_112:
	s_or_b64 exec, exec, s[0:1]
	v_cmp_eq_u32_e32 vcc, 1, v16
	s_and_saveexec_b64 s[0:1], vcc
	s_cbranch_execnz .LBB166_132
.LBB166_113:
	s_or_b64 exec, exec, s[0:1]
	v_cmp_eq_u32_e32 vcc, 1, v19
	s_and_saveexec_b64 s[0:1], vcc
	s_cbranch_execz .LBB166_115
.LBB166_114:
	v_subrev_u32_e32 v1, s8, v8
	v_lshlrev_b32_e32 v1, 2, v1
	ds_write_b32 v1, v17
.LBB166_115:
	s_or_b64 exec, exec, s[0:1]
	v_mov_b32_e32 v1, 0
	v_cmp_gt_u64_e32 vcc, v[4:5], v[0:1]
	s_waitcnt lgkmcnt(0)
	s_barrier
	s_and_saveexec_b64 s[10:11], vcc
	s_cbranch_execz .LBB166_125
; %bb.116:
	v_not_b32_e32 v3, v0
	v_not_b32_e32 v2, 0
	v_add_co_u32_e32 v6, vcc, v4, v3
	v_addc_co_u32_e32 v7, vcc, v5, v2, vcc
	s_mov_b64 s[0:1], 0x2f00
	s_mov_b64 s[2:3], 0x2eff
	v_cmp_gt_u64_e64 s[0:1], s[0:1], v[6:7]
	v_cmp_lt_u64_e32 vcc, s[2:3], v[6:7]
	v_mov_b32_e32 v8, v0
	v_pk_mov_b32 v[2:3], v[0:1], v[0:1] op_sel:[0,1]
	s_and_saveexec_b64 s[12:13], vcc
	s_cbranch_execz .LBB166_122
; %bb.117:
	v_alignbit_b32 v2, v7, v6, 8
	s_mov_b32 s2, 0xffffff
	s_mov_b32 s4, -1
	v_lshlrev_b32_e32 v3, 8, v2
	v_cmp_lt_u32_e32 vcc, s2, v2
	v_not_b32_e32 v2, v0
	s_movk_i32 s5, 0xff
	v_cmp_gt_u32_e64 s[2:3], v3, v2
	v_xor_b32_e32 v2, 0xfffffeff, v0
	v_cmp_lt_u64_e64 s[4:5], s[4:5], v[6:7]
	s_or_b64 s[14:15], s[2:3], vcc
	v_cmp_lt_u32_e64 s[2:3], v2, v3
	s_or_b64 s[4:5], vcc, s[4:5]
	s_or_b64 s[2:3], s[4:5], s[2:3]
	s_or_b64 s[4:5], s[14:15], s[2:3]
	s_mov_b64 s[2:3], -1
	s_xor_b64 s[14:15], s[4:5], -1
	v_mov_b32_e32 v8, v0
	v_pk_mov_b32 v[2:3], v[0:1], v[0:1] op_sel:[0,1]
	s_and_saveexec_b64 s[4:5], s[14:15]
	s_cbranch_execz .LBB166_121
; %bb.118:
	s_lshl_b64 s[2:3], s[8:9], 2
	s_lshl_b64 s[14:15], s[18:19], 2
	s_add_u32 s2, s2, s14
	v_lshrrev_b64 v[2:3], 8, v[6:7]
	s_addc_u32 s3, s3, s15
	v_add_co_u32_e32 v10, vcc, 1, v2
	s_add_u32 s2, s6, s2
	v_addc_co_u32_e32 v11, vcc, 0, v3, vcc
	v_lshlrev_b32_e32 v6, 2, v0
	s_addc_u32 s3, s7, s3
	v_mov_b32_e32 v7, s3
	v_add_co_u32_e32 v6, vcc, s2, v6
	v_addc_co_u32_e32 v7, vcc, 0, v7, vcc
	s_movk_i32 s2, 0x400
	v_or_b32_e32 v2, 0x100, v0
	v_mov_b32_e32 v3, v1
	v_add_co_u32_e32 v14, vcc, s2, v6
	v_and_b32_e32 v12, -2, v10
	v_mov_b32_e32 v13, v11
	v_addc_co_u32_e32 v15, vcc, 0, v7, vcc
	v_pk_mov_b32 v[8:9], v[2:3], v[2:3] op_sel:[0,1]
	s_mov_b64 s[14:15], 0
	v_pk_mov_b32 v[16:17], v[12:13], v[12:13] op_sel:[0,1]
	v_pk_mov_b32 v[6:7], v[0:1], v[0:1] op_sel:[0,1]
.LBB166_119:                            ; =>This Inner Loop Header: Depth=1
	v_lshlrev_b32_e32 v1, 2, v6
	v_lshlrev_b32_e32 v2, 2, v8
	ds_read_b32 v1, v1
	ds_read_b32 v2, v2
	v_add_co_u32_e32 v8, vcc, 0x200, v8
	v_addc_co_u32_e32 v9, vcc, 0, v9, vcc
	v_add_co_u32_e64 v16, s[2:3], -2, v16
	v_add_co_u32_e32 v6, vcc, 0x200, v6
	v_addc_co_u32_e64 v17, s[2:3], -1, v17, s[2:3]
	v_addc_co_u32_e32 v7, vcc, 0, v7, vcc
	v_cmp_eq_u64_e64 s[2:3], 0, v[16:17]
	s_waitcnt lgkmcnt(1)
	global_store_dword v[14:15], v1, off offset:-1024
	s_waitcnt lgkmcnt(0)
	global_store_dword v[14:15], v2, off
	v_add_co_u32_e32 v14, vcc, 0x800, v14
	s_or_b64 s[14:15], s[2:3], s[14:15]
	v_addc_co_u32_e32 v15, vcc, 0, v15, vcc
	s_andn2_b64 exec, exec, s[14:15]
	s_cbranch_execnz .LBB166_119
; %bb.120:
	s_or_b64 exec, exec, s[14:15]
	v_lshlrev_b64 v[2:3], 8, v[12:13]
	v_cmp_ne_u64_e32 vcc, v[10:11], v[12:13]
	v_or_b32_e32 v3, 0, v3
	v_or_b32_e32 v2, v2, v0
	v_lshl_or_b32 v8, v12, 8, v0
	s_orn2_b64 s[2:3], vcc, exec
.LBB166_121:
	s_or_b64 exec, exec, s[4:5]
	s_andn2_b64 s[0:1], s[0:1], exec
	s_and_b64 s[2:3], s[2:3], exec
	s_or_b64 s[0:1], s[0:1], s[2:3]
.LBB166_122:
	s_or_b64 exec, exec, s[12:13]
	s_and_b64 exec, exec, s[0:1]
	s_cbranch_execz .LBB166_125
; %bb.123:
	s_lshl_b64 s[0:1], s[8:9], 2
	s_add_u32 s2, s6, s0
	s_addc_u32 s3, s7, s1
	s_lshl_b64 s[0:1], s[18:19], 2
	s_add_u32 s4, s2, s0
	s_addc_u32 s0, s3, s1
	v_add_u32_e32 v6, 0x100, v8
	s_mov_b64 s[2:3], 0
	v_mov_b32_e32 v1, s0
	v_mov_b32_e32 v7, 0
.LBB166_124:                            ; =>This Inner Loop Header: Depth=1
	v_lshlrev_b32_e32 v10, 2, v2
	ds_read_b32 v10, v10
	v_lshlrev_b64 v[8:9], 2, v[2:3]
	v_cmp_le_u64_e32 vcc, v[4:5], v[6:7]
	v_add_co_u32_e64 v8, s[0:1], s4, v8
	v_pk_mov_b32 v[2:3], v[6:7], v[6:7] op_sel:[0,1]
	v_add_u32_e32 v6, 0x100, v6
	v_addc_co_u32_e64 v9, s[0:1], v1, v9, s[0:1]
	s_or_b64 s[2:3], vcc, s[2:3]
	s_waitcnt lgkmcnt(0)
	global_store_dword v[8:9], v10, off
	s_andn2_b64 exec, exec, s[2:3]
	s_cbranch_execnz .LBB166_124
.LBB166_125:
	s_or_b64 exec, exec, s[10:11]
	v_cmp_eq_u32_e32 vcc, 0, v0
	s_and_b64 s[0:1], vcc, s[20:21]
	s_and_saveexec_b64 s[2:3], s[0:1]
	s_cbranch_execz .LBB166_84
.LBB166_126:
	v_mov_b32_e32 v0, s9
	v_add_co_u32_e32 v1, vcc, s8, v4
	v_addc_co_u32_e32 v3, vcc, v0, v5, vcc
	v_mov_b32_e32 v4, s19
	v_add_co_u32_e32 v0, vcc, s18, v1
	v_mov_b32_e32 v2, 0
	v_addc_co_u32_e32 v1, vcc, v3, v4, vcc
	global_store_dwordx2 v2, v[0:1], s[16:17]
	s_endpgm
.LBB166_127:
	v_subrev_u32_e32 v1, s8, v38
	v_lshlrev_b32_e32 v1, 2, v1
	ds_write_b32 v1, v14
	s_or_b64 exec, exec, s[0:1]
	v_cmp_eq_u32_e32 vcc, 1, v24
	s_and_saveexec_b64 s[0:1], vcc
	s_cbranch_execz .LBB166_109
.LBB166_128:
	v_subrev_u32_e32 v1, s8, v36
	v_lshlrev_b32_e32 v1, 2, v1
	ds_write_b32 v1, v15
	s_or_b64 exec, exec, s[0:1]
	v_cmp_eq_u32_e32 vcc, 1, v22
	s_and_saveexec_b64 s[0:1], vcc
	s_cbranch_execz .LBB166_110
.LBB166_129:
	v_subrev_u32_e32 v1, s8, v34
	v_lshlrev_b32_e32 v1, 2, v1
	ds_write_b32 v1, v12
	s_or_b64 exec, exec, s[0:1]
	v_cmp_eq_u32_e32 vcc, 1, v20
	s_and_saveexec_b64 s[0:1], vcc
	s_cbranch_execz .LBB166_111
.LBB166_130:
	v_subrev_u32_e32 v1, s8, v32
	v_lshlrev_b32_e32 v1, 2, v1
	ds_write_b32 v1, v13
	s_or_b64 exec, exec, s[0:1]
	v_cmp_eq_u32_e32 vcc, 1, v18
	s_and_saveexec_b64 s[0:1], vcc
	s_cbranch_execz .LBB166_112
.LBB166_131:
	v_subrev_u32_e32 v1, s8, v30
	v_lshlrev_b32_e32 v1, 2, v1
	ds_write_b32 v1, v10
	s_or_b64 exec, exec, s[0:1]
	v_cmp_eq_u32_e32 vcc, 1, v16
	s_and_saveexec_b64 s[0:1], vcc
	s_cbranch_execz .LBB166_113
.LBB166_132:
	v_subrev_u32_e32 v1, s8, v2
	v_lshlrev_b32_e32 v1, 2, v1
	ds_write_b32 v1, v11
	s_or_b64 exec, exec, s[0:1]
	v_cmp_eq_u32_e32 vcc, 1, v19
	s_and_saveexec_b64 s[0:1], vcc
	s_cbranch_execnz .LBB166_114
	s_branch .LBB166_115
	.section	.rodata,"a",@progbits
	.p2align	6, 0x0
	.amdhsa_kernel _ZN7rocprim17ROCPRIM_400000_NS6detail17trampoline_kernelINS0_14default_configENS1_25partition_config_selectorILNS1_17partition_subalgoE5EiNS0_10empty_typeEbEEZZNS1_14partition_implILS5_5ELb0ES3_mPiPS6_N6thrust23THRUST_200600_302600_NS18transform_iteratorIN6dUtils5isOneIiEES9_NSC_11use_defaultESH_EENS0_5tupleIJS9_S6_EEENSJ_IJSA_SA_EEES6_PlJS6_EEE10hipError_tPvRmT3_T4_T5_T6_T7_T9_mT8_P12ihipStream_tbDpT10_ENKUlT_T0_E_clISt17integral_constantIbLb1EES15_IbLb0EEEEDaS11_S12_EUlS11_E_NS1_11comp_targetILNS1_3genE4ELNS1_11target_archE910ELNS1_3gpuE8ELNS1_3repE0EEENS1_30default_config_static_selectorELNS0_4arch9wavefront6targetE1EEEvT1_
		.amdhsa_group_segment_fixed_size 7184
		.amdhsa_private_segment_fixed_size 0
		.amdhsa_kernarg_size 120
		.amdhsa_user_sgpr_count 6
		.amdhsa_user_sgpr_private_segment_buffer 1
		.amdhsa_user_sgpr_dispatch_ptr 0
		.amdhsa_user_sgpr_queue_ptr 0
		.amdhsa_user_sgpr_kernarg_segment_ptr 1
		.amdhsa_user_sgpr_dispatch_id 0
		.amdhsa_user_sgpr_flat_scratch_init 0
		.amdhsa_user_sgpr_kernarg_preload_length 0
		.amdhsa_user_sgpr_kernarg_preload_offset 0
		.amdhsa_user_sgpr_private_segment_size 0
		.amdhsa_uses_dynamic_stack 0
		.amdhsa_system_sgpr_private_segment_wavefront_offset 0
		.amdhsa_system_sgpr_workgroup_id_x 1
		.amdhsa_system_sgpr_workgroup_id_y 0
		.amdhsa_system_sgpr_workgroup_id_z 0
		.amdhsa_system_sgpr_workgroup_info 0
		.amdhsa_system_vgpr_workitem_id 0
		.amdhsa_next_free_vgpr 56
		.amdhsa_next_free_sgpr 28
		.amdhsa_accum_offset 56
		.amdhsa_reserve_vcc 1
		.amdhsa_reserve_flat_scratch 0
		.amdhsa_float_round_mode_32 0
		.amdhsa_float_round_mode_16_64 0
		.amdhsa_float_denorm_mode_32 3
		.amdhsa_float_denorm_mode_16_64 3
		.amdhsa_dx10_clamp 1
		.amdhsa_ieee_mode 1
		.amdhsa_fp16_overflow 0
		.amdhsa_tg_split 0
		.amdhsa_exception_fp_ieee_invalid_op 0
		.amdhsa_exception_fp_denorm_src 0
		.amdhsa_exception_fp_ieee_div_zero 0
		.amdhsa_exception_fp_ieee_overflow 0
		.amdhsa_exception_fp_ieee_underflow 0
		.amdhsa_exception_fp_ieee_inexact 0
		.amdhsa_exception_int_div_zero 0
	.end_amdhsa_kernel
	.section	.text._ZN7rocprim17ROCPRIM_400000_NS6detail17trampoline_kernelINS0_14default_configENS1_25partition_config_selectorILNS1_17partition_subalgoE5EiNS0_10empty_typeEbEEZZNS1_14partition_implILS5_5ELb0ES3_mPiPS6_N6thrust23THRUST_200600_302600_NS18transform_iteratorIN6dUtils5isOneIiEES9_NSC_11use_defaultESH_EENS0_5tupleIJS9_S6_EEENSJ_IJSA_SA_EEES6_PlJS6_EEE10hipError_tPvRmT3_T4_T5_T6_T7_T9_mT8_P12ihipStream_tbDpT10_ENKUlT_T0_E_clISt17integral_constantIbLb1EES15_IbLb0EEEEDaS11_S12_EUlS11_E_NS1_11comp_targetILNS1_3genE4ELNS1_11target_archE910ELNS1_3gpuE8ELNS1_3repE0EEENS1_30default_config_static_selectorELNS0_4arch9wavefront6targetE1EEEvT1_,"axG",@progbits,_ZN7rocprim17ROCPRIM_400000_NS6detail17trampoline_kernelINS0_14default_configENS1_25partition_config_selectorILNS1_17partition_subalgoE5EiNS0_10empty_typeEbEEZZNS1_14partition_implILS5_5ELb0ES3_mPiPS6_N6thrust23THRUST_200600_302600_NS18transform_iteratorIN6dUtils5isOneIiEES9_NSC_11use_defaultESH_EENS0_5tupleIJS9_S6_EEENSJ_IJSA_SA_EEES6_PlJS6_EEE10hipError_tPvRmT3_T4_T5_T6_T7_T9_mT8_P12ihipStream_tbDpT10_ENKUlT_T0_E_clISt17integral_constantIbLb1EES15_IbLb0EEEEDaS11_S12_EUlS11_E_NS1_11comp_targetILNS1_3genE4ELNS1_11target_archE910ELNS1_3gpuE8ELNS1_3repE0EEENS1_30default_config_static_selectorELNS0_4arch9wavefront6targetE1EEEvT1_,comdat
.Lfunc_end166:
	.size	_ZN7rocprim17ROCPRIM_400000_NS6detail17trampoline_kernelINS0_14default_configENS1_25partition_config_selectorILNS1_17partition_subalgoE5EiNS0_10empty_typeEbEEZZNS1_14partition_implILS5_5ELb0ES3_mPiPS6_N6thrust23THRUST_200600_302600_NS18transform_iteratorIN6dUtils5isOneIiEES9_NSC_11use_defaultESH_EENS0_5tupleIJS9_S6_EEENSJ_IJSA_SA_EEES6_PlJS6_EEE10hipError_tPvRmT3_T4_T5_T6_T7_T9_mT8_P12ihipStream_tbDpT10_ENKUlT_T0_E_clISt17integral_constantIbLb1EES15_IbLb0EEEEDaS11_S12_EUlS11_E_NS1_11comp_targetILNS1_3genE4ELNS1_11target_archE910ELNS1_3gpuE8ELNS1_3repE0EEENS1_30default_config_static_selectorELNS0_4arch9wavefront6targetE1EEEvT1_, .Lfunc_end166-_ZN7rocprim17ROCPRIM_400000_NS6detail17trampoline_kernelINS0_14default_configENS1_25partition_config_selectorILNS1_17partition_subalgoE5EiNS0_10empty_typeEbEEZZNS1_14partition_implILS5_5ELb0ES3_mPiPS6_N6thrust23THRUST_200600_302600_NS18transform_iteratorIN6dUtils5isOneIiEES9_NSC_11use_defaultESH_EENS0_5tupleIJS9_S6_EEENSJ_IJSA_SA_EEES6_PlJS6_EEE10hipError_tPvRmT3_T4_T5_T6_T7_T9_mT8_P12ihipStream_tbDpT10_ENKUlT_T0_E_clISt17integral_constantIbLb1EES15_IbLb0EEEEDaS11_S12_EUlS11_E_NS1_11comp_targetILNS1_3genE4ELNS1_11target_archE910ELNS1_3gpuE8ELNS1_3repE0EEENS1_30default_config_static_selectorELNS0_4arch9wavefront6targetE1EEEvT1_
                                        ; -- End function
	.section	.AMDGPU.csdata,"",@progbits
; Kernel info:
; codeLenInByte = 6724
; NumSgprs: 32
; NumVgprs: 56
; NumAgprs: 0
; TotalNumVgprs: 56
; ScratchSize: 0
; MemoryBound: 0
; FloatMode: 240
; IeeeMode: 1
; LDSByteSize: 7184 bytes/workgroup (compile time only)
; SGPRBlocks: 3
; VGPRBlocks: 6
; NumSGPRsForWavesPerEU: 32
; NumVGPRsForWavesPerEU: 56
; AccumOffset: 56
; Occupancy: 8
; WaveLimiterHint : 1
; COMPUTE_PGM_RSRC2:SCRATCH_EN: 0
; COMPUTE_PGM_RSRC2:USER_SGPR: 6
; COMPUTE_PGM_RSRC2:TRAP_HANDLER: 0
; COMPUTE_PGM_RSRC2:TGID_X_EN: 1
; COMPUTE_PGM_RSRC2:TGID_Y_EN: 0
; COMPUTE_PGM_RSRC2:TGID_Z_EN: 0
; COMPUTE_PGM_RSRC2:TIDIG_COMP_CNT: 0
; COMPUTE_PGM_RSRC3_GFX90A:ACCUM_OFFSET: 13
; COMPUTE_PGM_RSRC3_GFX90A:TG_SPLIT: 0
	.section	.text._ZN7rocprim17ROCPRIM_400000_NS6detail17trampoline_kernelINS0_14default_configENS1_25partition_config_selectorILNS1_17partition_subalgoE5EiNS0_10empty_typeEbEEZZNS1_14partition_implILS5_5ELb0ES3_mPiPS6_N6thrust23THRUST_200600_302600_NS18transform_iteratorIN6dUtils5isOneIiEES9_NSC_11use_defaultESH_EENS0_5tupleIJS9_S6_EEENSJ_IJSA_SA_EEES6_PlJS6_EEE10hipError_tPvRmT3_T4_T5_T6_T7_T9_mT8_P12ihipStream_tbDpT10_ENKUlT_T0_E_clISt17integral_constantIbLb1EES15_IbLb0EEEEDaS11_S12_EUlS11_E_NS1_11comp_targetILNS1_3genE3ELNS1_11target_archE908ELNS1_3gpuE7ELNS1_3repE0EEENS1_30default_config_static_selectorELNS0_4arch9wavefront6targetE1EEEvT1_,"axG",@progbits,_ZN7rocprim17ROCPRIM_400000_NS6detail17trampoline_kernelINS0_14default_configENS1_25partition_config_selectorILNS1_17partition_subalgoE5EiNS0_10empty_typeEbEEZZNS1_14partition_implILS5_5ELb0ES3_mPiPS6_N6thrust23THRUST_200600_302600_NS18transform_iteratorIN6dUtils5isOneIiEES9_NSC_11use_defaultESH_EENS0_5tupleIJS9_S6_EEENSJ_IJSA_SA_EEES6_PlJS6_EEE10hipError_tPvRmT3_T4_T5_T6_T7_T9_mT8_P12ihipStream_tbDpT10_ENKUlT_T0_E_clISt17integral_constantIbLb1EES15_IbLb0EEEEDaS11_S12_EUlS11_E_NS1_11comp_targetILNS1_3genE3ELNS1_11target_archE908ELNS1_3gpuE7ELNS1_3repE0EEENS1_30default_config_static_selectorELNS0_4arch9wavefront6targetE1EEEvT1_,comdat
	.protected	_ZN7rocprim17ROCPRIM_400000_NS6detail17trampoline_kernelINS0_14default_configENS1_25partition_config_selectorILNS1_17partition_subalgoE5EiNS0_10empty_typeEbEEZZNS1_14partition_implILS5_5ELb0ES3_mPiPS6_N6thrust23THRUST_200600_302600_NS18transform_iteratorIN6dUtils5isOneIiEES9_NSC_11use_defaultESH_EENS0_5tupleIJS9_S6_EEENSJ_IJSA_SA_EEES6_PlJS6_EEE10hipError_tPvRmT3_T4_T5_T6_T7_T9_mT8_P12ihipStream_tbDpT10_ENKUlT_T0_E_clISt17integral_constantIbLb1EES15_IbLb0EEEEDaS11_S12_EUlS11_E_NS1_11comp_targetILNS1_3genE3ELNS1_11target_archE908ELNS1_3gpuE7ELNS1_3repE0EEENS1_30default_config_static_selectorELNS0_4arch9wavefront6targetE1EEEvT1_ ; -- Begin function _ZN7rocprim17ROCPRIM_400000_NS6detail17trampoline_kernelINS0_14default_configENS1_25partition_config_selectorILNS1_17partition_subalgoE5EiNS0_10empty_typeEbEEZZNS1_14partition_implILS5_5ELb0ES3_mPiPS6_N6thrust23THRUST_200600_302600_NS18transform_iteratorIN6dUtils5isOneIiEES9_NSC_11use_defaultESH_EENS0_5tupleIJS9_S6_EEENSJ_IJSA_SA_EEES6_PlJS6_EEE10hipError_tPvRmT3_T4_T5_T6_T7_T9_mT8_P12ihipStream_tbDpT10_ENKUlT_T0_E_clISt17integral_constantIbLb1EES15_IbLb0EEEEDaS11_S12_EUlS11_E_NS1_11comp_targetILNS1_3genE3ELNS1_11target_archE908ELNS1_3gpuE7ELNS1_3repE0EEENS1_30default_config_static_selectorELNS0_4arch9wavefront6targetE1EEEvT1_
	.globl	_ZN7rocprim17ROCPRIM_400000_NS6detail17trampoline_kernelINS0_14default_configENS1_25partition_config_selectorILNS1_17partition_subalgoE5EiNS0_10empty_typeEbEEZZNS1_14partition_implILS5_5ELb0ES3_mPiPS6_N6thrust23THRUST_200600_302600_NS18transform_iteratorIN6dUtils5isOneIiEES9_NSC_11use_defaultESH_EENS0_5tupleIJS9_S6_EEENSJ_IJSA_SA_EEES6_PlJS6_EEE10hipError_tPvRmT3_T4_T5_T6_T7_T9_mT8_P12ihipStream_tbDpT10_ENKUlT_T0_E_clISt17integral_constantIbLb1EES15_IbLb0EEEEDaS11_S12_EUlS11_E_NS1_11comp_targetILNS1_3genE3ELNS1_11target_archE908ELNS1_3gpuE7ELNS1_3repE0EEENS1_30default_config_static_selectorELNS0_4arch9wavefront6targetE1EEEvT1_
	.p2align	8
	.type	_ZN7rocprim17ROCPRIM_400000_NS6detail17trampoline_kernelINS0_14default_configENS1_25partition_config_selectorILNS1_17partition_subalgoE5EiNS0_10empty_typeEbEEZZNS1_14partition_implILS5_5ELb0ES3_mPiPS6_N6thrust23THRUST_200600_302600_NS18transform_iteratorIN6dUtils5isOneIiEES9_NSC_11use_defaultESH_EENS0_5tupleIJS9_S6_EEENSJ_IJSA_SA_EEES6_PlJS6_EEE10hipError_tPvRmT3_T4_T5_T6_T7_T9_mT8_P12ihipStream_tbDpT10_ENKUlT_T0_E_clISt17integral_constantIbLb1EES15_IbLb0EEEEDaS11_S12_EUlS11_E_NS1_11comp_targetILNS1_3genE3ELNS1_11target_archE908ELNS1_3gpuE7ELNS1_3repE0EEENS1_30default_config_static_selectorELNS0_4arch9wavefront6targetE1EEEvT1_,@function
_ZN7rocprim17ROCPRIM_400000_NS6detail17trampoline_kernelINS0_14default_configENS1_25partition_config_selectorILNS1_17partition_subalgoE5EiNS0_10empty_typeEbEEZZNS1_14partition_implILS5_5ELb0ES3_mPiPS6_N6thrust23THRUST_200600_302600_NS18transform_iteratorIN6dUtils5isOneIiEES9_NSC_11use_defaultESH_EENS0_5tupleIJS9_S6_EEENSJ_IJSA_SA_EEES6_PlJS6_EEE10hipError_tPvRmT3_T4_T5_T6_T7_T9_mT8_P12ihipStream_tbDpT10_ENKUlT_T0_E_clISt17integral_constantIbLb1EES15_IbLb0EEEEDaS11_S12_EUlS11_E_NS1_11comp_targetILNS1_3genE3ELNS1_11target_archE908ELNS1_3gpuE7ELNS1_3repE0EEENS1_30default_config_static_selectorELNS0_4arch9wavefront6targetE1EEEvT1_: ; @_ZN7rocprim17ROCPRIM_400000_NS6detail17trampoline_kernelINS0_14default_configENS1_25partition_config_selectorILNS1_17partition_subalgoE5EiNS0_10empty_typeEbEEZZNS1_14partition_implILS5_5ELb0ES3_mPiPS6_N6thrust23THRUST_200600_302600_NS18transform_iteratorIN6dUtils5isOneIiEES9_NSC_11use_defaultESH_EENS0_5tupleIJS9_S6_EEENSJ_IJSA_SA_EEES6_PlJS6_EEE10hipError_tPvRmT3_T4_T5_T6_T7_T9_mT8_P12ihipStream_tbDpT10_ENKUlT_T0_E_clISt17integral_constantIbLb1EES15_IbLb0EEEEDaS11_S12_EUlS11_E_NS1_11comp_targetILNS1_3genE3ELNS1_11target_archE908ELNS1_3gpuE7ELNS1_3repE0EEENS1_30default_config_static_selectorELNS0_4arch9wavefront6targetE1EEEvT1_
; %bb.0:
	.section	.rodata,"a",@progbits
	.p2align	6, 0x0
	.amdhsa_kernel _ZN7rocprim17ROCPRIM_400000_NS6detail17trampoline_kernelINS0_14default_configENS1_25partition_config_selectorILNS1_17partition_subalgoE5EiNS0_10empty_typeEbEEZZNS1_14partition_implILS5_5ELb0ES3_mPiPS6_N6thrust23THRUST_200600_302600_NS18transform_iteratorIN6dUtils5isOneIiEES9_NSC_11use_defaultESH_EENS0_5tupleIJS9_S6_EEENSJ_IJSA_SA_EEES6_PlJS6_EEE10hipError_tPvRmT3_T4_T5_T6_T7_T9_mT8_P12ihipStream_tbDpT10_ENKUlT_T0_E_clISt17integral_constantIbLb1EES15_IbLb0EEEEDaS11_S12_EUlS11_E_NS1_11comp_targetILNS1_3genE3ELNS1_11target_archE908ELNS1_3gpuE7ELNS1_3repE0EEENS1_30default_config_static_selectorELNS0_4arch9wavefront6targetE1EEEvT1_
		.amdhsa_group_segment_fixed_size 0
		.amdhsa_private_segment_fixed_size 0
		.amdhsa_kernarg_size 120
		.amdhsa_user_sgpr_count 6
		.amdhsa_user_sgpr_private_segment_buffer 1
		.amdhsa_user_sgpr_dispatch_ptr 0
		.amdhsa_user_sgpr_queue_ptr 0
		.amdhsa_user_sgpr_kernarg_segment_ptr 1
		.amdhsa_user_sgpr_dispatch_id 0
		.amdhsa_user_sgpr_flat_scratch_init 0
		.amdhsa_user_sgpr_kernarg_preload_length 0
		.amdhsa_user_sgpr_kernarg_preload_offset 0
		.amdhsa_user_sgpr_private_segment_size 0
		.amdhsa_uses_dynamic_stack 0
		.amdhsa_system_sgpr_private_segment_wavefront_offset 0
		.amdhsa_system_sgpr_workgroup_id_x 1
		.amdhsa_system_sgpr_workgroup_id_y 0
		.amdhsa_system_sgpr_workgroup_id_z 0
		.amdhsa_system_sgpr_workgroup_info 0
		.amdhsa_system_vgpr_workitem_id 0
		.amdhsa_next_free_vgpr 1
		.amdhsa_next_free_sgpr 0
		.amdhsa_accum_offset 4
		.amdhsa_reserve_vcc 0
		.amdhsa_reserve_flat_scratch 0
		.amdhsa_float_round_mode_32 0
		.amdhsa_float_round_mode_16_64 0
		.amdhsa_float_denorm_mode_32 3
		.amdhsa_float_denorm_mode_16_64 3
		.amdhsa_dx10_clamp 1
		.amdhsa_ieee_mode 1
		.amdhsa_fp16_overflow 0
		.amdhsa_tg_split 0
		.amdhsa_exception_fp_ieee_invalid_op 0
		.amdhsa_exception_fp_denorm_src 0
		.amdhsa_exception_fp_ieee_div_zero 0
		.amdhsa_exception_fp_ieee_overflow 0
		.amdhsa_exception_fp_ieee_underflow 0
		.amdhsa_exception_fp_ieee_inexact 0
		.amdhsa_exception_int_div_zero 0
	.end_amdhsa_kernel
	.section	.text._ZN7rocprim17ROCPRIM_400000_NS6detail17trampoline_kernelINS0_14default_configENS1_25partition_config_selectorILNS1_17partition_subalgoE5EiNS0_10empty_typeEbEEZZNS1_14partition_implILS5_5ELb0ES3_mPiPS6_N6thrust23THRUST_200600_302600_NS18transform_iteratorIN6dUtils5isOneIiEES9_NSC_11use_defaultESH_EENS0_5tupleIJS9_S6_EEENSJ_IJSA_SA_EEES6_PlJS6_EEE10hipError_tPvRmT3_T4_T5_T6_T7_T9_mT8_P12ihipStream_tbDpT10_ENKUlT_T0_E_clISt17integral_constantIbLb1EES15_IbLb0EEEEDaS11_S12_EUlS11_E_NS1_11comp_targetILNS1_3genE3ELNS1_11target_archE908ELNS1_3gpuE7ELNS1_3repE0EEENS1_30default_config_static_selectorELNS0_4arch9wavefront6targetE1EEEvT1_,"axG",@progbits,_ZN7rocprim17ROCPRIM_400000_NS6detail17trampoline_kernelINS0_14default_configENS1_25partition_config_selectorILNS1_17partition_subalgoE5EiNS0_10empty_typeEbEEZZNS1_14partition_implILS5_5ELb0ES3_mPiPS6_N6thrust23THRUST_200600_302600_NS18transform_iteratorIN6dUtils5isOneIiEES9_NSC_11use_defaultESH_EENS0_5tupleIJS9_S6_EEENSJ_IJSA_SA_EEES6_PlJS6_EEE10hipError_tPvRmT3_T4_T5_T6_T7_T9_mT8_P12ihipStream_tbDpT10_ENKUlT_T0_E_clISt17integral_constantIbLb1EES15_IbLb0EEEEDaS11_S12_EUlS11_E_NS1_11comp_targetILNS1_3genE3ELNS1_11target_archE908ELNS1_3gpuE7ELNS1_3repE0EEENS1_30default_config_static_selectorELNS0_4arch9wavefront6targetE1EEEvT1_,comdat
.Lfunc_end167:
	.size	_ZN7rocprim17ROCPRIM_400000_NS6detail17trampoline_kernelINS0_14default_configENS1_25partition_config_selectorILNS1_17partition_subalgoE5EiNS0_10empty_typeEbEEZZNS1_14partition_implILS5_5ELb0ES3_mPiPS6_N6thrust23THRUST_200600_302600_NS18transform_iteratorIN6dUtils5isOneIiEES9_NSC_11use_defaultESH_EENS0_5tupleIJS9_S6_EEENSJ_IJSA_SA_EEES6_PlJS6_EEE10hipError_tPvRmT3_T4_T5_T6_T7_T9_mT8_P12ihipStream_tbDpT10_ENKUlT_T0_E_clISt17integral_constantIbLb1EES15_IbLb0EEEEDaS11_S12_EUlS11_E_NS1_11comp_targetILNS1_3genE3ELNS1_11target_archE908ELNS1_3gpuE7ELNS1_3repE0EEENS1_30default_config_static_selectorELNS0_4arch9wavefront6targetE1EEEvT1_, .Lfunc_end167-_ZN7rocprim17ROCPRIM_400000_NS6detail17trampoline_kernelINS0_14default_configENS1_25partition_config_selectorILNS1_17partition_subalgoE5EiNS0_10empty_typeEbEEZZNS1_14partition_implILS5_5ELb0ES3_mPiPS6_N6thrust23THRUST_200600_302600_NS18transform_iteratorIN6dUtils5isOneIiEES9_NSC_11use_defaultESH_EENS0_5tupleIJS9_S6_EEENSJ_IJSA_SA_EEES6_PlJS6_EEE10hipError_tPvRmT3_T4_T5_T6_T7_T9_mT8_P12ihipStream_tbDpT10_ENKUlT_T0_E_clISt17integral_constantIbLb1EES15_IbLb0EEEEDaS11_S12_EUlS11_E_NS1_11comp_targetILNS1_3genE3ELNS1_11target_archE908ELNS1_3gpuE7ELNS1_3repE0EEENS1_30default_config_static_selectorELNS0_4arch9wavefront6targetE1EEEvT1_
                                        ; -- End function
	.section	.AMDGPU.csdata,"",@progbits
; Kernel info:
; codeLenInByte = 0
; NumSgprs: 4
; NumVgprs: 0
; NumAgprs: 0
; TotalNumVgprs: 0
; ScratchSize: 0
; MemoryBound: 0
; FloatMode: 240
; IeeeMode: 1
; LDSByteSize: 0 bytes/workgroup (compile time only)
; SGPRBlocks: 0
; VGPRBlocks: 0
; NumSGPRsForWavesPerEU: 4
; NumVGPRsForWavesPerEU: 1
; AccumOffset: 4
; Occupancy: 8
; WaveLimiterHint : 0
; COMPUTE_PGM_RSRC2:SCRATCH_EN: 0
; COMPUTE_PGM_RSRC2:USER_SGPR: 6
; COMPUTE_PGM_RSRC2:TRAP_HANDLER: 0
; COMPUTE_PGM_RSRC2:TGID_X_EN: 1
; COMPUTE_PGM_RSRC2:TGID_Y_EN: 0
; COMPUTE_PGM_RSRC2:TGID_Z_EN: 0
; COMPUTE_PGM_RSRC2:TIDIG_COMP_CNT: 0
; COMPUTE_PGM_RSRC3_GFX90A:ACCUM_OFFSET: 0
; COMPUTE_PGM_RSRC3_GFX90A:TG_SPLIT: 0
	.section	.text._ZN7rocprim17ROCPRIM_400000_NS6detail17trampoline_kernelINS0_14default_configENS1_25partition_config_selectorILNS1_17partition_subalgoE5EiNS0_10empty_typeEbEEZZNS1_14partition_implILS5_5ELb0ES3_mPiPS6_N6thrust23THRUST_200600_302600_NS18transform_iteratorIN6dUtils5isOneIiEES9_NSC_11use_defaultESH_EENS0_5tupleIJS9_S6_EEENSJ_IJSA_SA_EEES6_PlJS6_EEE10hipError_tPvRmT3_T4_T5_T6_T7_T9_mT8_P12ihipStream_tbDpT10_ENKUlT_T0_E_clISt17integral_constantIbLb1EES15_IbLb0EEEEDaS11_S12_EUlS11_E_NS1_11comp_targetILNS1_3genE2ELNS1_11target_archE906ELNS1_3gpuE6ELNS1_3repE0EEENS1_30default_config_static_selectorELNS0_4arch9wavefront6targetE1EEEvT1_,"axG",@progbits,_ZN7rocprim17ROCPRIM_400000_NS6detail17trampoline_kernelINS0_14default_configENS1_25partition_config_selectorILNS1_17partition_subalgoE5EiNS0_10empty_typeEbEEZZNS1_14partition_implILS5_5ELb0ES3_mPiPS6_N6thrust23THRUST_200600_302600_NS18transform_iteratorIN6dUtils5isOneIiEES9_NSC_11use_defaultESH_EENS0_5tupleIJS9_S6_EEENSJ_IJSA_SA_EEES6_PlJS6_EEE10hipError_tPvRmT3_T4_T5_T6_T7_T9_mT8_P12ihipStream_tbDpT10_ENKUlT_T0_E_clISt17integral_constantIbLb1EES15_IbLb0EEEEDaS11_S12_EUlS11_E_NS1_11comp_targetILNS1_3genE2ELNS1_11target_archE906ELNS1_3gpuE6ELNS1_3repE0EEENS1_30default_config_static_selectorELNS0_4arch9wavefront6targetE1EEEvT1_,comdat
	.protected	_ZN7rocprim17ROCPRIM_400000_NS6detail17trampoline_kernelINS0_14default_configENS1_25partition_config_selectorILNS1_17partition_subalgoE5EiNS0_10empty_typeEbEEZZNS1_14partition_implILS5_5ELb0ES3_mPiPS6_N6thrust23THRUST_200600_302600_NS18transform_iteratorIN6dUtils5isOneIiEES9_NSC_11use_defaultESH_EENS0_5tupleIJS9_S6_EEENSJ_IJSA_SA_EEES6_PlJS6_EEE10hipError_tPvRmT3_T4_T5_T6_T7_T9_mT8_P12ihipStream_tbDpT10_ENKUlT_T0_E_clISt17integral_constantIbLb1EES15_IbLb0EEEEDaS11_S12_EUlS11_E_NS1_11comp_targetILNS1_3genE2ELNS1_11target_archE906ELNS1_3gpuE6ELNS1_3repE0EEENS1_30default_config_static_selectorELNS0_4arch9wavefront6targetE1EEEvT1_ ; -- Begin function _ZN7rocprim17ROCPRIM_400000_NS6detail17trampoline_kernelINS0_14default_configENS1_25partition_config_selectorILNS1_17partition_subalgoE5EiNS0_10empty_typeEbEEZZNS1_14partition_implILS5_5ELb0ES3_mPiPS6_N6thrust23THRUST_200600_302600_NS18transform_iteratorIN6dUtils5isOneIiEES9_NSC_11use_defaultESH_EENS0_5tupleIJS9_S6_EEENSJ_IJSA_SA_EEES6_PlJS6_EEE10hipError_tPvRmT3_T4_T5_T6_T7_T9_mT8_P12ihipStream_tbDpT10_ENKUlT_T0_E_clISt17integral_constantIbLb1EES15_IbLb0EEEEDaS11_S12_EUlS11_E_NS1_11comp_targetILNS1_3genE2ELNS1_11target_archE906ELNS1_3gpuE6ELNS1_3repE0EEENS1_30default_config_static_selectorELNS0_4arch9wavefront6targetE1EEEvT1_
	.globl	_ZN7rocprim17ROCPRIM_400000_NS6detail17trampoline_kernelINS0_14default_configENS1_25partition_config_selectorILNS1_17partition_subalgoE5EiNS0_10empty_typeEbEEZZNS1_14partition_implILS5_5ELb0ES3_mPiPS6_N6thrust23THRUST_200600_302600_NS18transform_iteratorIN6dUtils5isOneIiEES9_NSC_11use_defaultESH_EENS0_5tupleIJS9_S6_EEENSJ_IJSA_SA_EEES6_PlJS6_EEE10hipError_tPvRmT3_T4_T5_T6_T7_T9_mT8_P12ihipStream_tbDpT10_ENKUlT_T0_E_clISt17integral_constantIbLb1EES15_IbLb0EEEEDaS11_S12_EUlS11_E_NS1_11comp_targetILNS1_3genE2ELNS1_11target_archE906ELNS1_3gpuE6ELNS1_3repE0EEENS1_30default_config_static_selectorELNS0_4arch9wavefront6targetE1EEEvT1_
	.p2align	8
	.type	_ZN7rocprim17ROCPRIM_400000_NS6detail17trampoline_kernelINS0_14default_configENS1_25partition_config_selectorILNS1_17partition_subalgoE5EiNS0_10empty_typeEbEEZZNS1_14partition_implILS5_5ELb0ES3_mPiPS6_N6thrust23THRUST_200600_302600_NS18transform_iteratorIN6dUtils5isOneIiEES9_NSC_11use_defaultESH_EENS0_5tupleIJS9_S6_EEENSJ_IJSA_SA_EEES6_PlJS6_EEE10hipError_tPvRmT3_T4_T5_T6_T7_T9_mT8_P12ihipStream_tbDpT10_ENKUlT_T0_E_clISt17integral_constantIbLb1EES15_IbLb0EEEEDaS11_S12_EUlS11_E_NS1_11comp_targetILNS1_3genE2ELNS1_11target_archE906ELNS1_3gpuE6ELNS1_3repE0EEENS1_30default_config_static_selectorELNS0_4arch9wavefront6targetE1EEEvT1_,@function
_ZN7rocprim17ROCPRIM_400000_NS6detail17trampoline_kernelINS0_14default_configENS1_25partition_config_selectorILNS1_17partition_subalgoE5EiNS0_10empty_typeEbEEZZNS1_14partition_implILS5_5ELb0ES3_mPiPS6_N6thrust23THRUST_200600_302600_NS18transform_iteratorIN6dUtils5isOneIiEES9_NSC_11use_defaultESH_EENS0_5tupleIJS9_S6_EEENSJ_IJSA_SA_EEES6_PlJS6_EEE10hipError_tPvRmT3_T4_T5_T6_T7_T9_mT8_P12ihipStream_tbDpT10_ENKUlT_T0_E_clISt17integral_constantIbLb1EES15_IbLb0EEEEDaS11_S12_EUlS11_E_NS1_11comp_targetILNS1_3genE2ELNS1_11target_archE906ELNS1_3gpuE6ELNS1_3repE0EEENS1_30default_config_static_selectorELNS0_4arch9wavefront6targetE1EEEvT1_: ; @_ZN7rocprim17ROCPRIM_400000_NS6detail17trampoline_kernelINS0_14default_configENS1_25partition_config_selectorILNS1_17partition_subalgoE5EiNS0_10empty_typeEbEEZZNS1_14partition_implILS5_5ELb0ES3_mPiPS6_N6thrust23THRUST_200600_302600_NS18transform_iteratorIN6dUtils5isOneIiEES9_NSC_11use_defaultESH_EENS0_5tupleIJS9_S6_EEENSJ_IJSA_SA_EEES6_PlJS6_EEE10hipError_tPvRmT3_T4_T5_T6_T7_T9_mT8_P12ihipStream_tbDpT10_ENKUlT_T0_E_clISt17integral_constantIbLb1EES15_IbLb0EEEEDaS11_S12_EUlS11_E_NS1_11comp_targetILNS1_3genE2ELNS1_11target_archE906ELNS1_3gpuE6ELNS1_3repE0EEENS1_30default_config_static_selectorELNS0_4arch9wavefront6targetE1EEEvT1_
; %bb.0:
	.section	.rodata,"a",@progbits
	.p2align	6, 0x0
	.amdhsa_kernel _ZN7rocprim17ROCPRIM_400000_NS6detail17trampoline_kernelINS0_14default_configENS1_25partition_config_selectorILNS1_17partition_subalgoE5EiNS0_10empty_typeEbEEZZNS1_14partition_implILS5_5ELb0ES3_mPiPS6_N6thrust23THRUST_200600_302600_NS18transform_iteratorIN6dUtils5isOneIiEES9_NSC_11use_defaultESH_EENS0_5tupleIJS9_S6_EEENSJ_IJSA_SA_EEES6_PlJS6_EEE10hipError_tPvRmT3_T4_T5_T6_T7_T9_mT8_P12ihipStream_tbDpT10_ENKUlT_T0_E_clISt17integral_constantIbLb1EES15_IbLb0EEEEDaS11_S12_EUlS11_E_NS1_11comp_targetILNS1_3genE2ELNS1_11target_archE906ELNS1_3gpuE6ELNS1_3repE0EEENS1_30default_config_static_selectorELNS0_4arch9wavefront6targetE1EEEvT1_
		.amdhsa_group_segment_fixed_size 0
		.amdhsa_private_segment_fixed_size 0
		.amdhsa_kernarg_size 120
		.amdhsa_user_sgpr_count 6
		.amdhsa_user_sgpr_private_segment_buffer 1
		.amdhsa_user_sgpr_dispatch_ptr 0
		.amdhsa_user_sgpr_queue_ptr 0
		.amdhsa_user_sgpr_kernarg_segment_ptr 1
		.amdhsa_user_sgpr_dispatch_id 0
		.amdhsa_user_sgpr_flat_scratch_init 0
		.amdhsa_user_sgpr_kernarg_preload_length 0
		.amdhsa_user_sgpr_kernarg_preload_offset 0
		.amdhsa_user_sgpr_private_segment_size 0
		.amdhsa_uses_dynamic_stack 0
		.amdhsa_system_sgpr_private_segment_wavefront_offset 0
		.amdhsa_system_sgpr_workgroup_id_x 1
		.amdhsa_system_sgpr_workgroup_id_y 0
		.amdhsa_system_sgpr_workgroup_id_z 0
		.amdhsa_system_sgpr_workgroup_info 0
		.amdhsa_system_vgpr_workitem_id 0
		.amdhsa_next_free_vgpr 1
		.amdhsa_next_free_sgpr 0
		.amdhsa_accum_offset 4
		.amdhsa_reserve_vcc 0
		.amdhsa_reserve_flat_scratch 0
		.amdhsa_float_round_mode_32 0
		.amdhsa_float_round_mode_16_64 0
		.amdhsa_float_denorm_mode_32 3
		.amdhsa_float_denorm_mode_16_64 3
		.amdhsa_dx10_clamp 1
		.amdhsa_ieee_mode 1
		.amdhsa_fp16_overflow 0
		.amdhsa_tg_split 0
		.amdhsa_exception_fp_ieee_invalid_op 0
		.amdhsa_exception_fp_denorm_src 0
		.amdhsa_exception_fp_ieee_div_zero 0
		.amdhsa_exception_fp_ieee_overflow 0
		.amdhsa_exception_fp_ieee_underflow 0
		.amdhsa_exception_fp_ieee_inexact 0
		.amdhsa_exception_int_div_zero 0
	.end_amdhsa_kernel
	.section	.text._ZN7rocprim17ROCPRIM_400000_NS6detail17trampoline_kernelINS0_14default_configENS1_25partition_config_selectorILNS1_17partition_subalgoE5EiNS0_10empty_typeEbEEZZNS1_14partition_implILS5_5ELb0ES3_mPiPS6_N6thrust23THRUST_200600_302600_NS18transform_iteratorIN6dUtils5isOneIiEES9_NSC_11use_defaultESH_EENS0_5tupleIJS9_S6_EEENSJ_IJSA_SA_EEES6_PlJS6_EEE10hipError_tPvRmT3_T4_T5_T6_T7_T9_mT8_P12ihipStream_tbDpT10_ENKUlT_T0_E_clISt17integral_constantIbLb1EES15_IbLb0EEEEDaS11_S12_EUlS11_E_NS1_11comp_targetILNS1_3genE2ELNS1_11target_archE906ELNS1_3gpuE6ELNS1_3repE0EEENS1_30default_config_static_selectorELNS0_4arch9wavefront6targetE1EEEvT1_,"axG",@progbits,_ZN7rocprim17ROCPRIM_400000_NS6detail17trampoline_kernelINS0_14default_configENS1_25partition_config_selectorILNS1_17partition_subalgoE5EiNS0_10empty_typeEbEEZZNS1_14partition_implILS5_5ELb0ES3_mPiPS6_N6thrust23THRUST_200600_302600_NS18transform_iteratorIN6dUtils5isOneIiEES9_NSC_11use_defaultESH_EENS0_5tupleIJS9_S6_EEENSJ_IJSA_SA_EEES6_PlJS6_EEE10hipError_tPvRmT3_T4_T5_T6_T7_T9_mT8_P12ihipStream_tbDpT10_ENKUlT_T0_E_clISt17integral_constantIbLb1EES15_IbLb0EEEEDaS11_S12_EUlS11_E_NS1_11comp_targetILNS1_3genE2ELNS1_11target_archE906ELNS1_3gpuE6ELNS1_3repE0EEENS1_30default_config_static_selectorELNS0_4arch9wavefront6targetE1EEEvT1_,comdat
.Lfunc_end168:
	.size	_ZN7rocprim17ROCPRIM_400000_NS6detail17trampoline_kernelINS0_14default_configENS1_25partition_config_selectorILNS1_17partition_subalgoE5EiNS0_10empty_typeEbEEZZNS1_14partition_implILS5_5ELb0ES3_mPiPS6_N6thrust23THRUST_200600_302600_NS18transform_iteratorIN6dUtils5isOneIiEES9_NSC_11use_defaultESH_EENS0_5tupleIJS9_S6_EEENSJ_IJSA_SA_EEES6_PlJS6_EEE10hipError_tPvRmT3_T4_T5_T6_T7_T9_mT8_P12ihipStream_tbDpT10_ENKUlT_T0_E_clISt17integral_constantIbLb1EES15_IbLb0EEEEDaS11_S12_EUlS11_E_NS1_11comp_targetILNS1_3genE2ELNS1_11target_archE906ELNS1_3gpuE6ELNS1_3repE0EEENS1_30default_config_static_selectorELNS0_4arch9wavefront6targetE1EEEvT1_, .Lfunc_end168-_ZN7rocprim17ROCPRIM_400000_NS6detail17trampoline_kernelINS0_14default_configENS1_25partition_config_selectorILNS1_17partition_subalgoE5EiNS0_10empty_typeEbEEZZNS1_14partition_implILS5_5ELb0ES3_mPiPS6_N6thrust23THRUST_200600_302600_NS18transform_iteratorIN6dUtils5isOneIiEES9_NSC_11use_defaultESH_EENS0_5tupleIJS9_S6_EEENSJ_IJSA_SA_EEES6_PlJS6_EEE10hipError_tPvRmT3_T4_T5_T6_T7_T9_mT8_P12ihipStream_tbDpT10_ENKUlT_T0_E_clISt17integral_constantIbLb1EES15_IbLb0EEEEDaS11_S12_EUlS11_E_NS1_11comp_targetILNS1_3genE2ELNS1_11target_archE906ELNS1_3gpuE6ELNS1_3repE0EEENS1_30default_config_static_selectorELNS0_4arch9wavefront6targetE1EEEvT1_
                                        ; -- End function
	.section	.AMDGPU.csdata,"",@progbits
; Kernel info:
; codeLenInByte = 0
; NumSgprs: 4
; NumVgprs: 0
; NumAgprs: 0
; TotalNumVgprs: 0
; ScratchSize: 0
; MemoryBound: 0
; FloatMode: 240
; IeeeMode: 1
; LDSByteSize: 0 bytes/workgroup (compile time only)
; SGPRBlocks: 0
; VGPRBlocks: 0
; NumSGPRsForWavesPerEU: 4
; NumVGPRsForWavesPerEU: 1
; AccumOffset: 4
; Occupancy: 8
; WaveLimiterHint : 0
; COMPUTE_PGM_RSRC2:SCRATCH_EN: 0
; COMPUTE_PGM_RSRC2:USER_SGPR: 6
; COMPUTE_PGM_RSRC2:TRAP_HANDLER: 0
; COMPUTE_PGM_RSRC2:TGID_X_EN: 1
; COMPUTE_PGM_RSRC2:TGID_Y_EN: 0
; COMPUTE_PGM_RSRC2:TGID_Z_EN: 0
; COMPUTE_PGM_RSRC2:TIDIG_COMP_CNT: 0
; COMPUTE_PGM_RSRC3_GFX90A:ACCUM_OFFSET: 0
; COMPUTE_PGM_RSRC3_GFX90A:TG_SPLIT: 0
	.section	.text._ZN7rocprim17ROCPRIM_400000_NS6detail17trampoline_kernelINS0_14default_configENS1_25partition_config_selectorILNS1_17partition_subalgoE5EiNS0_10empty_typeEbEEZZNS1_14partition_implILS5_5ELb0ES3_mPiPS6_N6thrust23THRUST_200600_302600_NS18transform_iteratorIN6dUtils5isOneIiEES9_NSC_11use_defaultESH_EENS0_5tupleIJS9_S6_EEENSJ_IJSA_SA_EEES6_PlJS6_EEE10hipError_tPvRmT3_T4_T5_T6_T7_T9_mT8_P12ihipStream_tbDpT10_ENKUlT_T0_E_clISt17integral_constantIbLb1EES15_IbLb0EEEEDaS11_S12_EUlS11_E_NS1_11comp_targetILNS1_3genE10ELNS1_11target_archE1200ELNS1_3gpuE4ELNS1_3repE0EEENS1_30default_config_static_selectorELNS0_4arch9wavefront6targetE1EEEvT1_,"axG",@progbits,_ZN7rocprim17ROCPRIM_400000_NS6detail17trampoline_kernelINS0_14default_configENS1_25partition_config_selectorILNS1_17partition_subalgoE5EiNS0_10empty_typeEbEEZZNS1_14partition_implILS5_5ELb0ES3_mPiPS6_N6thrust23THRUST_200600_302600_NS18transform_iteratorIN6dUtils5isOneIiEES9_NSC_11use_defaultESH_EENS0_5tupleIJS9_S6_EEENSJ_IJSA_SA_EEES6_PlJS6_EEE10hipError_tPvRmT3_T4_T5_T6_T7_T9_mT8_P12ihipStream_tbDpT10_ENKUlT_T0_E_clISt17integral_constantIbLb1EES15_IbLb0EEEEDaS11_S12_EUlS11_E_NS1_11comp_targetILNS1_3genE10ELNS1_11target_archE1200ELNS1_3gpuE4ELNS1_3repE0EEENS1_30default_config_static_selectorELNS0_4arch9wavefront6targetE1EEEvT1_,comdat
	.protected	_ZN7rocprim17ROCPRIM_400000_NS6detail17trampoline_kernelINS0_14default_configENS1_25partition_config_selectorILNS1_17partition_subalgoE5EiNS0_10empty_typeEbEEZZNS1_14partition_implILS5_5ELb0ES3_mPiPS6_N6thrust23THRUST_200600_302600_NS18transform_iteratorIN6dUtils5isOneIiEES9_NSC_11use_defaultESH_EENS0_5tupleIJS9_S6_EEENSJ_IJSA_SA_EEES6_PlJS6_EEE10hipError_tPvRmT3_T4_T5_T6_T7_T9_mT8_P12ihipStream_tbDpT10_ENKUlT_T0_E_clISt17integral_constantIbLb1EES15_IbLb0EEEEDaS11_S12_EUlS11_E_NS1_11comp_targetILNS1_3genE10ELNS1_11target_archE1200ELNS1_3gpuE4ELNS1_3repE0EEENS1_30default_config_static_selectorELNS0_4arch9wavefront6targetE1EEEvT1_ ; -- Begin function _ZN7rocprim17ROCPRIM_400000_NS6detail17trampoline_kernelINS0_14default_configENS1_25partition_config_selectorILNS1_17partition_subalgoE5EiNS0_10empty_typeEbEEZZNS1_14partition_implILS5_5ELb0ES3_mPiPS6_N6thrust23THRUST_200600_302600_NS18transform_iteratorIN6dUtils5isOneIiEES9_NSC_11use_defaultESH_EENS0_5tupleIJS9_S6_EEENSJ_IJSA_SA_EEES6_PlJS6_EEE10hipError_tPvRmT3_T4_T5_T6_T7_T9_mT8_P12ihipStream_tbDpT10_ENKUlT_T0_E_clISt17integral_constantIbLb1EES15_IbLb0EEEEDaS11_S12_EUlS11_E_NS1_11comp_targetILNS1_3genE10ELNS1_11target_archE1200ELNS1_3gpuE4ELNS1_3repE0EEENS1_30default_config_static_selectorELNS0_4arch9wavefront6targetE1EEEvT1_
	.globl	_ZN7rocprim17ROCPRIM_400000_NS6detail17trampoline_kernelINS0_14default_configENS1_25partition_config_selectorILNS1_17partition_subalgoE5EiNS0_10empty_typeEbEEZZNS1_14partition_implILS5_5ELb0ES3_mPiPS6_N6thrust23THRUST_200600_302600_NS18transform_iteratorIN6dUtils5isOneIiEES9_NSC_11use_defaultESH_EENS0_5tupleIJS9_S6_EEENSJ_IJSA_SA_EEES6_PlJS6_EEE10hipError_tPvRmT3_T4_T5_T6_T7_T9_mT8_P12ihipStream_tbDpT10_ENKUlT_T0_E_clISt17integral_constantIbLb1EES15_IbLb0EEEEDaS11_S12_EUlS11_E_NS1_11comp_targetILNS1_3genE10ELNS1_11target_archE1200ELNS1_3gpuE4ELNS1_3repE0EEENS1_30default_config_static_selectorELNS0_4arch9wavefront6targetE1EEEvT1_
	.p2align	8
	.type	_ZN7rocprim17ROCPRIM_400000_NS6detail17trampoline_kernelINS0_14default_configENS1_25partition_config_selectorILNS1_17partition_subalgoE5EiNS0_10empty_typeEbEEZZNS1_14partition_implILS5_5ELb0ES3_mPiPS6_N6thrust23THRUST_200600_302600_NS18transform_iteratorIN6dUtils5isOneIiEES9_NSC_11use_defaultESH_EENS0_5tupleIJS9_S6_EEENSJ_IJSA_SA_EEES6_PlJS6_EEE10hipError_tPvRmT3_T4_T5_T6_T7_T9_mT8_P12ihipStream_tbDpT10_ENKUlT_T0_E_clISt17integral_constantIbLb1EES15_IbLb0EEEEDaS11_S12_EUlS11_E_NS1_11comp_targetILNS1_3genE10ELNS1_11target_archE1200ELNS1_3gpuE4ELNS1_3repE0EEENS1_30default_config_static_selectorELNS0_4arch9wavefront6targetE1EEEvT1_,@function
_ZN7rocprim17ROCPRIM_400000_NS6detail17trampoline_kernelINS0_14default_configENS1_25partition_config_selectorILNS1_17partition_subalgoE5EiNS0_10empty_typeEbEEZZNS1_14partition_implILS5_5ELb0ES3_mPiPS6_N6thrust23THRUST_200600_302600_NS18transform_iteratorIN6dUtils5isOneIiEES9_NSC_11use_defaultESH_EENS0_5tupleIJS9_S6_EEENSJ_IJSA_SA_EEES6_PlJS6_EEE10hipError_tPvRmT3_T4_T5_T6_T7_T9_mT8_P12ihipStream_tbDpT10_ENKUlT_T0_E_clISt17integral_constantIbLb1EES15_IbLb0EEEEDaS11_S12_EUlS11_E_NS1_11comp_targetILNS1_3genE10ELNS1_11target_archE1200ELNS1_3gpuE4ELNS1_3repE0EEENS1_30default_config_static_selectorELNS0_4arch9wavefront6targetE1EEEvT1_: ; @_ZN7rocprim17ROCPRIM_400000_NS6detail17trampoline_kernelINS0_14default_configENS1_25partition_config_selectorILNS1_17partition_subalgoE5EiNS0_10empty_typeEbEEZZNS1_14partition_implILS5_5ELb0ES3_mPiPS6_N6thrust23THRUST_200600_302600_NS18transform_iteratorIN6dUtils5isOneIiEES9_NSC_11use_defaultESH_EENS0_5tupleIJS9_S6_EEENSJ_IJSA_SA_EEES6_PlJS6_EEE10hipError_tPvRmT3_T4_T5_T6_T7_T9_mT8_P12ihipStream_tbDpT10_ENKUlT_T0_E_clISt17integral_constantIbLb1EES15_IbLb0EEEEDaS11_S12_EUlS11_E_NS1_11comp_targetILNS1_3genE10ELNS1_11target_archE1200ELNS1_3gpuE4ELNS1_3repE0EEENS1_30default_config_static_selectorELNS0_4arch9wavefront6targetE1EEEvT1_
; %bb.0:
	.section	.rodata,"a",@progbits
	.p2align	6, 0x0
	.amdhsa_kernel _ZN7rocprim17ROCPRIM_400000_NS6detail17trampoline_kernelINS0_14default_configENS1_25partition_config_selectorILNS1_17partition_subalgoE5EiNS0_10empty_typeEbEEZZNS1_14partition_implILS5_5ELb0ES3_mPiPS6_N6thrust23THRUST_200600_302600_NS18transform_iteratorIN6dUtils5isOneIiEES9_NSC_11use_defaultESH_EENS0_5tupleIJS9_S6_EEENSJ_IJSA_SA_EEES6_PlJS6_EEE10hipError_tPvRmT3_T4_T5_T6_T7_T9_mT8_P12ihipStream_tbDpT10_ENKUlT_T0_E_clISt17integral_constantIbLb1EES15_IbLb0EEEEDaS11_S12_EUlS11_E_NS1_11comp_targetILNS1_3genE10ELNS1_11target_archE1200ELNS1_3gpuE4ELNS1_3repE0EEENS1_30default_config_static_selectorELNS0_4arch9wavefront6targetE1EEEvT1_
		.amdhsa_group_segment_fixed_size 0
		.amdhsa_private_segment_fixed_size 0
		.amdhsa_kernarg_size 120
		.amdhsa_user_sgpr_count 6
		.amdhsa_user_sgpr_private_segment_buffer 1
		.amdhsa_user_sgpr_dispatch_ptr 0
		.amdhsa_user_sgpr_queue_ptr 0
		.amdhsa_user_sgpr_kernarg_segment_ptr 1
		.amdhsa_user_sgpr_dispatch_id 0
		.amdhsa_user_sgpr_flat_scratch_init 0
		.amdhsa_user_sgpr_kernarg_preload_length 0
		.amdhsa_user_sgpr_kernarg_preload_offset 0
		.amdhsa_user_sgpr_private_segment_size 0
		.amdhsa_uses_dynamic_stack 0
		.amdhsa_system_sgpr_private_segment_wavefront_offset 0
		.amdhsa_system_sgpr_workgroup_id_x 1
		.amdhsa_system_sgpr_workgroup_id_y 0
		.amdhsa_system_sgpr_workgroup_id_z 0
		.amdhsa_system_sgpr_workgroup_info 0
		.amdhsa_system_vgpr_workitem_id 0
		.amdhsa_next_free_vgpr 1
		.amdhsa_next_free_sgpr 0
		.amdhsa_accum_offset 4
		.amdhsa_reserve_vcc 0
		.amdhsa_reserve_flat_scratch 0
		.amdhsa_float_round_mode_32 0
		.amdhsa_float_round_mode_16_64 0
		.amdhsa_float_denorm_mode_32 3
		.amdhsa_float_denorm_mode_16_64 3
		.amdhsa_dx10_clamp 1
		.amdhsa_ieee_mode 1
		.amdhsa_fp16_overflow 0
		.amdhsa_tg_split 0
		.amdhsa_exception_fp_ieee_invalid_op 0
		.amdhsa_exception_fp_denorm_src 0
		.amdhsa_exception_fp_ieee_div_zero 0
		.amdhsa_exception_fp_ieee_overflow 0
		.amdhsa_exception_fp_ieee_underflow 0
		.amdhsa_exception_fp_ieee_inexact 0
		.amdhsa_exception_int_div_zero 0
	.end_amdhsa_kernel
	.section	.text._ZN7rocprim17ROCPRIM_400000_NS6detail17trampoline_kernelINS0_14default_configENS1_25partition_config_selectorILNS1_17partition_subalgoE5EiNS0_10empty_typeEbEEZZNS1_14partition_implILS5_5ELb0ES3_mPiPS6_N6thrust23THRUST_200600_302600_NS18transform_iteratorIN6dUtils5isOneIiEES9_NSC_11use_defaultESH_EENS0_5tupleIJS9_S6_EEENSJ_IJSA_SA_EEES6_PlJS6_EEE10hipError_tPvRmT3_T4_T5_T6_T7_T9_mT8_P12ihipStream_tbDpT10_ENKUlT_T0_E_clISt17integral_constantIbLb1EES15_IbLb0EEEEDaS11_S12_EUlS11_E_NS1_11comp_targetILNS1_3genE10ELNS1_11target_archE1200ELNS1_3gpuE4ELNS1_3repE0EEENS1_30default_config_static_selectorELNS0_4arch9wavefront6targetE1EEEvT1_,"axG",@progbits,_ZN7rocprim17ROCPRIM_400000_NS6detail17trampoline_kernelINS0_14default_configENS1_25partition_config_selectorILNS1_17partition_subalgoE5EiNS0_10empty_typeEbEEZZNS1_14partition_implILS5_5ELb0ES3_mPiPS6_N6thrust23THRUST_200600_302600_NS18transform_iteratorIN6dUtils5isOneIiEES9_NSC_11use_defaultESH_EENS0_5tupleIJS9_S6_EEENSJ_IJSA_SA_EEES6_PlJS6_EEE10hipError_tPvRmT3_T4_T5_T6_T7_T9_mT8_P12ihipStream_tbDpT10_ENKUlT_T0_E_clISt17integral_constantIbLb1EES15_IbLb0EEEEDaS11_S12_EUlS11_E_NS1_11comp_targetILNS1_3genE10ELNS1_11target_archE1200ELNS1_3gpuE4ELNS1_3repE0EEENS1_30default_config_static_selectorELNS0_4arch9wavefront6targetE1EEEvT1_,comdat
.Lfunc_end169:
	.size	_ZN7rocprim17ROCPRIM_400000_NS6detail17trampoline_kernelINS0_14default_configENS1_25partition_config_selectorILNS1_17partition_subalgoE5EiNS0_10empty_typeEbEEZZNS1_14partition_implILS5_5ELb0ES3_mPiPS6_N6thrust23THRUST_200600_302600_NS18transform_iteratorIN6dUtils5isOneIiEES9_NSC_11use_defaultESH_EENS0_5tupleIJS9_S6_EEENSJ_IJSA_SA_EEES6_PlJS6_EEE10hipError_tPvRmT3_T4_T5_T6_T7_T9_mT8_P12ihipStream_tbDpT10_ENKUlT_T0_E_clISt17integral_constantIbLb1EES15_IbLb0EEEEDaS11_S12_EUlS11_E_NS1_11comp_targetILNS1_3genE10ELNS1_11target_archE1200ELNS1_3gpuE4ELNS1_3repE0EEENS1_30default_config_static_selectorELNS0_4arch9wavefront6targetE1EEEvT1_, .Lfunc_end169-_ZN7rocprim17ROCPRIM_400000_NS6detail17trampoline_kernelINS0_14default_configENS1_25partition_config_selectorILNS1_17partition_subalgoE5EiNS0_10empty_typeEbEEZZNS1_14partition_implILS5_5ELb0ES3_mPiPS6_N6thrust23THRUST_200600_302600_NS18transform_iteratorIN6dUtils5isOneIiEES9_NSC_11use_defaultESH_EENS0_5tupleIJS9_S6_EEENSJ_IJSA_SA_EEES6_PlJS6_EEE10hipError_tPvRmT3_T4_T5_T6_T7_T9_mT8_P12ihipStream_tbDpT10_ENKUlT_T0_E_clISt17integral_constantIbLb1EES15_IbLb0EEEEDaS11_S12_EUlS11_E_NS1_11comp_targetILNS1_3genE10ELNS1_11target_archE1200ELNS1_3gpuE4ELNS1_3repE0EEENS1_30default_config_static_selectorELNS0_4arch9wavefront6targetE1EEEvT1_
                                        ; -- End function
	.section	.AMDGPU.csdata,"",@progbits
; Kernel info:
; codeLenInByte = 0
; NumSgprs: 4
; NumVgprs: 0
; NumAgprs: 0
; TotalNumVgprs: 0
; ScratchSize: 0
; MemoryBound: 0
; FloatMode: 240
; IeeeMode: 1
; LDSByteSize: 0 bytes/workgroup (compile time only)
; SGPRBlocks: 0
; VGPRBlocks: 0
; NumSGPRsForWavesPerEU: 4
; NumVGPRsForWavesPerEU: 1
; AccumOffset: 4
; Occupancy: 8
; WaveLimiterHint : 0
; COMPUTE_PGM_RSRC2:SCRATCH_EN: 0
; COMPUTE_PGM_RSRC2:USER_SGPR: 6
; COMPUTE_PGM_RSRC2:TRAP_HANDLER: 0
; COMPUTE_PGM_RSRC2:TGID_X_EN: 1
; COMPUTE_PGM_RSRC2:TGID_Y_EN: 0
; COMPUTE_PGM_RSRC2:TGID_Z_EN: 0
; COMPUTE_PGM_RSRC2:TIDIG_COMP_CNT: 0
; COMPUTE_PGM_RSRC3_GFX90A:ACCUM_OFFSET: 0
; COMPUTE_PGM_RSRC3_GFX90A:TG_SPLIT: 0
	.section	.text._ZN7rocprim17ROCPRIM_400000_NS6detail17trampoline_kernelINS0_14default_configENS1_25partition_config_selectorILNS1_17partition_subalgoE5EiNS0_10empty_typeEbEEZZNS1_14partition_implILS5_5ELb0ES3_mPiPS6_N6thrust23THRUST_200600_302600_NS18transform_iteratorIN6dUtils5isOneIiEES9_NSC_11use_defaultESH_EENS0_5tupleIJS9_S6_EEENSJ_IJSA_SA_EEES6_PlJS6_EEE10hipError_tPvRmT3_T4_T5_T6_T7_T9_mT8_P12ihipStream_tbDpT10_ENKUlT_T0_E_clISt17integral_constantIbLb1EES15_IbLb0EEEEDaS11_S12_EUlS11_E_NS1_11comp_targetILNS1_3genE9ELNS1_11target_archE1100ELNS1_3gpuE3ELNS1_3repE0EEENS1_30default_config_static_selectorELNS0_4arch9wavefront6targetE1EEEvT1_,"axG",@progbits,_ZN7rocprim17ROCPRIM_400000_NS6detail17trampoline_kernelINS0_14default_configENS1_25partition_config_selectorILNS1_17partition_subalgoE5EiNS0_10empty_typeEbEEZZNS1_14partition_implILS5_5ELb0ES3_mPiPS6_N6thrust23THRUST_200600_302600_NS18transform_iteratorIN6dUtils5isOneIiEES9_NSC_11use_defaultESH_EENS0_5tupleIJS9_S6_EEENSJ_IJSA_SA_EEES6_PlJS6_EEE10hipError_tPvRmT3_T4_T5_T6_T7_T9_mT8_P12ihipStream_tbDpT10_ENKUlT_T0_E_clISt17integral_constantIbLb1EES15_IbLb0EEEEDaS11_S12_EUlS11_E_NS1_11comp_targetILNS1_3genE9ELNS1_11target_archE1100ELNS1_3gpuE3ELNS1_3repE0EEENS1_30default_config_static_selectorELNS0_4arch9wavefront6targetE1EEEvT1_,comdat
	.protected	_ZN7rocprim17ROCPRIM_400000_NS6detail17trampoline_kernelINS0_14default_configENS1_25partition_config_selectorILNS1_17partition_subalgoE5EiNS0_10empty_typeEbEEZZNS1_14partition_implILS5_5ELb0ES3_mPiPS6_N6thrust23THRUST_200600_302600_NS18transform_iteratorIN6dUtils5isOneIiEES9_NSC_11use_defaultESH_EENS0_5tupleIJS9_S6_EEENSJ_IJSA_SA_EEES6_PlJS6_EEE10hipError_tPvRmT3_T4_T5_T6_T7_T9_mT8_P12ihipStream_tbDpT10_ENKUlT_T0_E_clISt17integral_constantIbLb1EES15_IbLb0EEEEDaS11_S12_EUlS11_E_NS1_11comp_targetILNS1_3genE9ELNS1_11target_archE1100ELNS1_3gpuE3ELNS1_3repE0EEENS1_30default_config_static_selectorELNS0_4arch9wavefront6targetE1EEEvT1_ ; -- Begin function _ZN7rocprim17ROCPRIM_400000_NS6detail17trampoline_kernelINS0_14default_configENS1_25partition_config_selectorILNS1_17partition_subalgoE5EiNS0_10empty_typeEbEEZZNS1_14partition_implILS5_5ELb0ES3_mPiPS6_N6thrust23THRUST_200600_302600_NS18transform_iteratorIN6dUtils5isOneIiEES9_NSC_11use_defaultESH_EENS0_5tupleIJS9_S6_EEENSJ_IJSA_SA_EEES6_PlJS6_EEE10hipError_tPvRmT3_T4_T5_T6_T7_T9_mT8_P12ihipStream_tbDpT10_ENKUlT_T0_E_clISt17integral_constantIbLb1EES15_IbLb0EEEEDaS11_S12_EUlS11_E_NS1_11comp_targetILNS1_3genE9ELNS1_11target_archE1100ELNS1_3gpuE3ELNS1_3repE0EEENS1_30default_config_static_selectorELNS0_4arch9wavefront6targetE1EEEvT1_
	.globl	_ZN7rocprim17ROCPRIM_400000_NS6detail17trampoline_kernelINS0_14default_configENS1_25partition_config_selectorILNS1_17partition_subalgoE5EiNS0_10empty_typeEbEEZZNS1_14partition_implILS5_5ELb0ES3_mPiPS6_N6thrust23THRUST_200600_302600_NS18transform_iteratorIN6dUtils5isOneIiEES9_NSC_11use_defaultESH_EENS0_5tupleIJS9_S6_EEENSJ_IJSA_SA_EEES6_PlJS6_EEE10hipError_tPvRmT3_T4_T5_T6_T7_T9_mT8_P12ihipStream_tbDpT10_ENKUlT_T0_E_clISt17integral_constantIbLb1EES15_IbLb0EEEEDaS11_S12_EUlS11_E_NS1_11comp_targetILNS1_3genE9ELNS1_11target_archE1100ELNS1_3gpuE3ELNS1_3repE0EEENS1_30default_config_static_selectorELNS0_4arch9wavefront6targetE1EEEvT1_
	.p2align	8
	.type	_ZN7rocprim17ROCPRIM_400000_NS6detail17trampoline_kernelINS0_14default_configENS1_25partition_config_selectorILNS1_17partition_subalgoE5EiNS0_10empty_typeEbEEZZNS1_14partition_implILS5_5ELb0ES3_mPiPS6_N6thrust23THRUST_200600_302600_NS18transform_iteratorIN6dUtils5isOneIiEES9_NSC_11use_defaultESH_EENS0_5tupleIJS9_S6_EEENSJ_IJSA_SA_EEES6_PlJS6_EEE10hipError_tPvRmT3_T4_T5_T6_T7_T9_mT8_P12ihipStream_tbDpT10_ENKUlT_T0_E_clISt17integral_constantIbLb1EES15_IbLb0EEEEDaS11_S12_EUlS11_E_NS1_11comp_targetILNS1_3genE9ELNS1_11target_archE1100ELNS1_3gpuE3ELNS1_3repE0EEENS1_30default_config_static_selectorELNS0_4arch9wavefront6targetE1EEEvT1_,@function
_ZN7rocprim17ROCPRIM_400000_NS6detail17trampoline_kernelINS0_14default_configENS1_25partition_config_selectorILNS1_17partition_subalgoE5EiNS0_10empty_typeEbEEZZNS1_14partition_implILS5_5ELb0ES3_mPiPS6_N6thrust23THRUST_200600_302600_NS18transform_iteratorIN6dUtils5isOneIiEES9_NSC_11use_defaultESH_EENS0_5tupleIJS9_S6_EEENSJ_IJSA_SA_EEES6_PlJS6_EEE10hipError_tPvRmT3_T4_T5_T6_T7_T9_mT8_P12ihipStream_tbDpT10_ENKUlT_T0_E_clISt17integral_constantIbLb1EES15_IbLb0EEEEDaS11_S12_EUlS11_E_NS1_11comp_targetILNS1_3genE9ELNS1_11target_archE1100ELNS1_3gpuE3ELNS1_3repE0EEENS1_30default_config_static_selectorELNS0_4arch9wavefront6targetE1EEEvT1_: ; @_ZN7rocprim17ROCPRIM_400000_NS6detail17trampoline_kernelINS0_14default_configENS1_25partition_config_selectorILNS1_17partition_subalgoE5EiNS0_10empty_typeEbEEZZNS1_14partition_implILS5_5ELb0ES3_mPiPS6_N6thrust23THRUST_200600_302600_NS18transform_iteratorIN6dUtils5isOneIiEES9_NSC_11use_defaultESH_EENS0_5tupleIJS9_S6_EEENSJ_IJSA_SA_EEES6_PlJS6_EEE10hipError_tPvRmT3_T4_T5_T6_T7_T9_mT8_P12ihipStream_tbDpT10_ENKUlT_T0_E_clISt17integral_constantIbLb1EES15_IbLb0EEEEDaS11_S12_EUlS11_E_NS1_11comp_targetILNS1_3genE9ELNS1_11target_archE1100ELNS1_3gpuE3ELNS1_3repE0EEENS1_30default_config_static_selectorELNS0_4arch9wavefront6targetE1EEEvT1_
; %bb.0:
	.section	.rodata,"a",@progbits
	.p2align	6, 0x0
	.amdhsa_kernel _ZN7rocprim17ROCPRIM_400000_NS6detail17trampoline_kernelINS0_14default_configENS1_25partition_config_selectorILNS1_17partition_subalgoE5EiNS0_10empty_typeEbEEZZNS1_14partition_implILS5_5ELb0ES3_mPiPS6_N6thrust23THRUST_200600_302600_NS18transform_iteratorIN6dUtils5isOneIiEES9_NSC_11use_defaultESH_EENS0_5tupleIJS9_S6_EEENSJ_IJSA_SA_EEES6_PlJS6_EEE10hipError_tPvRmT3_T4_T5_T6_T7_T9_mT8_P12ihipStream_tbDpT10_ENKUlT_T0_E_clISt17integral_constantIbLb1EES15_IbLb0EEEEDaS11_S12_EUlS11_E_NS1_11comp_targetILNS1_3genE9ELNS1_11target_archE1100ELNS1_3gpuE3ELNS1_3repE0EEENS1_30default_config_static_selectorELNS0_4arch9wavefront6targetE1EEEvT1_
		.amdhsa_group_segment_fixed_size 0
		.amdhsa_private_segment_fixed_size 0
		.amdhsa_kernarg_size 120
		.amdhsa_user_sgpr_count 6
		.amdhsa_user_sgpr_private_segment_buffer 1
		.amdhsa_user_sgpr_dispatch_ptr 0
		.amdhsa_user_sgpr_queue_ptr 0
		.amdhsa_user_sgpr_kernarg_segment_ptr 1
		.amdhsa_user_sgpr_dispatch_id 0
		.amdhsa_user_sgpr_flat_scratch_init 0
		.amdhsa_user_sgpr_kernarg_preload_length 0
		.amdhsa_user_sgpr_kernarg_preload_offset 0
		.amdhsa_user_sgpr_private_segment_size 0
		.amdhsa_uses_dynamic_stack 0
		.amdhsa_system_sgpr_private_segment_wavefront_offset 0
		.amdhsa_system_sgpr_workgroup_id_x 1
		.amdhsa_system_sgpr_workgroup_id_y 0
		.amdhsa_system_sgpr_workgroup_id_z 0
		.amdhsa_system_sgpr_workgroup_info 0
		.amdhsa_system_vgpr_workitem_id 0
		.amdhsa_next_free_vgpr 1
		.amdhsa_next_free_sgpr 0
		.amdhsa_accum_offset 4
		.amdhsa_reserve_vcc 0
		.amdhsa_reserve_flat_scratch 0
		.amdhsa_float_round_mode_32 0
		.amdhsa_float_round_mode_16_64 0
		.amdhsa_float_denorm_mode_32 3
		.amdhsa_float_denorm_mode_16_64 3
		.amdhsa_dx10_clamp 1
		.amdhsa_ieee_mode 1
		.amdhsa_fp16_overflow 0
		.amdhsa_tg_split 0
		.amdhsa_exception_fp_ieee_invalid_op 0
		.amdhsa_exception_fp_denorm_src 0
		.amdhsa_exception_fp_ieee_div_zero 0
		.amdhsa_exception_fp_ieee_overflow 0
		.amdhsa_exception_fp_ieee_underflow 0
		.amdhsa_exception_fp_ieee_inexact 0
		.amdhsa_exception_int_div_zero 0
	.end_amdhsa_kernel
	.section	.text._ZN7rocprim17ROCPRIM_400000_NS6detail17trampoline_kernelINS0_14default_configENS1_25partition_config_selectorILNS1_17partition_subalgoE5EiNS0_10empty_typeEbEEZZNS1_14partition_implILS5_5ELb0ES3_mPiPS6_N6thrust23THRUST_200600_302600_NS18transform_iteratorIN6dUtils5isOneIiEES9_NSC_11use_defaultESH_EENS0_5tupleIJS9_S6_EEENSJ_IJSA_SA_EEES6_PlJS6_EEE10hipError_tPvRmT3_T4_T5_T6_T7_T9_mT8_P12ihipStream_tbDpT10_ENKUlT_T0_E_clISt17integral_constantIbLb1EES15_IbLb0EEEEDaS11_S12_EUlS11_E_NS1_11comp_targetILNS1_3genE9ELNS1_11target_archE1100ELNS1_3gpuE3ELNS1_3repE0EEENS1_30default_config_static_selectorELNS0_4arch9wavefront6targetE1EEEvT1_,"axG",@progbits,_ZN7rocprim17ROCPRIM_400000_NS6detail17trampoline_kernelINS0_14default_configENS1_25partition_config_selectorILNS1_17partition_subalgoE5EiNS0_10empty_typeEbEEZZNS1_14partition_implILS5_5ELb0ES3_mPiPS6_N6thrust23THRUST_200600_302600_NS18transform_iteratorIN6dUtils5isOneIiEES9_NSC_11use_defaultESH_EENS0_5tupleIJS9_S6_EEENSJ_IJSA_SA_EEES6_PlJS6_EEE10hipError_tPvRmT3_T4_T5_T6_T7_T9_mT8_P12ihipStream_tbDpT10_ENKUlT_T0_E_clISt17integral_constantIbLb1EES15_IbLb0EEEEDaS11_S12_EUlS11_E_NS1_11comp_targetILNS1_3genE9ELNS1_11target_archE1100ELNS1_3gpuE3ELNS1_3repE0EEENS1_30default_config_static_selectorELNS0_4arch9wavefront6targetE1EEEvT1_,comdat
.Lfunc_end170:
	.size	_ZN7rocprim17ROCPRIM_400000_NS6detail17trampoline_kernelINS0_14default_configENS1_25partition_config_selectorILNS1_17partition_subalgoE5EiNS0_10empty_typeEbEEZZNS1_14partition_implILS5_5ELb0ES3_mPiPS6_N6thrust23THRUST_200600_302600_NS18transform_iteratorIN6dUtils5isOneIiEES9_NSC_11use_defaultESH_EENS0_5tupleIJS9_S6_EEENSJ_IJSA_SA_EEES6_PlJS6_EEE10hipError_tPvRmT3_T4_T5_T6_T7_T9_mT8_P12ihipStream_tbDpT10_ENKUlT_T0_E_clISt17integral_constantIbLb1EES15_IbLb0EEEEDaS11_S12_EUlS11_E_NS1_11comp_targetILNS1_3genE9ELNS1_11target_archE1100ELNS1_3gpuE3ELNS1_3repE0EEENS1_30default_config_static_selectorELNS0_4arch9wavefront6targetE1EEEvT1_, .Lfunc_end170-_ZN7rocprim17ROCPRIM_400000_NS6detail17trampoline_kernelINS0_14default_configENS1_25partition_config_selectorILNS1_17partition_subalgoE5EiNS0_10empty_typeEbEEZZNS1_14partition_implILS5_5ELb0ES3_mPiPS6_N6thrust23THRUST_200600_302600_NS18transform_iteratorIN6dUtils5isOneIiEES9_NSC_11use_defaultESH_EENS0_5tupleIJS9_S6_EEENSJ_IJSA_SA_EEES6_PlJS6_EEE10hipError_tPvRmT3_T4_T5_T6_T7_T9_mT8_P12ihipStream_tbDpT10_ENKUlT_T0_E_clISt17integral_constantIbLb1EES15_IbLb0EEEEDaS11_S12_EUlS11_E_NS1_11comp_targetILNS1_3genE9ELNS1_11target_archE1100ELNS1_3gpuE3ELNS1_3repE0EEENS1_30default_config_static_selectorELNS0_4arch9wavefront6targetE1EEEvT1_
                                        ; -- End function
	.section	.AMDGPU.csdata,"",@progbits
; Kernel info:
; codeLenInByte = 0
; NumSgprs: 4
; NumVgprs: 0
; NumAgprs: 0
; TotalNumVgprs: 0
; ScratchSize: 0
; MemoryBound: 0
; FloatMode: 240
; IeeeMode: 1
; LDSByteSize: 0 bytes/workgroup (compile time only)
; SGPRBlocks: 0
; VGPRBlocks: 0
; NumSGPRsForWavesPerEU: 4
; NumVGPRsForWavesPerEU: 1
; AccumOffset: 4
; Occupancy: 8
; WaveLimiterHint : 0
; COMPUTE_PGM_RSRC2:SCRATCH_EN: 0
; COMPUTE_PGM_RSRC2:USER_SGPR: 6
; COMPUTE_PGM_RSRC2:TRAP_HANDLER: 0
; COMPUTE_PGM_RSRC2:TGID_X_EN: 1
; COMPUTE_PGM_RSRC2:TGID_Y_EN: 0
; COMPUTE_PGM_RSRC2:TGID_Z_EN: 0
; COMPUTE_PGM_RSRC2:TIDIG_COMP_CNT: 0
; COMPUTE_PGM_RSRC3_GFX90A:ACCUM_OFFSET: 0
; COMPUTE_PGM_RSRC3_GFX90A:TG_SPLIT: 0
	.section	.text._ZN7rocprim17ROCPRIM_400000_NS6detail17trampoline_kernelINS0_14default_configENS1_25partition_config_selectorILNS1_17partition_subalgoE5EiNS0_10empty_typeEbEEZZNS1_14partition_implILS5_5ELb0ES3_mPiPS6_N6thrust23THRUST_200600_302600_NS18transform_iteratorIN6dUtils5isOneIiEES9_NSC_11use_defaultESH_EENS0_5tupleIJS9_S6_EEENSJ_IJSA_SA_EEES6_PlJS6_EEE10hipError_tPvRmT3_T4_T5_T6_T7_T9_mT8_P12ihipStream_tbDpT10_ENKUlT_T0_E_clISt17integral_constantIbLb1EES15_IbLb0EEEEDaS11_S12_EUlS11_E_NS1_11comp_targetILNS1_3genE8ELNS1_11target_archE1030ELNS1_3gpuE2ELNS1_3repE0EEENS1_30default_config_static_selectorELNS0_4arch9wavefront6targetE1EEEvT1_,"axG",@progbits,_ZN7rocprim17ROCPRIM_400000_NS6detail17trampoline_kernelINS0_14default_configENS1_25partition_config_selectorILNS1_17partition_subalgoE5EiNS0_10empty_typeEbEEZZNS1_14partition_implILS5_5ELb0ES3_mPiPS6_N6thrust23THRUST_200600_302600_NS18transform_iteratorIN6dUtils5isOneIiEES9_NSC_11use_defaultESH_EENS0_5tupleIJS9_S6_EEENSJ_IJSA_SA_EEES6_PlJS6_EEE10hipError_tPvRmT3_T4_T5_T6_T7_T9_mT8_P12ihipStream_tbDpT10_ENKUlT_T0_E_clISt17integral_constantIbLb1EES15_IbLb0EEEEDaS11_S12_EUlS11_E_NS1_11comp_targetILNS1_3genE8ELNS1_11target_archE1030ELNS1_3gpuE2ELNS1_3repE0EEENS1_30default_config_static_selectorELNS0_4arch9wavefront6targetE1EEEvT1_,comdat
	.protected	_ZN7rocprim17ROCPRIM_400000_NS6detail17trampoline_kernelINS0_14default_configENS1_25partition_config_selectorILNS1_17partition_subalgoE5EiNS0_10empty_typeEbEEZZNS1_14partition_implILS5_5ELb0ES3_mPiPS6_N6thrust23THRUST_200600_302600_NS18transform_iteratorIN6dUtils5isOneIiEES9_NSC_11use_defaultESH_EENS0_5tupleIJS9_S6_EEENSJ_IJSA_SA_EEES6_PlJS6_EEE10hipError_tPvRmT3_T4_T5_T6_T7_T9_mT8_P12ihipStream_tbDpT10_ENKUlT_T0_E_clISt17integral_constantIbLb1EES15_IbLb0EEEEDaS11_S12_EUlS11_E_NS1_11comp_targetILNS1_3genE8ELNS1_11target_archE1030ELNS1_3gpuE2ELNS1_3repE0EEENS1_30default_config_static_selectorELNS0_4arch9wavefront6targetE1EEEvT1_ ; -- Begin function _ZN7rocprim17ROCPRIM_400000_NS6detail17trampoline_kernelINS0_14default_configENS1_25partition_config_selectorILNS1_17partition_subalgoE5EiNS0_10empty_typeEbEEZZNS1_14partition_implILS5_5ELb0ES3_mPiPS6_N6thrust23THRUST_200600_302600_NS18transform_iteratorIN6dUtils5isOneIiEES9_NSC_11use_defaultESH_EENS0_5tupleIJS9_S6_EEENSJ_IJSA_SA_EEES6_PlJS6_EEE10hipError_tPvRmT3_T4_T5_T6_T7_T9_mT8_P12ihipStream_tbDpT10_ENKUlT_T0_E_clISt17integral_constantIbLb1EES15_IbLb0EEEEDaS11_S12_EUlS11_E_NS1_11comp_targetILNS1_3genE8ELNS1_11target_archE1030ELNS1_3gpuE2ELNS1_3repE0EEENS1_30default_config_static_selectorELNS0_4arch9wavefront6targetE1EEEvT1_
	.globl	_ZN7rocprim17ROCPRIM_400000_NS6detail17trampoline_kernelINS0_14default_configENS1_25partition_config_selectorILNS1_17partition_subalgoE5EiNS0_10empty_typeEbEEZZNS1_14partition_implILS5_5ELb0ES3_mPiPS6_N6thrust23THRUST_200600_302600_NS18transform_iteratorIN6dUtils5isOneIiEES9_NSC_11use_defaultESH_EENS0_5tupleIJS9_S6_EEENSJ_IJSA_SA_EEES6_PlJS6_EEE10hipError_tPvRmT3_T4_T5_T6_T7_T9_mT8_P12ihipStream_tbDpT10_ENKUlT_T0_E_clISt17integral_constantIbLb1EES15_IbLb0EEEEDaS11_S12_EUlS11_E_NS1_11comp_targetILNS1_3genE8ELNS1_11target_archE1030ELNS1_3gpuE2ELNS1_3repE0EEENS1_30default_config_static_selectorELNS0_4arch9wavefront6targetE1EEEvT1_
	.p2align	8
	.type	_ZN7rocprim17ROCPRIM_400000_NS6detail17trampoline_kernelINS0_14default_configENS1_25partition_config_selectorILNS1_17partition_subalgoE5EiNS0_10empty_typeEbEEZZNS1_14partition_implILS5_5ELb0ES3_mPiPS6_N6thrust23THRUST_200600_302600_NS18transform_iteratorIN6dUtils5isOneIiEES9_NSC_11use_defaultESH_EENS0_5tupleIJS9_S6_EEENSJ_IJSA_SA_EEES6_PlJS6_EEE10hipError_tPvRmT3_T4_T5_T6_T7_T9_mT8_P12ihipStream_tbDpT10_ENKUlT_T0_E_clISt17integral_constantIbLb1EES15_IbLb0EEEEDaS11_S12_EUlS11_E_NS1_11comp_targetILNS1_3genE8ELNS1_11target_archE1030ELNS1_3gpuE2ELNS1_3repE0EEENS1_30default_config_static_selectorELNS0_4arch9wavefront6targetE1EEEvT1_,@function
_ZN7rocprim17ROCPRIM_400000_NS6detail17trampoline_kernelINS0_14default_configENS1_25partition_config_selectorILNS1_17partition_subalgoE5EiNS0_10empty_typeEbEEZZNS1_14partition_implILS5_5ELb0ES3_mPiPS6_N6thrust23THRUST_200600_302600_NS18transform_iteratorIN6dUtils5isOneIiEES9_NSC_11use_defaultESH_EENS0_5tupleIJS9_S6_EEENSJ_IJSA_SA_EEES6_PlJS6_EEE10hipError_tPvRmT3_T4_T5_T6_T7_T9_mT8_P12ihipStream_tbDpT10_ENKUlT_T0_E_clISt17integral_constantIbLb1EES15_IbLb0EEEEDaS11_S12_EUlS11_E_NS1_11comp_targetILNS1_3genE8ELNS1_11target_archE1030ELNS1_3gpuE2ELNS1_3repE0EEENS1_30default_config_static_selectorELNS0_4arch9wavefront6targetE1EEEvT1_: ; @_ZN7rocprim17ROCPRIM_400000_NS6detail17trampoline_kernelINS0_14default_configENS1_25partition_config_selectorILNS1_17partition_subalgoE5EiNS0_10empty_typeEbEEZZNS1_14partition_implILS5_5ELb0ES3_mPiPS6_N6thrust23THRUST_200600_302600_NS18transform_iteratorIN6dUtils5isOneIiEES9_NSC_11use_defaultESH_EENS0_5tupleIJS9_S6_EEENSJ_IJSA_SA_EEES6_PlJS6_EEE10hipError_tPvRmT3_T4_T5_T6_T7_T9_mT8_P12ihipStream_tbDpT10_ENKUlT_T0_E_clISt17integral_constantIbLb1EES15_IbLb0EEEEDaS11_S12_EUlS11_E_NS1_11comp_targetILNS1_3genE8ELNS1_11target_archE1030ELNS1_3gpuE2ELNS1_3repE0EEENS1_30default_config_static_selectorELNS0_4arch9wavefront6targetE1EEEvT1_
; %bb.0:
	.section	.rodata,"a",@progbits
	.p2align	6, 0x0
	.amdhsa_kernel _ZN7rocprim17ROCPRIM_400000_NS6detail17trampoline_kernelINS0_14default_configENS1_25partition_config_selectorILNS1_17partition_subalgoE5EiNS0_10empty_typeEbEEZZNS1_14partition_implILS5_5ELb0ES3_mPiPS6_N6thrust23THRUST_200600_302600_NS18transform_iteratorIN6dUtils5isOneIiEES9_NSC_11use_defaultESH_EENS0_5tupleIJS9_S6_EEENSJ_IJSA_SA_EEES6_PlJS6_EEE10hipError_tPvRmT3_T4_T5_T6_T7_T9_mT8_P12ihipStream_tbDpT10_ENKUlT_T0_E_clISt17integral_constantIbLb1EES15_IbLb0EEEEDaS11_S12_EUlS11_E_NS1_11comp_targetILNS1_3genE8ELNS1_11target_archE1030ELNS1_3gpuE2ELNS1_3repE0EEENS1_30default_config_static_selectorELNS0_4arch9wavefront6targetE1EEEvT1_
		.amdhsa_group_segment_fixed_size 0
		.amdhsa_private_segment_fixed_size 0
		.amdhsa_kernarg_size 120
		.amdhsa_user_sgpr_count 6
		.amdhsa_user_sgpr_private_segment_buffer 1
		.amdhsa_user_sgpr_dispatch_ptr 0
		.amdhsa_user_sgpr_queue_ptr 0
		.amdhsa_user_sgpr_kernarg_segment_ptr 1
		.amdhsa_user_sgpr_dispatch_id 0
		.amdhsa_user_sgpr_flat_scratch_init 0
		.amdhsa_user_sgpr_kernarg_preload_length 0
		.amdhsa_user_sgpr_kernarg_preload_offset 0
		.amdhsa_user_sgpr_private_segment_size 0
		.amdhsa_uses_dynamic_stack 0
		.amdhsa_system_sgpr_private_segment_wavefront_offset 0
		.amdhsa_system_sgpr_workgroup_id_x 1
		.amdhsa_system_sgpr_workgroup_id_y 0
		.amdhsa_system_sgpr_workgroup_id_z 0
		.amdhsa_system_sgpr_workgroup_info 0
		.amdhsa_system_vgpr_workitem_id 0
		.amdhsa_next_free_vgpr 1
		.amdhsa_next_free_sgpr 0
		.amdhsa_accum_offset 4
		.amdhsa_reserve_vcc 0
		.amdhsa_reserve_flat_scratch 0
		.amdhsa_float_round_mode_32 0
		.amdhsa_float_round_mode_16_64 0
		.amdhsa_float_denorm_mode_32 3
		.amdhsa_float_denorm_mode_16_64 3
		.amdhsa_dx10_clamp 1
		.amdhsa_ieee_mode 1
		.amdhsa_fp16_overflow 0
		.amdhsa_tg_split 0
		.amdhsa_exception_fp_ieee_invalid_op 0
		.amdhsa_exception_fp_denorm_src 0
		.amdhsa_exception_fp_ieee_div_zero 0
		.amdhsa_exception_fp_ieee_overflow 0
		.amdhsa_exception_fp_ieee_underflow 0
		.amdhsa_exception_fp_ieee_inexact 0
		.amdhsa_exception_int_div_zero 0
	.end_amdhsa_kernel
	.section	.text._ZN7rocprim17ROCPRIM_400000_NS6detail17trampoline_kernelINS0_14default_configENS1_25partition_config_selectorILNS1_17partition_subalgoE5EiNS0_10empty_typeEbEEZZNS1_14partition_implILS5_5ELb0ES3_mPiPS6_N6thrust23THRUST_200600_302600_NS18transform_iteratorIN6dUtils5isOneIiEES9_NSC_11use_defaultESH_EENS0_5tupleIJS9_S6_EEENSJ_IJSA_SA_EEES6_PlJS6_EEE10hipError_tPvRmT3_T4_T5_T6_T7_T9_mT8_P12ihipStream_tbDpT10_ENKUlT_T0_E_clISt17integral_constantIbLb1EES15_IbLb0EEEEDaS11_S12_EUlS11_E_NS1_11comp_targetILNS1_3genE8ELNS1_11target_archE1030ELNS1_3gpuE2ELNS1_3repE0EEENS1_30default_config_static_selectorELNS0_4arch9wavefront6targetE1EEEvT1_,"axG",@progbits,_ZN7rocprim17ROCPRIM_400000_NS6detail17trampoline_kernelINS0_14default_configENS1_25partition_config_selectorILNS1_17partition_subalgoE5EiNS0_10empty_typeEbEEZZNS1_14partition_implILS5_5ELb0ES3_mPiPS6_N6thrust23THRUST_200600_302600_NS18transform_iteratorIN6dUtils5isOneIiEES9_NSC_11use_defaultESH_EENS0_5tupleIJS9_S6_EEENSJ_IJSA_SA_EEES6_PlJS6_EEE10hipError_tPvRmT3_T4_T5_T6_T7_T9_mT8_P12ihipStream_tbDpT10_ENKUlT_T0_E_clISt17integral_constantIbLb1EES15_IbLb0EEEEDaS11_S12_EUlS11_E_NS1_11comp_targetILNS1_3genE8ELNS1_11target_archE1030ELNS1_3gpuE2ELNS1_3repE0EEENS1_30default_config_static_selectorELNS0_4arch9wavefront6targetE1EEEvT1_,comdat
.Lfunc_end171:
	.size	_ZN7rocprim17ROCPRIM_400000_NS6detail17trampoline_kernelINS0_14default_configENS1_25partition_config_selectorILNS1_17partition_subalgoE5EiNS0_10empty_typeEbEEZZNS1_14partition_implILS5_5ELb0ES3_mPiPS6_N6thrust23THRUST_200600_302600_NS18transform_iteratorIN6dUtils5isOneIiEES9_NSC_11use_defaultESH_EENS0_5tupleIJS9_S6_EEENSJ_IJSA_SA_EEES6_PlJS6_EEE10hipError_tPvRmT3_T4_T5_T6_T7_T9_mT8_P12ihipStream_tbDpT10_ENKUlT_T0_E_clISt17integral_constantIbLb1EES15_IbLb0EEEEDaS11_S12_EUlS11_E_NS1_11comp_targetILNS1_3genE8ELNS1_11target_archE1030ELNS1_3gpuE2ELNS1_3repE0EEENS1_30default_config_static_selectorELNS0_4arch9wavefront6targetE1EEEvT1_, .Lfunc_end171-_ZN7rocprim17ROCPRIM_400000_NS6detail17trampoline_kernelINS0_14default_configENS1_25partition_config_selectorILNS1_17partition_subalgoE5EiNS0_10empty_typeEbEEZZNS1_14partition_implILS5_5ELb0ES3_mPiPS6_N6thrust23THRUST_200600_302600_NS18transform_iteratorIN6dUtils5isOneIiEES9_NSC_11use_defaultESH_EENS0_5tupleIJS9_S6_EEENSJ_IJSA_SA_EEES6_PlJS6_EEE10hipError_tPvRmT3_T4_T5_T6_T7_T9_mT8_P12ihipStream_tbDpT10_ENKUlT_T0_E_clISt17integral_constantIbLb1EES15_IbLb0EEEEDaS11_S12_EUlS11_E_NS1_11comp_targetILNS1_3genE8ELNS1_11target_archE1030ELNS1_3gpuE2ELNS1_3repE0EEENS1_30default_config_static_selectorELNS0_4arch9wavefront6targetE1EEEvT1_
                                        ; -- End function
	.section	.AMDGPU.csdata,"",@progbits
; Kernel info:
; codeLenInByte = 0
; NumSgprs: 4
; NumVgprs: 0
; NumAgprs: 0
; TotalNumVgprs: 0
; ScratchSize: 0
; MemoryBound: 0
; FloatMode: 240
; IeeeMode: 1
; LDSByteSize: 0 bytes/workgroup (compile time only)
; SGPRBlocks: 0
; VGPRBlocks: 0
; NumSGPRsForWavesPerEU: 4
; NumVGPRsForWavesPerEU: 1
; AccumOffset: 4
; Occupancy: 8
; WaveLimiterHint : 0
; COMPUTE_PGM_RSRC2:SCRATCH_EN: 0
; COMPUTE_PGM_RSRC2:USER_SGPR: 6
; COMPUTE_PGM_RSRC2:TRAP_HANDLER: 0
; COMPUTE_PGM_RSRC2:TGID_X_EN: 1
; COMPUTE_PGM_RSRC2:TGID_Y_EN: 0
; COMPUTE_PGM_RSRC2:TGID_Z_EN: 0
; COMPUTE_PGM_RSRC2:TIDIG_COMP_CNT: 0
; COMPUTE_PGM_RSRC3_GFX90A:ACCUM_OFFSET: 0
; COMPUTE_PGM_RSRC3_GFX90A:TG_SPLIT: 0
	.section	.text._ZN7rocprim17ROCPRIM_400000_NS6detail17trampoline_kernelINS0_14default_configENS1_25partition_config_selectorILNS1_17partition_subalgoE5EiNS0_10empty_typeEbEEZZNS1_14partition_implILS5_5ELb0ES3_mPiPS6_N6thrust23THRUST_200600_302600_NS18transform_iteratorIN6dUtils5isOneIiEES9_NSC_11use_defaultESH_EENS0_5tupleIJS9_S6_EEENSJ_IJSA_SA_EEES6_PlJS6_EEE10hipError_tPvRmT3_T4_T5_T6_T7_T9_mT8_P12ihipStream_tbDpT10_ENKUlT_T0_E_clISt17integral_constantIbLb0EES15_IbLb1EEEEDaS11_S12_EUlS11_E_NS1_11comp_targetILNS1_3genE0ELNS1_11target_archE4294967295ELNS1_3gpuE0ELNS1_3repE0EEENS1_30default_config_static_selectorELNS0_4arch9wavefront6targetE1EEEvT1_,"axG",@progbits,_ZN7rocprim17ROCPRIM_400000_NS6detail17trampoline_kernelINS0_14default_configENS1_25partition_config_selectorILNS1_17partition_subalgoE5EiNS0_10empty_typeEbEEZZNS1_14partition_implILS5_5ELb0ES3_mPiPS6_N6thrust23THRUST_200600_302600_NS18transform_iteratorIN6dUtils5isOneIiEES9_NSC_11use_defaultESH_EENS0_5tupleIJS9_S6_EEENSJ_IJSA_SA_EEES6_PlJS6_EEE10hipError_tPvRmT3_T4_T5_T6_T7_T9_mT8_P12ihipStream_tbDpT10_ENKUlT_T0_E_clISt17integral_constantIbLb0EES15_IbLb1EEEEDaS11_S12_EUlS11_E_NS1_11comp_targetILNS1_3genE0ELNS1_11target_archE4294967295ELNS1_3gpuE0ELNS1_3repE0EEENS1_30default_config_static_selectorELNS0_4arch9wavefront6targetE1EEEvT1_,comdat
	.protected	_ZN7rocprim17ROCPRIM_400000_NS6detail17trampoline_kernelINS0_14default_configENS1_25partition_config_selectorILNS1_17partition_subalgoE5EiNS0_10empty_typeEbEEZZNS1_14partition_implILS5_5ELb0ES3_mPiPS6_N6thrust23THRUST_200600_302600_NS18transform_iteratorIN6dUtils5isOneIiEES9_NSC_11use_defaultESH_EENS0_5tupleIJS9_S6_EEENSJ_IJSA_SA_EEES6_PlJS6_EEE10hipError_tPvRmT3_T4_T5_T6_T7_T9_mT8_P12ihipStream_tbDpT10_ENKUlT_T0_E_clISt17integral_constantIbLb0EES15_IbLb1EEEEDaS11_S12_EUlS11_E_NS1_11comp_targetILNS1_3genE0ELNS1_11target_archE4294967295ELNS1_3gpuE0ELNS1_3repE0EEENS1_30default_config_static_selectorELNS0_4arch9wavefront6targetE1EEEvT1_ ; -- Begin function _ZN7rocprim17ROCPRIM_400000_NS6detail17trampoline_kernelINS0_14default_configENS1_25partition_config_selectorILNS1_17partition_subalgoE5EiNS0_10empty_typeEbEEZZNS1_14partition_implILS5_5ELb0ES3_mPiPS6_N6thrust23THRUST_200600_302600_NS18transform_iteratorIN6dUtils5isOneIiEES9_NSC_11use_defaultESH_EENS0_5tupleIJS9_S6_EEENSJ_IJSA_SA_EEES6_PlJS6_EEE10hipError_tPvRmT3_T4_T5_T6_T7_T9_mT8_P12ihipStream_tbDpT10_ENKUlT_T0_E_clISt17integral_constantIbLb0EES15_IbLb1EEEEDaS11_S12_EUlS11_E_NS1_11comp_targetILNS1_3genE0ELNS1_11target_archE4294967295ELNS1_3gpuE0ELNS1_3repE0EEENS1_30default_config_static_selectorELNS0_4arch9wavefront6targetE1EEEvT1_
	.globl	_ZN7rocprim17ROCPRIM_400000_NS6detail17trampoline_kernelINS0_14default_configENS1_25partition_config_selectorILNS1_17partition_subalgoE5EiNS0_10empty_typeEbEEZZNS1_14partition_implILS5_5ELb0ES3_mPiPS6_N6thrust23THRUST_200600_302600_NS18transform_iteratorIN6dUtils5isOneIiEES9_NSC_11use_defaultESH_EENS0_5tupleIJS9_S6_EEENSJ_IJSA_SA_EEES6_PlJS6_EEE10hipError_tPvRmT3_T4_T5_T6_T7_T9_mT8_P12ihipStream_tbDpT10_ENKUlT_T0_E_clISt17integral_constantIbLb0EES15_IbLb1EEEEDaS11_S12_EUlS11_E_NS1_11comp_targetILNS1_3genE0ELNS1_11target_archE4294967295ELNS1_3gpuE0ELNS1_3repE0EEENS1_30default_config_static_selectorELNS0_4arch9wavefront6targetE1EEEvT1_
	.p2align	8
	.type	_ZN7rocprim17ROCPRIM_400000_NS6detail17trampoline_kernelINS0_14default_configENS1_25partition_config_selectorILNS1_17partition_subalgoE5EiNS0_10empty_typeEbEEZZNS1_14partition_implILS5_5ELb0ES3_mPiPS6_N6thrust23THRUST_200600_302600_NS18transform_iteratorIN6dUtils5isOneIiEES9_NSC_11use_defaultESH_EENS0_5tupleIJS9_S6_EEENSJ_IJSA_SA_EEES6_PlJS6_EEE10hipError_tPvRmT3_T4_T5_T6_T7_T9_mT8_P12ihipStream_tbDpT10_ENKUlT_T0_E_clISt17integral_constantIbLb0EES15_IbLb1EEEEDaS11_S12_EUlS11_E_NS1_11comp_targetILNS1_3genE0ELNS1_11target_archE4294967295ELNS1_3gpuE0ELNS1_3repE0EEENS1_30default_config_static_selectorELNS0_4arch9wavefront6targetE1EEEvT1_,@function
_ZN7rocprim17ROCPRIM_400000_NS6detail17trampoline_kernelINS0_14default_configENS1_25partition_config_selectorILNS1_17partition_subalgoE5EiNS0_10empty_typeEbEEZZNS1_14partition_implILS5_5ELb0ES3_mPiPS6_N6thrust23THRUST_200600_302600_NS18transform_iteratorIN6dUtils5isOneIiEES9_NSC_11use_defaultESH_EENS0_5tupleIJS9_S6_EEENSJ_IJSA_SA_EEES6_PlJS6_EEE10hipError_tPvRmT3_T4_T5_T6_T7_T9_mT8_P12ihipStream_tbDpT10_ENKUlT_T0_E_clISt17integral_constantIbLb0EES15_IbLb1EEEEDaS11_S12_EUlS11_E_NS1_11comp_targetILNS1_3genE0ELNS1_11target_archE4294967295ELNS1_3gpuE0ELNS1_3repE0EEENS1_30default_config_static_selectorELNS0_4arch9wavefront6targetE1EEEvT1_: ; @_ZN7rocprim17ROCPRIM_400000_NS6detail17trampoline_kernelINS0_14default_configENS1_25partition_config_selectorILNS1_17partition_subalgoE5EiNS0_10empty_typeEbEEZZNS1_14partition_implILS5_5ELb0ES3_mPiPS6_N6thrust23THRUST_200600_302600_NS18transform_iteratorIN6dUtils5isOneIiEES9_NSC_11use_defaultESH_EENS0_5tupleIJS9_S6_EEENSJ_IJSA_SA_EEES6_PlJS6_EEE10hipError_tPvRmT3_T4_T5_T6_T7_T9_mT8_P12ihipStream_tbDpT10_ENKUlT_T0_E_clISt17integral_constantIbLb0EES15_IbLb1EEEEDaS11_S12_EUlS11_E_NS1_11comp_targetILNS1_3genE0ELNS1_11target_archE4294967295ELNS1_3gpuE0ELNS1_3repE0EEENS1_30default_config_static_selectorELNS0_4arch9wavefront6targetE1EEEvT1_
; %bb.0:
	.section	.rodata,"a",@progbits
	.p2align	6, 0x0
	.amdhsa_kernel _ZN7rocprim17ROCPRIM_400000_NS6detail17trampoline_kernelINS0_14default_configENS1_25partition_config_selectorILNS1_17partition_subalgoE5EiNS0_10empty_typeEbEEZZNS1_14partition_implILS5_5ELb0ES3_mPiPS6_N6thrust23THRUST_200600_302600_NS18transform_iteratorIN6dUtils5isOneIiEES9_NSC_11use_defaultESH_EENS0_5tupleIJS9_S6_EEENSJ_IJSA_SA_EEES6_PlJS6_EEE10hipError_tPvRmT3_T4_T5_T6_T7_T9_mT8_P12ihipStream_tbDpT10_ENKUlT_T0_E_clISt17integral_constantIbLb0EES15_IbLb1EEEEDaS11_S12_EUlS11_E_NS1_11comp_targetILNS1_3genE0ELNS1_11target_archE4294967295ELNS1_3gpuE0ELNS1_3repE0EEENS1_30default_config_static_selectorELNS0_4arch9wavefront6targetE1EEEvT1_
		.amdhsa_group_segment_fixed_size 0
		.amdhsa_private_segment_fixed_size 0
		.amdhsa_kernarg_size 136
		.amdhsa_user_sgpr_count 6
		.amdhsa_user_sgpr_private_segment_buffer 1
		.amdhsa_user_sgpr_dispatch_ptr 0
		.amdhsa_user_sgpr_queue_ptr 0
		.amdhsa_user_sgpr_kernarg_segment_ptr 1
		.amdhsa_user_sgpr_dispatch_id 0
		.amdhsa_user_sgpr_flat_scratch_init 0
		.amdhsa_user_sgpr_kernarg_preload_length 0
		.amdhsa_user_sgpr_kernarg_preload_offset 0
		.amdhsa_user_sgpr_private_segment_size 0
		.amdhsa_uses_dynamic_stack 0
		.amdhsa_system_sgpr_private_segment_wavefront_offset 0
		.amdhsa_system_sgpr_workgroup_id_x 1
		.amdhsa_system_sgpr_workgroup_id_y 0
		.amdhsa_system_sgpr_workgroup_id_z 0
		.amdhsa_system_sgpr_workgroup_info 0
		.amdhsa_system_vgpr_workitem_id 0
		.amdhsa_next_free_vgpr 1
		.amdhsa_next_free_sgpr 0
		.amdhsa_accum_offset 4
		.amdhsa_reserve_vcc 0
		.amdhsa_reserve_flat_scratch 0
		.amdhsa_float_round_mode_32 0
		.amdhsa_float_round_mode_16_64 0
		.amdhsa_float_denorm_mode_32 3
		.amdhsa_float_denorm_mode_16_64 3
		.amdhsa_dx10_clamp 1
		.amdhsa_ieee_mode 1
		.amdhsa_fp16_overflow 0
		.amdhsa_tg_split 0
		.amdhsa_exception_fp_ieee_invalid_op 0
		.amdhsa_exception_fp_denorm_src 0
		.amdhsa_exception_fp_ieee_div_zero 0
		.amdhsa_exception_fp_ieee_overflow 0
		.amdhsa_exception_fp_ieee_underflow 0
		.amdhsa_exception_fp_ieee_inexact 0
		.amdhsa_exception_int_div_zero 0
	.end_amdhsa_kernel
	.section	.text._ZN7rocprim17ROCPRIM_400000_NS6detail17trampoline_kernelINS0_14default_configENS1_25partition_config_selectorILNS1_17partition_subalgoE5EiNS0_10empty_typeEbEEZZNS1_14partition_implILS5_5ELb0ES3_mPiPS6_N6thrust23THRUST_200600_302600_NS18transform_iteratorIN6dUtils5isOneIiEES9_NSC_11use_defaultESH_EENS0_5tupleIJS9_S6_EEENSJ_IJSA_SA_EEES6_PlJS6_EEE10hipError_tPvRmT3_T4_T5_T6_T7_T9_mT8_P12ihipStream_tbDpT10_ENKUlT_T0_E_clISt17integral_constantIbLb0EES15_IbLb1EEEEDaS11_S12_EUlS11_E_NS1_11comp_targetILNS1_3genE0ELNS1_11target_archE4294967295ELNS1_3gpuE0ELNS1_3repE0EEENS1_30default_config_static_selectorELNS0_4arch9wavefront6targetE1EEEvT1_,"axG",@progbits,_ZN7rocprim17ROCPRIM_400000_NS6detail17trampoline_kernelINS0_14default_configENS1_25partition_config_selectorILNS1_17partition_subalgoE5EiNS0_10empty_typeEbEEZZNS1_14partition_implILS5_5ELb0ES3_mPiPS6_N6thrust23THRUST_200600_302600_NS18transform_iteratorIN6dUtils5isOneIiEES9_NSC_11use_defaultESH_EENS0_5tupleIJS9_S6_EEENSJ_IJSA_SA_EEES6_PlJS6_EEE10hipError_tPvRmT3_T4_T5_T6_T7_T9_mT8_P12ihipStream_tbDpT10_ENKUlT_T0_E_clISt17integral_constantIbLb0EES15_IbLb1EEEEDaS11_S12_EUlS11_E_NS1_11comp_targetILNS1_3genE0ELNS1_11target_archE4294967295ELNS1_3gpuE0ELNS1_3repE0EEENS1_30default_config_static_selectorELNS0_4arch9wavefront6targetE1EEEvT1_,comdat
.Lfunc_end172:
	.size	_ZN7rocprim17ROCPRIM_400000_NS6detail17trampoline_kernelINS0_14default_configENS1_25partition_config_selectorILNS1_17partition_subalgoE5EiNS0_10empty_typeEbEEZZNS1_14partition_implILS5_5ELb0ES3_mPiPS6_N6thrust23THRUST_200600_302600_NS18transform_iteratorIN6dUtils5isOneIiEES9_NSC_11use_defaultESH_EENS0_5tupleIJS9_S6_EEENSJ_IJSA_SA_EEES6_PlJS6_EEE10hipError_tPvRmT3_T4_T5_T6_T7_T9_mT8_P12ihipStream_tbDpT10_ENKUlT_T0_E_clISt17integral_constantIbLb0EES15_IbLb1EEEEDaS11_S12_EUlS11_E_NS1_11comp_targetILNS1_3genE0ELNS1_11target_archE4294967295ELNS1_3gpuE0ELNS1_3repE0EEENS1_30default_config_static_selectorELNS0_4arch9wavefront6targetE1EEEvT1_, .Lfunc_end172-_ZN7rocprim17ROCPRIM_400000_NS6detail17trampoline_kernelINS0_14default_configENS1_25partition_config_selectorILNS1_17partition_subalgoE5EiNS0_10empty_typeEbEEZZNS1_14partition_implILS5_5ELb0ES3_mPiPS6_N6thrust23THRUST_200600_302600_NS18transform_iteratorIN6dUtils5isOneIiEES9_NSC_11use_defaultESH_EENS0_5tupleIJS9_S6_EEENSJ_IJSA_SA_EEES6_PlJS6_EEE10hipError_tPvRmT3_T4_T5_T6_T7_T9_mT8_P12ihipStream_tbDpT10_ENKUlT_T0_E_clISt17integral_constantIbLb0EES15_IbLb1EEEEDaS11_S12_EUlS11_E_NS1_11comp_targetILNS1_3genE0ELNS1_11target_archE4294967295ELNS1_3gpuE0ELNS1_3repE0EEENS1_30default_config_static_selectorELNS0_4arch9wavefront6targetE1EEEvT1_
                                        ; -- End function
	.section	.AMDGPU.csdata,"",@progbits
; Kernel info:
; codeLenInByte = 0
; NumSgprs: 4
; NumVgprs: 0
; NumAgprs: 0
; TotalNumVgprs: 0
; ScratchSize: 0
; MemoryBound: 0
; FloatMode: 240
; IeeeMode: 1
; LDSByteSize: 0 bytes/workgroup (compile time only)
; SGPRBlocks: 0
; VGPRBlocks: 0
; NumSGPRsForWavesPerEU: 4
; NumVGPRsForWavesPerEU: 1
; AccumOffset: 4
; Occupancy: 8
; WaveLimiterHint : 0
; COMPUTE_PGM_RSRC2:SCRATCH_EN: 0
; COMPUTE_PGM_RSRC2:USER_SGPR: 6
; COMPUTE_PGM_RSRC2:TRAP_HANDLER: 0
; COMPUTE_PGM_RSRC2:TGID_X_EN: 1
; COMPUTE_PGM_RSRC2:TGID_Y_EN: 0
; COMPUTE_PGM_RSRC2:TGID_Z_EN: 0
; COMPUTE_PGM_RSRC2:TIDIG_COMP_CNT: 0
; COMPUTE_PGM_RSRC3_GFX90A:ACCUM_OFFSET: 0
; COMPUTE_PGM_RSRC3_GFX90A:TG_SPLIT: 0
	.section	.text._ZN7rocprim17ROCPRIM_400000_NS6detail17trampoline_kernelINS0_14default_configENS1_25partition_config_selectorILNS1_17partition_subalgoE5EiNS0_10empty_typeEbEEZZNS1_14partition_implILS5_5ELb0ES3_mPiPS6_N6thrust23THRUST_200600_302600_NS18transform_iteratorIN6dUtils5isOneIiEES9_NSC_11use_defaultESH_EENS0_5tupleIJS9_S6_EEENSJ_IJSA_SA_EEES6_PlJS6_EEE10hipError_tPvRmT3_T4_T5_T6_T7_T9_mT8_P12ihipStream_tbDpT10_ENKUlT_T0_E_clISt17integral_constantIbLb0EES15_IbLb1EEEEDaS11_S12_EUlS11_E_NS1_11comp_targetILNS1_3genE5ELNS1_11target_archE942ELNS1_3gpuE9ELNS1_3repE0EEENS1_30default_config_static_selectorELNS0_4arch9wavefront6targetE1EEEvT1_,"axG",@progbits,_ZN7rocprim17ROCPRIM_400000_NS6detail17trampoline_kernelINS0_14default_configENS1_25partition_config_selectorILNS1_17partition_subalgoE5EiNS0_10empty_typeEbEEZZNS1_14partition_implILS5_5ELb0ES3_mPiPS6_N6thrust23THRUST_200600_302600_NS18transform_iteratorIN6dUtils5isOneIiEES9_NSC_11use_defaultESH_EENS0_5tupleIJS9_S6_EEENSJ_IJSA_SA_EEES6_PlJS6_EEE10hipError_tPvRmT3_T4_T5_T6_T7_T9_mT8_P12ihipStream_tbDpT10_ENKUlT_T0_E_clISt17integral_constantIbLb0EES15_IbLb1EEEEDaS11_S12_EUlS11_E_NS1_11comp_targetILNS1_3genE5ELNS1_11target_archE942ELNS1_3gpuE9ELNS1_3repE0EEENS1_30default_config_static_selectorELNS0_4arch9wavefront6targetE1EEEvT1_,comdat
	.protected	_ZN7rocprim17ROCPRIM_400000_NS6detail17trampoline_kernelINS0_14default_configENS1_25partition_config_selectorILNS1_17partition_subalgoE5EiNS0_10empty_typeEbEEZZNS1_14partition_implILS5_5ELb0ES3_mPiPS6_N6thrust23THRUST_200600_302600_NS18transform_iteratorIN6dUtils5isOneIiEES9_NSC_11use_defaultESH_EENS0_5tupleIJS9_S6_EEENSJ_IJSA_SA_EEES6_PlJS6_EEE10hipError_tPvRmT3_T4_T5_T6_T7_T9_mT8_P12ihipStream_tbDpT10_ENKUlT_T0_E_clISt17integral_constantIbLb0EES15_IbLb1EEEEDaS11_S12_EUlS11_E_NS1_11comp_targetILNS1_3genE5ELNS1_11target_archE942ELNS1_3gpuE9ELNS1_3repE0EEENS1_30default_config_static_selectorELNS0_4arch9wavefront6targetE1EEEvT1_ ; -- Begin function _ZN7rocprim17ROCPRIM_400000_NS6detail17trampoline_kernelINS0_14default_configENS1_25partition_config_selectorILNS1_17partition_subalgoE5EiNS0_10empty_typeEbEEZZNS1_14partition_implILS5_5ELb0ES3_mPiPS6_N6thrust23THRUST_200600_302600_NS18transform_iteratorIN6dUtils5isOneIiEES9_NSC_11use_defaultESH_EENS0_5tupleIJS9_S6_EEENSJ_IJSA_SA_EEES6_PlJS6_EEE10hipError_tPvRmT3_T4_T5_T6_T7_T9_mT8_P12ihipStream_tbDpT10_ENKUlT_T0_E_clISt17integral_constantIbLb0EES15_IbLb1EEEEDaS11_S12_EUlS11_E_NS1_11comp_targetILNS1_3genE5ELNS1_11target_archE942ELNS1_3gpuE9ELNS1_3repE0EEENS1_30default_config_static_selectorELNS0_4arch9wavefront6targetE1EEEvT1_
	.globl	_ZN7rocprim17ROCPRIM_400000_NS6detail17trampoline_kernelINS0_14default_configENS1_25partition_config_selectorILNS1_17partition_subalgoE5EiNS0_10empty_typeEbEEZZNS1_14partition_implILS5_5ELb0ES3_mPiPS6_N6thrust23THRUST_200600_302600_NS18transform_iteratorIN6dUtils5isOneIiEES9_NSC_11use_defaultESH_EENS0_5tupleIJS9_S6_EEENSJ_IJSA_SA_EEES6_PlJS6_EEE10hipError_tPvRmT3_T4_T5_T6_T7_T9_mT8_P12ihipStream_tbDpT10_ENKUlT_T0_E_clISt17integral_constantIbLb0EES15_IbLb1EEEEDaS11_S12_EUlS11_E_NS1_11comp_targetILNS1_3genE5ELNS1_11target_archE942ELNS1_3gpuE9ELNS1_3repE0EEENS1_30default_config_static_selectorELNS0_4arch9wavefront6targetE1EEEvT1_
	.p2align	8
	.type	_ZN7rocprim17ROCPRIM_400000_NS6detail17trampoline_kernelINS0_14default_configENS1_25partition_config_selectorILNS1_17partition_subalgoE5EiNS0_10empty_typeEbEEZZNS1_14partition_implILS5_5ELb0ES3_mPiPS6_N6thrust23THRUST_200600_302600_NS18transform_iteratorIN6dUtils5isOneIiEES9_NSC_11use_defaultESH_EENS0_5tupleIJS9_S6_EEENSJ_IJSA_SA_EEES6_PlJS6_EEE10hipError_tPvRmT3_T4_T5_T6_T7_T9_mT8_P12ihipStream_tbDpT10_ENKUlT_T0_E_clISt17integral_constantIbLb0EES15_IbLb1EEEEDaS11_S12_EUlS11_E_NS1_11comp_targetILNS1_3genE5ELNS1_11target_archE942ELNS1_3gpuE9ELNS1_3repE0EEENS1_30default_config_static_selectorELNS0_4arch9wavefront6targetE1EEEvT1_,@function
_ZN7rocprim17ROCPRIM_400000_NS6detail17trampoline_kernelINS0_14default_configENS1_25partition_config_selectorILNS1_17partition_subalgoE5EiNS0_10empty_typeEbEEZZNS1_14partition_implILS5_5ELb0ES3_mPiPS6_N6thrust23THRUST_200600_302600_NS18transform_iteratorIN6dUtils5isOneIiEES9_NSC_11use_defaultESH_EENS0_5tupleIJS9_S6_EEENSJ_IJSA_SA_EEES6_PlJS6_EEE10hipError_tPvRmT3_T4_T5_T6_T7_T9_mT8_P12ihipStream_tbDpT10_ENKUlT_T0_E_clISt17integral_constantIbLb0EES15_IbLb1EEEEDaS11_S12_EUlS11_E_NS1_11comp_targetILNS1_3genE5ELNS1_11target_archE942ELNS1_3gpuE9ELNS1_3repE0EEENS1_30default_config_static_selectorELNS0_4arch9wavefront6targetE1EEEvT1_: ; @_ZN7rocprim17ROCPRIM_400000_NS6detail17trampoline_kernelINS0_14default_configENS1_25partition_config_selectorILNS1_17partition_subalgoE5EiNS0_10empty_typeEbEEZZNS1_14partition_implILS5_5ELb0ES3_mPiPS6_N6thrust23THRUST_200600_302600_NS18transform_iteratorIN6dUtils5isOneIiEES9_NSC_11use_defaultESH_EENS0_5tupleIJS9_S6_EEENSJ_IJSA_SA_EEES6_PlJS6_EEE10hipError_tPvRmT3_T4_T5_T6_T7_T9_mT8_P12ihipStream_tbDpT10_ENKUlT_T0_E_clISt17integral_constantIbLb0EES15_IbLb1EEEEDaS11_S12_EUlS11_E_NS1_11comp_targetILNS1_3genE5ELNS1_11target_archE942ELNS1_3gpuE9ELNS1_3repE0EEENS1_30default_config_static_selectorELNS0_4arch9wavefront6targetE1EEEvT1_
; %bb.0:
	.section	.rodata,"a",@progbits
	.p2align	6, 0x0
	.amdhsa_kernel _ZN7rocprim17ROCPRIM_400000_NS6detail17trampoline_kernelINS0_14default_configENS1_25partition_config_selectorILNS1_17partition_subalgoE5EiNS0_10empty_typeEbEEZZNS1_14partition_implILS5_5ELb0ES3_mPiPS6_N6thrust23THRUST_200600_302600_NS18transform_iteratorIN6dUtils5isOneIiEES9_NSC_11use_defaultESH_EENS0_5tupleIJS9_S6_EEENSJ_IJSA_SA_EEES6_PlJS6_EEE10hipError_tPvRmT3_T4_T5_T6_T7_T9_mT8_P12ihipStream_tbDpT10_ENKUlT_T0_E_clISt17integral_constantIbLb0EES15_IbLb1EEEEDaS11_S12_EUlS11_E_NS1_11comp_targetILNS1_3genE5ELNS1_11target_archE942ELNS1_3gpuE9ELNS1_3repE0EEENS1_30default_config_static_selectorELNS0_4arch9wavefront6targetE1EEEvT1_
		.amdhsa_group_segment_fixed_size 0
		.amdhsa_private_segment_fixed_size 0
		.amdhsa_kernarg_size 136
		.amdhsa_user_sgpr_count 6
		.amdhsa_user_sgpr_private_segment_buffer 1
		.amdhsa_user_sgpr_dispatch_ptr 0
		.amdhsa_user_sgpr_queue_ptr 0
		.amdhsa_user_sgpr_kernarg_segment_ptr 1
		.amdhsa_user_sgpr_dispatch_id 0
		.amdhsa_user_sgpr_flat_scratch_init 0
		.amdhsa_user_sgpr_kernarg_preload_length 0
		.amdhsa_user_sgpr_kernarg_preload_offset 0
		.amdhsa_user_sgpr_private_segment_size 0
		.amdhsa_uses_dynamic_stack 0
		.amdhsa_system_sgpr_private_segment_wavefront_offset 0
		.amdhsa_system_sgpr_workgroup_id_x 1
		.amdhsa_system_sgpr_workgroup_id_y 0
		.amdhsa_system_sgpr_workgroup_id_z 0
		.amdhsa_system_sgpr_workgroup_info 0
		.amdhsa_system_vgpr_workitem_id 0
		.amdhsa_next_free_vgpr 1
		.amdhsa_next_free_sgpr 0
		.amdhsa_accum_offset 4
		.amdhsa_reserve_vcc 0
		.amdhsa_reserve_flat_scratch 0
		.amdhsa_float_round_mode_32 0
		.amdhsa_float_round_mode_16_64 0
		.amdhsa_float_denorm_mode_32 3
		.amdhsa_float_denorm_mode_16_64 3
		.amdhsa_dx10_clamp 1
		.amdhsa_ieee_mode 1
		.amdhsa_fp16_overflow 0
		.amdhsa_tg_split 0
		.amdhsa_exception_fp_ieee_invalid_op 0
		.amdhsa_exception_fp_denorm_src 0
		.amdhsa_exception_fp_ieee_div_zero 0
		.amdhsa_exception_fp_ieee_overflow 0
		.amdhsa_exception_fp_ieee_underflow 0
		.amdhsa_exception_fp_ieee_inexact 0
		.amdhsa_exception_int_div_zero 0
	.end_amdhsa_kernel
	.section	.text._ZN7rocprim17ROCPRIM_400000_NS6detail17trampoline_kernelINS0_14default_configENS1_25partition_config_selectorILNS1_17partition_subalgoE5EiNS0_10empty_typeEbEEZZNS1_14partition_implILS5_5ELb0ES3_mPiPS6_N6thrust23THRUST_200600_302600_NS18transform_iteratorIN6dUtils5isOneIiEES9_NSC_11use_defaultESH_EENS0_5tupleIJS9_S6_EEENSJ_IJSA_SA_EEES6_PlJS6_EEE10hipError_tPvRmT3_T4_T5_T6_T7_T9_mT8_P12ihipStream_tbDpT10_ENKUlT_T0_E_clISt17integral_constantIbLb0EES15_IbLb1EEEEDaS11_S12_EUlS11_E_NS1_11comp_targetILNS1_3genE5ELNS1_11target_archE942ELNS1_3gpuE9ELNS1_3repE0EEENS1_30default_config_static_selectorELNS0_4arch9wavefront6targetE1EEEvT1_,"axG",@progbits,_ZN7rocprim17ROCPRIM_400000_NS6detail17trampoline_kernelINS0_14default_configENS1_25partition_config_selectorILNS1_17partition_subalgoE5EiNS0_10empty_typeEbEEZZNS1_14partition_implILS5_5ELb0ES3_mPiPS6_N6thrust23THRUST_200600_302600_NS18transform_iteratorIN6dUtils5isOneIiEES9_NSC_11use_defaultESH_EENS0_5tupleIJS9_S6_EEENSJ_IJSA_SA_EEES6_PlJS6_EEE10hipError_tPvRmT3_T4_T5_T6_T7_T9_mT8_P12ihipStream_tbDpT10_ENKUlT_T0_E_clISt17integral_constantIbLb0EES15_IbLb1EEEEDaS11_S12_EUlS11_E_NS1_11comp_targetILNS1_3genE5ELNS1_11target_archE942ELNS1_3gpuE9ELNS1_3repE0EEENS1_30default_config_static_selectorELNS0_4arch9wavefront6targetE1EEEvT1_,comdat
.Lfunc_end173:
	.size	_ZN7rocprim17ROCPRIM_400000_NS6detail17trampoline_kernelINS0_14default_configENS1_25partition_config_selectorILNS1_17partition_subalgoE5EiNS0_10empty_typeEbEEZZNS1_14partition_implILS5_5ELb0ES3_mPiPS6_N6thrust23THRUST_200600_302600_NS18transform_iteratorIN6dUtils5isOneIiEES9_NSC_11use_defaultESH_EENS0_5tupleIJS9_S6_EEENSJ_IJSA_SA_EEES6_PlJS6_EEE10hipError_tPvRmT3_T4_T5_T6_T7_T9_mT8_P12ihipStream_tbDpT10_ENKUlT_T0_E_clISt17integral_constantIbLb0EES15_IbLb1EEEEDaS11_S12_EUlS11_E_NS1_11comp_targetILNS1_3genE5ELNS1_11target_archE942ELNS1_3gpuE9ELNS1_3repE0EEENS1_30default_config_static_selectorELNS0_4arch9wavefront6targetE1EEEvT1_, .Lfunc_end173-_ZN7rocprim17ROCPRIM_400000_NS6detail17trampoline_kernelINS0_14default_configENS1_25partition_config_selectorILNS1_17partition_subalgoE5EiNS0_10empty_typeEbEEZZNS1_14partition_implILS5_5ELb0ES3_mPiPS6_N6thrust23THRUST_200600_302600_NS18transform_iteratorIN6dUtils5isOneIiEES9_NSC_11use_defaultESH_EENS0_5tupleIJS9_S6_EEENSJ_IJSA_SA_EEES6_PlJS6_EEE10hipError_tPvRmT3_T4_T5_T6_T7_T9_mT8_P12ihipStream_tbDpT10_ENKUlT_T0_E_clISt17integral_constantIbLb0EES15_IbLb1EEEEDaS11_S12_EUlS11_E_NS1_11comp_targetILNS1_3genE5ELNS1_11target_archE942ELNS1_3gpuE9ELNS1_3repE0EEENS1_30default_config_static_selectorELNS0_4arch9wavefront6targetE1EEEvT1_
                                        ; -- End function
	.section	.AMDGPU.csdata,"",@progbits
; Kernel info:
; codeLenInByte = 0
; NumSgprs: 4
; NumVgprs: 0
; NumAgprs: 0
; TotalNumVgprs: 0
; ScratchSize: 0
; MemoryBound: 0
; FloatMode: 240
; IeeeMode: 1
; LDSByteSize: 0 bytes/workgroup (compile time only)
; SGPRBlocks: 0
; VGPRBlocks: 0
; NumSGPRsForWavesPerEU: 4
; NumVGPRsForWavesPerEU: 1
; AccumOffset: 4
; Occupancy: 8
; WaveLimiterHint : 0
; COMPUTE_PGM_RSRC2:SCRATCH_EN: 0
; COMPUTE_PGM_RSRC2:USER_SGPR: 6
; COMPUTE_PGM_RSRC2:TRAP_HANDLER: 0
; COMPUTE_PGM_RSRC2:TGID_X_EN: 1
; COMPUTE_PGM_RSRC2:TGID_Y_EN: 0
; COMPUTE_PGM_RSRC2:TGID_Z_EN: 0
; COMPUTE_PGM_RSRC2:TIDIG_COMP_CNT: 0
; COMPUTE_PGM_RSRC3_GFX90A:ACCUM_OFFSET: 0
; COMPUTE_PGM_RSRC3_GFX90A:TG_SPLIT: 0
	.section	.text._ZN7rocprim17ROCPRIM_400000_NS6detail17trampoline_kernelINS0_14default_configENS1_25partition_config_selectorILNS1_17partition_subalgoE5EiNS0_10empty_typeEbEEZZNS1_14partition_implILS5_5ELb0ES3_mPiPS6_N6thrust23THRUST_200600_302600_NS18transform_iteratorIN6dUtils5isOneIiEES9_NSC_11use_defaultESH_EENS0_5tupleIJS9_S6_EEENSJ_IJSA_SA_EEES6_PlJS6_EEE10hipError_tPvRmT3_T4_T5_T6_T7_T9_mT8_P12ihipStream_tbDpT10_ENKUlT_T0_E_clISt17integral_constantIbLb0EES15_IbLb1EEEEDaS11_S12_EUlS11_E_NS1_11comp_targetILNS1_3genE4ELNS1_11target_archE910ELNS1_3gpuE8ELNS1_3repE0EEENS1_30default_config_static_selectorELNS0_4arch9wavefront6targetE1EEEvT1_,"axG",@progbits,_ZN7rocprim17ROCPRIM_400000_NS6detail17trampoline_kernelINS0_14default_configENS1_25partition_config_selectorILNS1_17partition_subalgoE5EiNS0_10empty_typeEbEEZZNS1_14partition_implILS5_5ELb0ES3_mPiPS6_N6thrust23THRUST_200600_302600_NS18transform_iteratorIN6dUtils5isOneIiEES9_NSC_11use_defaultESH_EENS0_5tupleIJS9_S6_EEENSJ_IJSA_SA_EEES6_PlJS6_EEE10hipError_tPvRmT3_T4_T5_T6_T7_T9_mT8_P12ihipStream_tbDpT10_ENKUlT_T0_E_clISt17integral_constantIbLb0EES15_IbLb1EEEEDaS11_S12_EUlS11_E_NS1_11comp_targetILNS1_3genE4ELNS1_11target_archE910ELNS1_3gpuE8ELNS1_3repE0EEENS1_30default_config_static_selectorELNS0_4arch9wavefront6targetE1EEEvT1_,comdat
	.protected	_ZN7rocprim17ROCPRIM_400000_NS6detail17trampoline_kernelINS0_14default_configENS1_25partition_config_selectorILNS1_17partition_subalgoE5EiNS0_10empty_typeEbEEZZNS1_14partition_implILS5_5ELb0ES3_mPiPS6_N6thrust23THRUST_200600_302600_NS18transform_iteratorIN6dUtils5isOneIiEES9_NSC_11use_defaultESH_EENS0_5tupleIJS9_S6_EEENSJ_IJSA_SA_EEES6_PlJS6_EEE10hipError_tPvRmT3_T4_T5_T6_T7_T9_mT8_P12ihipStream_tbDpT10_ENKUlT_T0_E_clISt17integral_constantIbLb0EES15_IbLb1EEEEDaS11_S12_EUlS11_E_NS1_11comp_targetILNS1_3genE4ELNS1_11target_archE910ELNS1_3gpuE8ELNS1_3repE0EEENS1_30default_config_static_selectorELNS0_4arch9wavefront6targetE1EEEvT1_ ; -- Begin function _ZN7rocprim17ROCPRIM_400000_NS6detail17trampoline_kernelINS0_14default_configENS1_25partition_config_selectorILNS1_17partition_subalgoE5EiNS0_10empty_typeEbEEZZNS1_14partition_implILS5_5ELb0ES3_mPiPS6_N6thrust23THRUST_200600_302600_NS18transform_iteratorIN6dUtils5isOneIiEES9_NSC_11use_defaultESH_EENS0_5tupleIJS9_S6_EEENSJ_IJSA_SA_EEES6_PlJS6_EEE10hipError_tPvRmT3_T4_T5_T6_T7_T9_mT8_P12ihipStream_tbDpT10_ENKUlT_T0_E_clISt17integral_constantIbLb0EES15_IbLb1EEEEDaS11_S12_EUlS11_E_NS1_11comp_targetILNS1_3genE4ELNS1_11target_archE910ELNS1_3gpuE8ELNS1_3repE0EEENS1_30default_config_static_selectorELNS0_4arch9wavefront6targetE1EEEvT1_
	.globl	_ZN7rocprim17ROCPRIM_400000_NS6detail17trampoline_kernelINS0_14default_configENS1_25partition_config_selectorILNS1_17partition_subalgoE5EiNS0_10empty_typeEbEEZZNS1_14partition_implILS5_5ELb0ES3_mPiPS6_N6thrust23THRUST_200600_302600_NS18transform_iteratorIN6dUtils5isOneIiEES9_NSC_11use_defaultESH_EENS0_5tupleIJS9_S6_EEENSJ_IJSA_SA_EEES6_PlJS6_EEE10hipError_tPvRmT3_T4_T5_T6_T7_T9_mT8_P12ihipStream_tbDpT10_ENKUlT_T0_E_clISt17integral_constantIbLb0EES15_IbLb1EEEEDaS11_S12_EUlS11_E_NS1_11comp_targetILNS1_3genE4ELNS1_11target_archE910ELNS1_3gpuE8ELNS1_3repE0EEENS1_30default_config_static_selectorELNS0_4arch9wavefront6targetE1EEEvT1_
	.p2align	8
	.type	_ZN7rocprim17ROCPRIM_400000_NS6detail17trampoline_kernelINS0_14default_configENS1_25partition_config_selectorILNS1_17partition_subalgoE5EiNS0_10empty_typeEbEEZZNS1_14partition_implILS5_5ELb0ES3_mPiPS6_N6thrust23THRUST_200600_302600_NS18transform_iteratorIN6dUtils5isOneIiEES9_NSC_11use_defaultESH_EENS0_5tupleIJS9_S6_EEENSJ_IJSA_SA_EEES6_PlJS6_EEE10hipError_tPvRmT3_T4_T5_T6_T7_T9_mT8_P12ihipStream_tbDpT10_ENKUlT_T0_E_clISt17integral_constantIbLb0EES15_IbLb1EEEEDaS11_S12_EUlS11_E_NS1_11comp_targetILNS1_3genE4ELNS1_11target_archE910ELNS1_3gpuE8ELNS1_3repE0EEENS1_30default_config_static_selectorELNS0_4arch9wavefront6targetE1EEEvT1_,@function
_ZN7rocprim17ROCPRIM_400000_NS6detail17trampoline_kernelINS0_14default_configENS1_25partition_config_selectorILNS1_17partition_subalgoE5EiNS0_10empty_typeEbEEZZNS1_14partition_implILS5_5ELb0ES3_mPiPS6_N6thrust23THRUST_200600_302600_NS18transform_iteratorIN6dUtils5isOneIiEES9_NSC_11use_defaultESH_EENS0_5tupleIJS9_S6_EEENSJ_IJSA_SA_EEES6_PlJS6_EEE10hipError_tPvRmT3_T4_T5_T6_T7_T9_mT8_P12ihipStream_tbDpT10_ENKUlT_T0_E_clISt17integral_constantIbLb0EES15_IbLb1EEEEDaS11_S12_EUlS11_E_NS1_11comp_targetILNS1_3genE4ELNS1_11target_archE910ELNS1_3gpuE8ELNS1_3repE0EEENS1_30default_config_static_selectorELNS0_4arch9wavefront6targetE1EEEvT1_: ; @_ZN7rocprim17ROCPRIM_400000_NS6detail17trampoline_kernelINS0_14default_configENS1_25partition_config_selectorILNS1_17partition_subalgoE5EiNS0_10empty_typeEbEEZZNS1_14partition_implILS5_5ELb0ES3_mPiPS6_N6thrust23THRUST_200600_302600_NS18transform_iteratorIN6dUtils5isOneIiEES9_NSC_11use_defaultESH_EENS0_5tupleIJS9_S6_EEENSJ_IJSA_SA_EEES6_PlJS6_EEE10hipError_tPvRmT3_T4_T5_T6_T7_T9_mT8_P12ihipStream_tbDpT10_ENKUlT_T0_E_clISt17integral_constantIbLb0EES15_IbLb1EEEEDaS11_S12_EUlS11_E_NS1_11comp_targetILNS1_3genE4ELNS1_11target_archE910ELNS1_3gpuE8ELNS1_3repE0EEENS1_30default_config_static_selectorELNS0_4arch9wavefront6targetE1EEEvT1_
; %bb.0:
	s_load_dwordx2 s[6:7], s[4:5], 0x20
	s_load_dwordx2 s[14:15], s[4:5], 0x30
	;; [unrolled: 1-line block ×3, first 2 shown]
	s_load_dwordx4 s[16:19], s[4:5], 0x48
	s_load_dwordx2 s[22:23], s[4:5], 0x68
	v_cmp_eq_u32_e64 s[0:1], 0, v0
	s_and_saveexec_b64 s[8:9], s[0:1]
	s_cbranch_execz .LBB174_4
; %bb.1:
	s_mov_b64 s[12:13], exec
	v_mbcnt_lo_u32_b32 v1, s12, 0
	v_mbcnt_hi_u32_b32 v1, s13, v1
	v_cmp_eq_u32_e32 vcc, 0, v1
                                        ; implicit-def: $vgpr2
	s_and_saveexec_b64 s[10:11], vcc
	s_cbranch_execz .LBB174_3
; %bb.2:
	s_load_dwordx2 s[20:21], s[4:5], 0x78
	s_bcnt1_i32_b64 s12, s[12:13]
	v_mov_b32_e32 v2, 0
	v_mov_b32_e32 v3, s12
	s_waitcnt lgkmcnt(0)
	global_atomic_add v2, v2, v3, s[20:21] glc
.LBB174_3:
	s_or_b64 exec, exec, s[10:11]
	s_waitcnt vmcnt(0)
	v_readfirstlane_b32 s10, v2
	v_add_u32_e32 v1, s10, v1
	v_mov_b32_e32 v2, 0
	ds_write_b32 v2, v1
.LBB174_4:
	s_or_b64 exec, exec, s[8:9]
	v_mov_b32_e32 v1, 0
	s_load_dwordx4 s[8:11], s[4:5], 0x8
	s_load_dword s12, s[4:5], 0x70
	s_waitcnt lgkmcnt(0)
	s_barrier
	ds_read_b32 v4, v1
	s_waitcnt lgkmcnt(0)
	s_barrier
	global_load_dwordx2 v[12:13], v1, s[18:19]
	s_lshl_b64 s[4:5], s[10:11], 2
	v_mov_b32_e32 v3, s3
	s_add_u32 s13, s8, s4
	s_mul_i32 s3, s12, 0x700
	s_addc_u32 s26, s9, s5
	s_add_i32 s9, s3, s10
	s_sub_i32 s25, s2, s9
	s_add_i32 s18, s12, -1
	s_addk_i32 s25, 0x700
	v_mov_b32_e32 v2, s2
	s_add_u32 s2, s10, s3
	v_readfirstlane_b32 s24, v4
	s_addc_u32 s3, s11, 0
	s_cmp_eq_u32 s24, s18
	v_cmp_ge_u64_e32 vcc, s[2:3], v[2:3]
	s_cselect_b64 s[18:19], -1, 0
	s_mul_i32 s8, s24, 0x700
	s_mov_b32 s9, 0
	s_and_b64 s[10:11], vcc, s[18:19]
	s_xor_b64 s[20:21], s[10:11], -1
	s_lshl_b64 s[8:9], s[8:9], 2
	s_add_u32 s10, s13, s8
	s_mov_b64 s[2:3], -1
	s_addc_u32 s11, s26, s9
	s_and_b64 vcc, exec, s[20:21]
	v_lshlrev_b32_e32 v1, 2, v0
	s_cbranch_vccz .LBB174_6
; %bb.5:
	v_mov_b32_e32 v2, s11
	v_add_co_u32_e32 v3, vcc, s10, v1
	v_addc_co_u32_e32 v4, vcc, 0, v2, vcc
	v_add_co_u32_e32 v2, vcc, 0x1000, v3
	v_addc_co_u32_e32 v3, vcc, 0, v4, vcc
	global_load_dword v5, v1, s[10:11]
	global_load_dword v6, v1, s[10:11] offset:1024
	global_load_dword v7, v1, s[10:11] offset:2048
	global_load_dword v8, v1, s[10:11] offset:3072
	global_load_dword v4, v[2:3], off
	global_load_dword v9, v[2:3], off offset:1024
	global_load_dword v10, v[2:3], off offset:2048
	s_mov_b64 s[2:3], 0
	s_waitcnt vmcnt(5)
	ds_write2st64_b32 v1, v5, v6 offset1:4
	s_waitcnt vmcnt(3)
	ds_write2st64_b32 v1, v7, v8 offset0:8 offset1:12
	s_waitcnt vmcnt(1)
	ds_write2st64_b32 v1, v4, v9 offset0:16 offset1:20
	s_waitcnt vmcnt(0)
	ds_write_b32 v1, v10 offset:6144
	s_waitcnt lgkmcnt(0)
	s_barrier
.LBB174_6:
	s_andn2_b64 vcc, exec, s[2:3]
	v_cmp_gt_u32_e64 s[2:3], s25, v0
	s_cbranch_vccnz .LBB174_22
; %bb.7:
                                        ; implicit-def: $vgpr2_vgpr3_vgpr4_vgpr5_vgpr6_vgpr7_vgpr8
	s_and_saveexec_b64 s[12:13], s[2:3]
	s_cbranch_execz .LBB174_9
; %bb.8:
	global_load_dword v2, v1, s[10:11]
.LBB174_9:
	s_or_b64 exec, exec, s[12:13]
	v_or_b32_e32 v9, 0x100, v0
	v_cmp_gt_u32_e32 vcc, s25, v9
	s_and_saveexec_b64 s[2:3], vcc
	s_cbranch_execz .LBB174_11
; %bb.10:
	global_load_dword v3, v1, s[10:11] offset:1024
.LBB174_11:
	s_or_b64 exec, exec, s[2:3]
	v_or_b32_e32 v9, 0x200, v0
	v_cmp_gt_u32_e32 vcc, s25, v9
	s_and_saveexec_b64 s[2:3], vcc
	s_cbranch_execz .LBB174_13
; %bb.12:
	global_load_dword v4, v1, s[10:11] offset:2048
.LBB174_13:
	;; [unrolled: 8-line block ×3, first 2 shown]
	s_or_b64 exec, exec, s[2:3]
	v_or_b32_e32 v9, 0x400, v0
	v_cmp_gt_u32_e32 vcc, s25, v9
	s_and_saveexec_b64 s[2:3], vcc
	s_cbranch_execz .LBB174_17
; %bb.16:
	v_lshlrev_b32_e32 v6, 2, v9
	global_load_dword v6, v6, s[10:11]
.LBB174_17:
	s_or_b64 exec, exec, s[2:3]
	v_or_b32_e32 v9, 0x500, v0
	v_cmp_gt_u32_e32 vcc, s25, v9
	s_and_saveexec_b64 s[2:3], vcc
	s_cbranch_execz .LBB174_19
; %bb.18:
	v_lshlrev_b32_e32 v7, 2, v9
	global_load_dword v7, v7, s[10:11]
.LBB174_19:
	;; [unrolled: 9-line block ×3, first 2 shown]
	s_or_b64 exec, exec, s[2:3]
	s_waitcnt vmcnt(0)
	ds_write2st64_b32 v1, v2, v3 offset1:4
	ds_write2st64_b32 v1, v4, v5 offset0:8 offset1:12
	ds_write2st64_b32 v1, v6, v7 offset0:16 offset1:20
	ds_write_b32 v1, v8 offset:6144
	s_waitcnt lgkmcnt(0)
	s_barrier
.LBB174_22:
	v_mul_u32_u24_e32 v2, 7, v0
	v_lshlrev_b32_e32 v2, 2, v2
	ds_read2_b32 v[16:17], v2 offset1:1
	ds_read2_b32 v[14:15], v2 offset0:2 offset1:3
	ds_read2_b32 v[10:11], v2 offset0:4 offset1:5
	ds_read_b32 v19, v2 offset:24
	s_add_u32 s2, s6, s4
	s_addc_u32 s3, s7, s5
	s_add_u32 s2, s2, s8
	s_addc_u32 s3, s3, s9
	s_mov_b64 s[4:5], -1
	s_and_b64 vcc, exec, s[20:21]
	s_waitcnt lgkmcnt(0)
	s_barrier
	s_cbranch_vccz .LBB174_24
; %bb.23:
	global_load_dword v6, v1, s[2:3]
	global_load_dword v7, v1, s[2:3] offset:1024
	v_mov_b32_e32 v3, s3
	v_add_co_u32_e32 v4, vcc, s2, v1
	v_addc_co_u32_e32 v3, vcc, 0, v3, vcc
	global_load_dword v8, v1, s[2:3] offset:2048
	global_load_dword v9, v1, s[2:3] offset:3072
	s_movk_i32 s4, 0x1000
	v_add_co_u32_e32 v4, vcc, s4, v4
	v_addc_co_u32_e32 v5, vcc, 0, v3, vcc
	global_load_dword v3, v[4:5], off
	global_load_dword v18, v[4:5], off offset:1024
	global_load_dword v20, v[4:5], off offset:2048
	s_mov_b64 s[4:5], 0
	s_waitcnt vmcnt(6)
	v_cmp_eq_u32_e32 vcc, 1, v6
	v_cndmask_b32_e64 v4, 0, 1, vcc
	s_waitcnt vmcnt(5)
	v_cmp_eq_u32_e32 vcc, 1, v7
	v_cndmask_b32_e64 v5, 0, 1, vcc
	;; [unrolled: 3-line block ×4, first 2 shown]
	ds_write_b8 v0, v4
	ds_write_b8 v0, v5 offset:256
	ds_write_b8 v0, v6 offset:512
	;; [unrolled: 1-line block ×3, first 2 shown]
	s_waitcnt vmcnt(2)
	v_cmp_eq_u32_e32 vcc, 1, v3
	v_cndmask_b32_e64 v3, 0, 1, vcc
	s_waitcnt vmcnt(1)
	v_cmp_eq_u32_e32 vcc, 1, v18
	v_cndmask_b32_e64 v4, 0, 1, vcc
	;; [unrolled: 3-line block ×3, first 2 shown]
	ds_write_b8 v0, v3 offset:1024
	ds_write_b8 v0, v4 offset:1280
	;; [unrolled: 1-line block ×3, first 2 shown]
	s_waitcnt lgkmcnt(0)
	s_barrier
.LBB174_24:
	s_andn2_b64 vcc, exec, s[4:5]
	s_cbranch_vccnz .LBB174_40
; %bb.25:
	v_cmp_gt_u32_e32 vcc, s25, v0
	v_mov_b32_e32 v3, 0
	v_mov_b32_e32 v4, 0
	s_and_saveexec_b64 s[4:5], vcc
	s_cbranch_execz .LBB174_27
; %bb.26:
	global_load_dword v4, v1, s[2:3]
	s_waitcnt vmcnt(0)
	v_cmp_eq_u32_e32 vcc, 1, v4
	v_cndmask_b32_e64 v4, 0, 1, vcc
.LBB174_27:
	s_or_b64 exec, exec, s[4:5]
	v_or_b32_e32 v5, 0x100, v0
	v_cmp_gt_u32_e32 vcc, s25, v5
	s_and_saveexec_b64 s[4:5], vcc
	s_cbranch_execz .LBB174_29
; %bb.28:
	global_load_dword v3, v1, s[2:3] offset:1024
	s_waitcnt vmcnt(0)
	v_cmp_eq_u32_e32 vcc, 1, v3
	v_cndmask_b32_e64 v3, 0, 1, vcc
.LBB174_29:
	s_or_b64 exec, exec, s[4:5]
	v_or_b32_e32 v5, 0x200, v0
	v_cmp_gt_u32_e32 vcc, s25, v5
	v_mov_b32_e32 v5, 0
	v_mov_b32_e32 v6, 0
	s_and_saveexec_b64 s[4:5], vcc
	s_cbranch_execz .LBB174_31
; %bb.30:
	global_load_dword v6, v1, s[2:3] offset:2048
	s_waitcnt vmcnt(0)
	v_cmp_eq_u32_e32 vcc, 1, v6
	v_cndmask_b32_e64 v6, 0, 1, vcc
.LBB174_31:
	s_or_b64 exec, exec, s[4:5]
	v_or_b32_e32 v7, 0x300, v0
	v_cmp_gt_u32_e32 vcc, s25, v7
	s_and_saveexec_b64 s[4:5], vcc
	s_cbranch_execz .LBB174_33
; %bb.32:
	global_load_dword v1, v1, s[2:3] offset:3072
	s_waitcnt vmcnt(0)
	v_cmp_eq_u32_e32 vcc, 1, v1
	v_cndmask_b32_e64 v5, 0, 1, vcc
.LBB174_33:
	s_or_b64 exec, exec, s[4:5]
	v_or_b32_e32 v8, 0x400, v0
	v_cmp_gt_u32_e32 vcc, s25, v8
	v_mov_b32_e32 v1, 0
	v_mov_b32_e32 v7, 0
	s_and_saveexec_b64 s[4:5], vcc
	s_cbranch_execz .LBB174_35
; %bb.34:
	v_lshlrev_b32_e32 v7, 2, v8
	global_load_dword v7, v7, s[2:3]
	s_waitcnt vmcnt(0)
	v_cmp_eq_u32_e32 vcc, 1, v7
	v_cndmask_b32_e64 v7, 0, 1, vcc
.LBB174_35:
	s_or_b64 exec, exec, s[4:5]
	v_or_b32_e32 v8, 0x500, v0
	v_cmp_gt_u32_e32 vcc, s25, v8
	s_and_saveexec_b64 s[4:5], vcc
	s_cbranch_execz .LBB174_37
; %bb.36:
	v_lshlrev_b32_e32 v1, 2, v8
	global_load_dword v1, v1, s[2:3]
	s_waitcnt vmcnt(0)
	v_cmp_eq_u32_e32 vcc, 1, v1
	v_cndmask_b32_e64 v1, 0, 1, vcc
.LBB174_37:
	s_or_b64 exec, exec, s[4:5]
	v_or_b32_e32 v9, 0x600, v0
	v_cmp_gt_u32_e32 vcc, s25, v9
	v_mov_b32_e32 v8, 0
	s_and_saveexec_b64 s[4:5], vcc
	s_cbranch_execz .LBB174_39
; %bb.38:
	v_lshlrev_b32_e32 v8, 2, v9
	global_load_dword v8, v8, s[2:3]
	s_waitcnt vmcnt(0)
	v_cmp_eq_u32_e32 vcc, 1, v8
	v_cndmask_b32_e64 v8, 0, 1, vcc
.LBB174_39:
	s_or_b64 exec, exec, s[4:5]
	ds_write_b8 v0, v4
	ds_write_b8 v0, v3 offset:256
	ds_write_b8 v0, v6 offset:512
	;; [unrolled: 1-line block ×6, first 2 shown]
	s_waitcnt lgkmcnt(0)
	s_barrier
.LBB174_40:
	s_movk_i32 s2, 0xffeb
	v_mad_i32_i24 v25, v0, s2, v2
	ds_read_u8 v1, v25
	ds_read_u8 v2, v25 offset:1
	ds_read_u8 v3, v25 offset:2
	;; [unrolled: 1-line block ×6, first 2 shown]
	s_waitcnt lgkmcnt(6)
	v_and_b32_e32 v28, 1, v1
	s_waitcnt lgkmcnt(5)
	v_and_b32_e32 v26, 1, v2
	s_waitcnt lgkmcnt(4)
	v_and_b32_e32 v24, 1, v3
	v_add_co_u32_e32 v2, vcc, v26, v28
	v_addc_co_u32_e64 v3, s[2:3], 0, 0, vcc
	v_add_co_u32_e32 v2, vcc, v2, v24
	s_waitcnt lgkmcnt(3)
	v_and_b32_e32 v22, 1, v4
	v_addc_co_u32_e32 v3, vcc, 0, v3, vcc
	v_add_co_u32_e32 v2, vcc, v2, v22
	s_waitcnt lgkmcnt(2)
	v_and_b32_e32 v20, 1, v5
	v_addc_co_u32_e32 v3, vcc, 0, v3, vcc
	v_add_co_u32_e32 v2, vcc, v2, v20
	s_waitcnt lgkmcnt(1)
	v_and_b32_e32 v18, 1, v6
	v_addc_co_u32_e32 v3, vcc, 0, v3, vcc
	v_add_co_u32_e32 v2, vcc, v2, v18
	s_waitcnt lgkmcnt(0)
	v_and_b32_e32 v21, 1, v7
	v_addc_co_u32_e32 v3, vcc, 0, v3, vcc
	v_add_co_u32_e32 v30, vcc, v2, v21
	v_mbcnt_lo_u32_b32 v2, -1, 0
	v_mbcnt_hi_u32_b32 v23, -1, v2
	v_addc_co_u32_e32 v31, vcc, 0, v3, vcc
	v_and_b32_e32 v29, 15, v23
	s_cmp_lg_u32 s24, 0
	v_mov_b32_e32 v1, 0
	v_cmp_eq_u32_e64 s[4:5], 0, v29
	v_cmp_lt_u32_e64 s[2:3], 1, v29
	v_cmp_lt_u32_e64 s[10:11], 3, v29
	;; [unrolled: 1-line block ×3, first 2 shown]
	v_and_b32_e32 v27, 16, v23
	v_cmp_eq_u32_e64 s[6:7], 0, v23
	v_cmp_ne_u32_e32 vcc, 0, v23
	s_barrier
	s_cbranch_scc0 .LBB174_69
; %bb.41:
	v_mov_b32_dpp v2, v30 row_shr:1 row_mask:0xf bank_mask:0xf
	v_add_co_u32_e64 v2, s[12:13], v30, v2
	v_addc_co_u32_e64 v3, s[12:13], 0, v31, s[12:13]
	v_mov_b32_dpp v1, v1 row_shr:1 row_mask:0xf bank_mask:0xf
	v_add_co_u32_e64 v4, s[12:13], 0, v2
	v_addc_co_u32_e64 v1, s[12:13], v1, v3, s[12:13]
	v_cndmask_b32_e64 v2, v2, v30, s[4:5]
	v_cndmask_b32_e64 v3, v1, 0, s[4:5]
	v_cndmask_b32_e64 v4, v4, v30, s[4:5]
	v_mov_b32_dpp v5, v2 row_shr:2 row_mask:0xf bank_mask:0xf
	v_cndmask_b32_e64 v1, v1, v31, s[4:5]
	v_mov_b32_dpp v6, v3 row_shr:2 row_mask:0xf bank_mask:0xf
	v_add_co_u32_e64 v5, s[12:13], v5, v4
	v_addc_co_u32_e64 v6, s[12:13], v6, v1, s[12:13]
	v_cndmask_b32_e64 v2, v2, v5, s[2:3]
	v_cndmask_b32_e64 v3, v3, v6, s[2:3]
	v_cndmask_b32_e64 v4, v4, v5, s[2:3]
	v_mov_b32_dpp v5, v2 row_shr:4 row_mask:0xf bank_mask:0xf
	v_cndmask_b32_e64 v1, v1, v6, s[2:3]
	;; [unrolled: 8-line block ×3, first 2 shown]
	v_mov_b32_dpp v6, v3 row_shr:8 row_mask:0xf bank_mask:0xf
	v_add_co_u32_e64 v5, s[10:11], v5, v4
	v_addc_co_u32_e64 v6, s[10:11], v6, v1, s[10:11]
	v_cndmask_b32_e64 v2, v2, v5, s[8:9]
	v_cndmask_b32_e64 v3, v3, v6, s[8:9]
	;; [unrolled: 1-line block ×3, first 2 shown]
	v_mov_b32_dpp v5, v2 row_bcast:15 row_mask:0xf bank_mask:0xf
	v_cndmask_b32_e64 v1, v1, v6, s[8:9]
	v_mov_b32_dpp v6, v3 row_bcast:15 row_mask:0xf bank_mask:0xf
	v_add_co_u32_e64 v5, s[8:9], v5, v4
	v_addc_co_u32_e64 v7, s[8:9], v6, v1, s[8:9]
	v_cmp_eq_u32_e64 s[8:9], 0, v27
	v_cndmask_b32_e64 v3, v7, v3, s[8:9]
	v_cndmask_b32_e64 v2, v5, v2, s[8:9]
	s_nop 0
	v_mov_b32_dpp v8, v3 row_bcast:31 row_mask:0xf bank_mask:0xf
	v_mov_b32_dpp v6, v2 row_bcast:31 row_mask:0xf bank_mask:0xf
	v_pk_mov_b32 v[2:3], v[30:31], v[30:31] op_sel:[0,1]
	s_and_saveexec_b64 s[10:11], vcc
; %bb.42:
	v_cmp_lt_u32_e32 vcc, 31, v23
	v_cndmask_b32_e64 v2, v5, v4, s[8:9]
	v_cndmask_b32_e32 v4, 0, v6, vcc
	v_cndmask_b32_e64 v1, v7, v1, s[8:9]
	v_cndmask_b32_e32 v3, 0, v8, vcc
	v_add_co_u32_e32 v2, vcc, v4, v2
	v_addc_co_u32_e32 v3, vcc, v3, v1, vcc
; %bb.43:
	s_or_b64 exec, exec, s[10:11]
	v_or_b32_e32 v4, 63, v0
	v_lshrrev_b32_e32 v1, 6, v0
	v_cmp_eq_u32_e32 vcc, v4, v0
	s_and_saveexec_b64 s[8:9], vcc
	s_cbranch_execz .LBB174_45
; %bb.44:
	v_lshlrev_b32_e32 v4, 3, v1
	ds_write_b64 v4, v[2:3]
.LBB174_45:
	s_or_b64 exec, exec, s[8:9]
	v_cmp_gt_u32_e32 vcc, 4, v0
	s_waitcnt lgkmcnt(0)
	s_barrier
	s_and_saveexec_b64 s[10:11], vcc
	s_cbranch_execz .LBB174_47
; %bb.46:
	v_lshlrev_b32_e32 v6, 3, v0
	ds_read_b64 v[4:5], v6
	v_and_b32_e32 v7, 3, v23
	v_cmp_ne_u32_e64 s[8:9], 1, v7
	s_waitcnt lgkmcnt(0)
	v_mov_b32_dpp v8, v4 row_shr:1 row_mask:0xf bank_mask:0xf
	v_add_co_u32_e32 v8, vcc, v4, v8
	v_addc_co_u32_e32 v32, vcc, 0, v5, vcc
	v_mov_b32_dpp v9, v5 row_shr:1 row_mask:0xf bank_mask:0xf
	v_add_co_u32_e32 v33, vcc, 0, v8
	v_addc_co_u32_e32 v9, vcc, v9, v32, vcc
	v_cmp_eq_u32_e32 vcc, 0, v7
	v_cndmask_b32_e32 v8, v8, v4, vcc
	v_cndmask_b32_e32 v32, v9, v5, vcc
	s_nop 0
	v_mov_b32_dpp v8, v8 row_shr:2 row_mask:0xf bank_mask:0xf
	v_mov_b32_dpp v32, v32 row_shr:2 row_mask:0xf bank_mask:0xf
	v_cndmask_b32_e64 v7, 0, v8, s[8:9]
	v_cndmask_b32_e64 v8, 0, v32, s[8:9]
	v_add_co_u32_e64 v7, s[8:9], v7, v33
	v_addc_co_u32_e64 v8, s[8:9], v8, v9, s[8:9]
	v_cndmask_b32_e32 v5, v8, v5, vcc
	v_cndmask_b32_e32 v4, v7, v4, vcc
	ds_write_b64 v6, v[4:5]
.LBB174_47:
	s_or_b64 exec, exec, s[10:11]
	v_cmp_gt_u32_e32 vcc, 64, v0
	v_cmp_lt_u32_e64 s[8:9], 63, v0
	s_waitcnt lgkmcnt(0)
	s_barrier
	s_waitcnt lgkmcnt(0)
                                        ; implicit-def: $vgpr32_vgpr33
	s_and_saveexec_b64 s[10:11], s[8:9]
	s_cbranch_execz .LBB174_49
; %bb.48:
	v_lshl_add_u32 v1, v1, 3, -8
	ds_read_b64 v[32:33], v1
	s_waitcnt lgkmcnt(0)
	v_add_co_u32_e64 v2, s[8:9], v32, v2
	v_addc_co_u32_e64 v3, s[8:9], v33, v3, s[8:9]
.LBB174_49:
	s_or_b64 exec, exec, s[10:11]
	v_add_u32_e32 v1, -1, v23
	v_and_b32_e32 v4, 64, v23
	v_cmp_lt_i32_e64 s[8:9], v1, v4
	v_cndmask_b32_e64 v1, v1, v23, s[8:9]
	v_lshlrev_b32_e32 v1, 2, v1
	ds_bpermute_b32 v40, v1, v2
	ds_bpermute_b32 v1, v1, v3
	s_and_saveexec_b64 s[12:13], vcc
	s_cbranch_execz .LBB174_68
; %bb.50:
	v_mov_b32_e32 v5, 0
	ds_read_b64 v[2:3], v5 offset:24
	s_and_saveexec_b64 s[8:9], s[6:7]
	s_cbranch_execz .LBB174_52
; %bb.51:
	s_add_i32 s10, s24, 64
	s_mov_b32 s11, 0
	s_lshl_b64 s[10:11], s[10:11], 4
	s_add_u32 s10, s22, s10
	s_addc_u32 s11, s23, s11
	v_mov_b32_e32 v4, 1
	v_pk_mov_b32 v[6:7], s[10:11], s[10:11] op_sel:[0,1]
	s_waitcnt lgkmcnt(0)
	;;#ASMSTART
	global_store_dwordx4 v[6:7], v[2:5] off	
s_waitcnt vmcnt(0)
	;;#ASMEND
.LBB174_52:
	s_or_b64 exec, exec, s[8:9]
	v_xad_u32 v34, v23, -1, s24
	v_add_u32_e32 v4, 64, v34
	v_lshlrev_b64 v[6:7], 4, v[4:5]
	v_mov_b32_e32 v4, s23
	v_add_co_u32_e32 v36, vcc, s22, v6
	v_addc_co_u32_e32 v37, vcc, v4, v7, vcc
	;;#ASMSTART
	global_load_dwordx4 v[6:9], v[36:37] off glc	
s_waitcnt vmcnt(0)
	;;#ASMEND
	v_and_b32_e32 v4, 0xff, v7
	v_and_b32_e32 v9, 0xff00, v7
	v_or3_b32 v4, 0, v4, v9
	v_or3_b32 v6, v6, 0, 0
	v_and_b32_e32 v9, 0xff000000, v7
	v_and_b32_e32 v7, 0xff0000, v7
	v_or3_b32 v7, v4, v7, v9
	v_or3_b32 v6, v6, 0, 0
	v_cmp_eq_u16_sdwa s[10:11], v8, v5 src0_sel:BYTE_0 src1_sel:DWORD
	s_and_saveexec_b64 s[8:9], s[10:11]
	s_cbranch_execz .LBB174_56
; %bb.53:
	s_mov_b64 s[10:11], 0
	v_mov_b32_e32 v4, 0
.LBB174_54:                             ; =>This Inner Loop Header: Depth=1
	;;#ASMSTART
	global_load_dwordx4 v[6:9], v[36:37] off glc	
s_waitcnt vmcnt(0)
	;;#ASMEND
	v_cmp_ne_u16_sdwa s[26:27], v8, v4 src0_sel:BYTE_0 src1_sel:DWORD
	s_or_b64 s[10:11], s[26:27], s[10:11]
	s_andn2_b64 exec, exec, s[10:11]
	s_cbranch_execnz .LBB174_54
; %bb.55:
	s_or_b64 exec, exec, s[10:11]
.LBB174_56:
	s_or_b64 exec, exec, s[8:9]
	v_and_b32_e32 v42, 63, v23
	v_mov_b32_e32 v41, 2
	v_cmp_ne_u32_e32 vcc, 63, v42
	v_cmp_eq_u16_sdwa s[8:9], v8, v41 src0_sel:BYTE_0 src1_sel:DWORD
	v_lshlrev_b64 v[36:37], v23, -1
	v_addc_co_u32_e32 v9, vcc, 0, v23, vcc
	v_and_b32_e32 v4, s9, v37
	v_lshlrev_b32_e32 v43, 2, v9
	v_or_b32_e32 v4, 0x80000000, v4
	ds_bpermute_b32 v9, v43, v6
	v_and_b32_e32 v5, s8, v36
	v_ffbl_b32_e32 v4, v4
	v_add_u32_e32 v4, 32, v4
	v_ffbl_b32_e32 v5, v5
	v_min_u32_e32 v4, v5, v4
	ds_bpermute_b32 v5, v43, v7
	s_waitcnt lgkmcnt(1)
	v_add_co_u32_e32 v9, vcc, v6, v9
	v_addc_co_u32_e32 v38, vcc, 0, v7, vcc
	v_add_co_u32_e32 v39, vcc, 0, v9
	v_cmp_gt_u32_e64 s[8:9], 62, v42
	s_waitcnt lgkmcnt(0)
	v_addc_co_u32_e32 v5, vcc, v5, v38, vcc
	v_cndmask_b32_e64 v38, 0, 1, s[8:9]
	v_cmp_lt_u32_e32 vcc, v42, v4
	v_lshlrev_b32_e32 v38, 1, v38
	v_cndmask_b32_e32 v9, v6, v9, vcc
	v_add_lshl_u32 v44, v38, v23, 2
	v_cndmask_b32_e32 v5, v7, v5, vcc
	ds_bpermute_b32 v38, v44, v9
	ds_bpermute_b32 v46, v44, v5
	v_cndmask_b32_e32 v39, v6, v39, vcc
	v_add_u32_e32 v45, 2, v42
	v_cmp_gt_u32_e64 s[10:11], 60, v42
	s_waitcnt lgkmcnt(1)
	v_add_co_u32_e64 v38, s[8:9], v38, v39
	s_waitcnt lgkmcnt(0)
	v_addc_co_u32_e64 v46, s[8:9], v46, v5, s[8:9]
	v_cmp_gt_u32_e64 s[8:9], v45, v4
	v_cndmask_b32_e64 v5, v46, v5, s[8:9]
	v_cndmask_b32_e64 v46, 0, 1, s[10:11]
	v_lshlrev_b32_e32 v46, 2, v46
	v_cndmask_b32_e64 v9, v38, v9, s[8:9]
	v_add_lshl_u32 v46, v46, v23, 2
	ds_bpermute_b32 v48, v46, v9
	v_cndmask_b32_e64 v38, v38, v39, s[8:9]
	ds_bpermute_b32 v39, v46, v5
	v_add_u32_e32 v47, 4, v42
	v_cmp_gt_u32_e64 s[10:11], 56, v42
	s_waitcnt lgkmcnt(1)
	v_add_co_u32_e64 v49, s[8:9], v48, v38
	s_waitcnt lgkmcnt(0)
	v_addc_co_u32_e64 v39, s[8:9], v39, v5, s[8:9]
	v_cmp_gt_u32_e64 s[8:9], v47, v4
	v_cndmask_b32_e64 v5, v39, v5, s[8:9]
	v_cndmask_b32_e64 v39, 0, 1, s[10:11]
	v_lshlrev_b32_e32 v39, 3, v39
	v_cndmask_b32_e64 v9, v49, v9, s[8:9]
	v_add_lshl_u32 v48, v39, v23, 2
	ds_bpermute_b32 v39, v48, v9
	ds_bpermute_b32 v50, v48, v5
	v_cndmask_b32_e64 v38, v49, v38, s[8:9]
	v_add_u32_e32 v49, 8, v42
	v_cmp_gt_u32_e64 s[10:11], 48, v42
	s_waitcnt lgkmcnt(1)
	v_add_co_u32_e64 v39, s[8:9], v39, v38
	s_waitcnt lgkmcnt(0)
	v_addc_co_u32_e64 v50, s[8:9], v50, v5, s[8:9]
	v_cmp_gt_u32_e64 s[8:9], v49, v4
	v_cndmask_b32_e64 v5, v50, v5, s[8:9]
	v_cndmask_b32_e64 v50, 0, 1, s[10:11]
	v_lshlrev_b32_e32 v50, 4, v50
	v_cndmask_b32_e64 v9, v39, v9, s[8:9]
	v_add_lshl_u32 v50, v50, v23, 2
	ds_bpermute_b32 v52, v50, v9
	v_cndmask_b32_e64 v38, v39, v38, s[8:9]
	ds_bpermute_b32 v39, v50, v5
	v_cmp_gt_u32_e64 s[10:11], 32, v42
	v_add_u32_e32 v51, 16, v42
	s_waitcnt lgkmcnt(1)
	v_add_co_u32_e64 v54, s[8:9], v52, v38
	s_waitcnt lgkmcnt(0)
	v_addc_co_u32_e64 v39, s[8:9], v39, v5, s[8:9]
	v_cndmask_b32_e64 v52, 0, 1, s[10:11]
	v_cmp_gt_u32_e64 s[8:9], v51, v4
	v_lshlrev_b32_e32 v52, 5, v52
	v_cndmask_b32_e64 v9, v54, v9, s[8:9]
	v_add_lshl_u32 v52, v52, v23, 2
	v_cndmask_b32_e64 v5, v39, v5, s[8:9]
	ds_bpermute_b32 v9, v52, v9
	ds_bpermute_b32 v39, v52, v5
	v_add_u32_e32 v53, 32, v42
	v_cndmask_b32_e64 v38, v54, v38, s[8:9]
	v_cmp_le_u32_e64 s[8:9], v53, v4
	s_waitcnt lgkmcnt(1)
	v_cndmask_b32_e64 v9, 0, v9, s[8:9]
	s_waitcnt lgkmcnt(0)
	v_cndmask_b32_e64 v4, 0, v39, s[8:9]
	v_add_co_u32_e64 v9, s[8:9], v9, v38
	v_addc_co_u32_e64 v4, s[8:9], v4, v5, s[8:9]
	v_mov_b32_e32 v35, 0
	v_cndmask_b32_e32 v7, v7, v4, vcc
	v_cndmask_b32_e32 v6, v6, v9, vcc
	s_branch .LBB174_58
.LBB174_57:                             ;   in Loop: Header=BB174_58 Depth=1
	s_or_b64 exec, exec, s[8:9]
	v_cmp_eq_u16_sdwa s[8:9], v8, v41 src0_sel:BYTE_0 src1_sel:DWORD
	v_and_b32_e32 v9, s9, v37
	v_or_b32_e32 v9, 0x80000000, v9
	ds_bpermute_b32 v39, v43, v6
	v_and_b32_e32 v38, s8, v36
	v_ffbl_b32_e32 v9, v9
	v_add_u32_e32 v9, 32, v9
	v_ffbl_b32_e32 v38, v38
	v_min_u32_e32 v9, v38, v9
	ds_bpermute_b32 v38, v43, v7
	s_waitcnt lgkmcnt(1)
	v_add_co_u32_e32 v39, vcc, v6, v39
	v_addc_co_u32_e32 v54, vcc, 0, v7, vcc
	v_add_co_u32_e32 v55, vcc, 0, v39
	s_waitcnt lgkmcnt(0)
	v_addc_co_u32_e32 v38, vcc, v38, v54, vcc
	v_cmp_lt_u32_e32 vcc, v42, v9
	v_cndmask_b32_e32 v39, v6, v39, vcc
	ds_bpermute_b32 v54, v44, v39
	v_cndmask_b32_e32 v38, v7, v38, vcc
	ds_bpermute_b32 v56, v44, v38
	v_cndmask_b32_e32 v55, v6, v55, vcc
	v_subrev_u32_e32 v34, 64, v34
	s_waitcnt lgkmcnt(1)
	v_add_co_u32_e64 v54, s[8:9], v54, v55
	s_waitcnt lgkmcnt(0)
	v_addc_co_u32_e64 v56, s[8:9], v56, v38, s[8:9]
	v_cmp_gt_u32_e64 s[8:9], v45, v9
	v_cndmask_b32_e64 v39, v54, v39, s[8:9]
	ds_bpermute_b32 v57, v46, v39
	v_cndmask_b32_e64 v38, v56, v38, s[8:9]
	ds_bpermute_b32 v56, v46, v38
	v_cndmask_b32_e64 v54, v54, v55, s[8:9]
	s_waitcnt lgkmcnt(1)
	v_add_co_u32_e64 v55, s[8:9], v57, v54
	s_waitcnt lgkmcnt(0)
	v_addc_co_u32_e64 v56, s[8:9], v56, v38, s[8:9]
	v_cmp_gt_u32_e64 s[8:9], v47, v9
	v_cndmask_b32_e64 v39, v55, v39, s[8:9]
	ds_bpermute_b32 v57, v48, v39
	v_cndmask_b32_e64 v38, v56, v38, s[8:9]
	ds_bpermute_b32 v56, v48, v38
	v_cndmask_b32_e64 v54, v55, v54, s[8:9]
	;; [unrolled: 10-line block ×3, first 2 shown]
	s_waitcnt lgkmcnt(1)
	v_add_co_u32_e64 v55, s[8:9], v57, v54
	s_waitcnt lgkmcnt(0)
	v_addc_co_u32_e64 v56, s[8:9], v56, v38, s[8:9]
	v_cmp_gt_u32_e64 s[8:9], v51, v9
	v_cndmask_b32_e64 v39, v55, v39, s[8:9]
	v_cndmask_b32_e64 v38, v56, v38, s[8:9]
	ds_bpermute_b32 v39, v52, v39
	ds_bpermute_b32 v56, v52, v38
	v_cndmask_b32_e64 v54, v55, v54, s[8:9]
	v_cmp_le_u32_e64 s[8:9], v53, v9
	s_waitcnt lgkmcnt(1)
	v_cndmask_b32_e64 v39, 0, v39, s[8:9]
	s_waitcnt lgkmcnt(0)
	v_cndmask_b32_e64 v9, 0, v56, s[8:9]
	v_add_co_u32_e64 v39, s[8:9], v39, v54
	v_addc_co_u32_e64 v9, s[8:9], v9, v38, s[8:9]
	v_cndmask_b32_e32 v6, v6, v39, vcc
	v_cndmask_b32_e32 v7, v7, v9, vcc
	v_add_co_u32_e32 v6, vcc, v6, v4
	v_addc_co_u32_e32 v7, vcc, v7, v5, vcc
.LBB174_58:                             ; =>This Loop Header: Depth=1
                                        ;     Child Loop BB174_61 Depth 2
	v_cmp_ne_u16_sdwa s[8:9], v8, v41 src0_sel:BYTE_0 src1_sel:DWORD
	v_cndmask_b32_e64 v4, 0, 1, s[8:9]
	;;#ASMSTART
	;;#ASMEND
	v_cmp_ne_u32_e32 vcc, 0, v4
	s_cmp_lg_u64 vcc, exec
	v_pk_mov_b32 v[4:5], v[6:7], v[6:7] op_sel:[0,1]
	s_cbranch_scc1 .LBB174_63
; %bb.59:                               ;   in Loop: Header=BB174_58 Depth=1
	v_lshlrev_b64 v[6:7], 4, v[34:35]
	v_mov_b32_e32 v8, s23
	v_add_co_u32_e32 v38, vcc, s22, v6
	v_addc_co_u32_e32 v39, vcc, v8, v7, vcc
	;;#ASMSTART
	global_load_dwordx4 v[6:9], v[38:39] off glc	
s_waitcnt vmcnt(0)
	;;#ASMEND
	v_and_b32_e32 v9, 0xff, v7
	v_and_b32_e32 v54, 0xff00, v7
	v_or3_b32 v9, 0, v9, v54
	v_or3_b32 v6, v6, 0, 0
	v_and_b32_e32 v54, 0xff000000, v7
	v_and_b32_e32 v7, 0xff0000, v7
	v_or3_b32 v7, v9, v7, v54
	v_or3_b32 v6, v6, 0, 0
	v_cmp_eq_u16_sdwa s[10:11], v8, v35 src0_sel:BYTE_0 src1_sel:DWORD
	s_and_saveexec_b64 s[8:9], s[10:11]
	s_cbranch_execz .LBB174_57
; %bb.60:                               ;   in Loop: Header=BB174_58 Depth=1
	s_mov_b64 s[10:11], 0
.LBB174_61:                             ;   Parent Loop BB174_58 Depth=1
                                        ; =>  This Inner Loop Header: Depth=2
	;;#ASMSTART
	global_load_dwordx4 v[6:9], v[38:39] off glc	
s_waitcnt vmcnt(0)
	;;#ASMEND
	v_cmp_ne_u16_sdwa s[26:27], v8, v35 src0_sel:BYTE_0 src1_sel:DWORD
	s_or_b64 s[10:11], s[26:27], s[10:11]
	s_andn2_b64 exec, exec, s[10:11]
	s_cbranch_execnz .LBB174_61
; %bb.62:                               ;   in Loop: Header=BB174_58 Depth=1
	s_or_b64 exec, exec, s[10:11]
	s_branch .LBB174_57
.LBB174_63:                             ;   in Loop: Header=BB174_58 Depth=1
                                        ; implicit-def: $vgpr6_vgpr7
                                        ; implicit-def: $vgpr8
	s_cbranch_execz .LBB174_58
; %bb.64:
	s_and_saveexec_b64 s[8:9], s[6:7]
	s_cbranch_execz .LBB174_66
; %bb.65:
	s_add_i32 s10, s24, 64
	s_mov_b32 s11, 0
	s_lshl_b64 s[10:11], s[10:11], 4
	s_add_u32 s10, s22, s10
	v_add_co_u32_e32 v6, vcc, v4, v2
	s_addc_u32 s11, s23, s11
	v_addc_co_u32_e32 v7, vcc, v5, v3, vcc
	v_mov_b32_e32 v8, 2
	v_mov_b32_e32 v9, 0
	v_pk_mov_b32 v[34:35], s[10:11], s[10:11] op_sel:[0,1]
	;;#ASMSTART
	global_store_dwordx4 v[34:35], v[6:9] off	
s_waitcnt vmcnt(0)
	;;#ASMEND
	ds_write_b128 v9, v[2:5] offset:7168
.LBB174_66:
	s_or_b64 exec, exec, s[8:9]
	s_and_b64 exec, exec, s[0:1]
	s_cbranch_execz .LBB174_68
; %bb.67:
	v_mov_b32_e32 v2, 0
	ds_write_b64 v2, v[4:5] offset:24
.LBB174_68:
	s_or_b64 exec, exec, s[12:13]
	v_mov_b32_e32 v5, 0
	s_waitcnt lgkmcnt(0)
	s_barrier
	ds_read_b64 v[2:3], v5 offset:24
	v_cndmask_b32_e64 v4, v40, v32, s[6:7]
	v_cndmask_b32_e64 v1, v1, v33, s[6:7]
	;; [unrolled: 1-line block ×4, first 2 shown]
	s_waitcnt lgkmcnt(0)
	v_add_co_u32_e32 v40, vcc, v2, v4
	v_addc_co_u32_e32 v41, vcc, v3, v1, vcc
	v_add_co_u32_e32 v38, vcc, v40, v28
	v_addc_co_u32_e32 v39, vcc, 0, v41, vcc
	;; [unrolled: 2-line block ×5, first 2 shown]
	s_barrier
	ds_read_b128 v[4:7], v5 offset:7168
	v_add_co_u32_e32 v2, vcc, v32, v20
	v_addc_co_u32_e32 v3, vcc, 0, v33, vcc
	v_add_co_u32_e32 v8, vcc, v2, v18
	v_addc_co_u32_e32 v9, vcc, 0, v3, vcc
	s_branch .LBB174_81
.LBB174_69:
                                        ; implicit-def: $vgpr6_vgpr7
                                        ; implicit-def: $vgpr8_vgpr9
                                        ; implicit-def: $vgpr2_vgpr3
                                        ; implicit-def: $vgpr32_vgpr33
                                        ; implicit-def: $vgpr34_vgpr35
                                        ; implicit-def: $vgpr36_vgpr37
                                        ; implicit-def: $vgpr38_vgpr39
                                        ; implicit-def: $vgpr40_vgpr41
	s_cbranch_execz .LBB174_81
; %bb.70:
	v_mov_b32_dpp v1, v30 row_shr:1 row_mask:0xf bank_mask:0xf
	v_add_co_u32_e32 v1, vcc, v30, v1
	v_mov_b32_e32 v2, 0
	v_addc_co_u32_e32 v3, vcc, 0, v31, vcc
	s_nop 0
	v_mov_b32_dpp v2, v2 row_shr:1 row_mask:0xf bank_mask:0xf
	s_waitcnt lgkmcnt(0)
	v_add_co_u32_e32 v4, vcc, 0, v1
	v_addc_co_u32_e32 v2, vcc, v2, v3, vcc
	v_cndmask_b32_e64 v1, v1, v30, s[4:5]
	v_cndmask_b32_e64 v3, v2, 0, s[4:5]
	v_cndmask_b32_e64 v4, v4, v30, s[4:5]
	v_mov_b32_dpp v5, v1 row_shr:2 row_mask:0xf bank_mask:0xf
	v_cndmask_b32_e64 v2, v2, v31, s[4:5]
	v_mov_b32_dpp v6, v3 row_shr:2 row_mask:0xf bank_mask:0xf
	v_add_co_u32_e32 v5, vcc, v5, v4
	v_addc_co_u32_e32 v6, vcc, v6, v2, vcc
	v_cndmask_b32_e64 v1, v1, v5, s[2:3]
	v_cndmask_b32_e64 v3, v3, v6, s[2:3]
	;; [unrolled: 1-line block ×3, first 2 shown]
	v_mov_b32_dpp v5, v1 row_shr:4 row_mask:0xf bank_mask:0xf
	v_cndmask_b32_e64 v2, v2, v6, s[2:3]
	v_mov_b32_dpp v6, v3 row_shr:4 row_mask:0xf bank_mask:0xf
	v_add_co_u32_e32 v5, vcc, v5, v4
	v_addc_co_u32_e32 v6, vcc, v6, v2, vcc
	v_cmp_lt_u32_e32 vcc, 3, v29
	v_cndmask_b32_e32 v1, v1, v5, vcc
	v_cndmask_b32_e32 v3, v3, v6, vcc
	;; [unrolled: 1-line block ×3, first 2 shown]
	v_mov_b32_dpp v5, v1 row_shr:8 row_mask:0xf bank_mask:0xf
	v_cndmask_b32_e32 v2, v2, v6, vcc
	v_mov_b32_dpp v6, v3 row_shr:8 row_mask:0xf bank_mask:0xf
	v_add_co_u32_e32 v5, vcc, v5, v4
	v_addc_co_u32_e32 v6, vcc, v6, v2, vcc
	v_cmp_lt_u32_e32 vcc, 7, v29
	v_cndmask_b32_e32 v8, v1, v5, vcc
	v_cndmask_b32_e32 v7, v3, v6, vcc
	;; [unrolled: 1-line block ×4, first 2 shown]
	v_mov_b32_dpp v3, v8 row_bcast:15 row_mask:0xf bank_mask:0xf
	v_mov_b32_dpp v4, v7 row_bcast:15 row_mask:0xf bank_mask:0xf
	v_add_co_u32_e32 v3, vcc, v3, v2
	v_addc_co_u32_e32 v5, vcc, v4, v1, vcc
	v_cmp_eq_u32_e64 s[2:3], 0, v27
	v_cndmask_b32_e64 v6, v5, v7, s[2:3]
	v_cndmask_b32_e64 v4, v3, v8, s[2:3]
	v_cmp_eq_u32_e32 vcc, 0, v23
	v_mov_b32_dpp v6, v6 row_bcast:31 row_mask:0xf bank_mask:0xf
	v_mov_b32_dpp v4, v4 row_bcast:31 row_mask:0xf bank_mask:0xf
	v_cmp_ne_u32_e64 s[4:5], 0, v23
	s_and_saveexec_b64 s[6:7], s[4:5]
; %bb.71:
	v_cndmask_b32_e64 v1, v5, v1, s[2:3]
	v_cndmask_b32_e64 v2, v3, v2, s[2:3]
	v_cmp_lt_u32_e64 s[2:3], 31, v23
	v_cndmask_b32_e64 v4, 0, v4, s[2:3]
	v_cndmask_b32_e64 v3, 0, v6, s[2:3]
	v_add_co_u32_e64 v30, s[2:3], v4, v2
	v_addc_co_u32_e64 v31, s[2:3], v3, v1, s[2:3]
; %bb.72:
	s_or_b64 exec, exec, s[6:7]
	v_or_b32_e32 v2, 63, v0
	v_lshrrev_b32_e32 v1, 6, v0
	v_cmp_eq_u32_e64 s[2:3], v2, v0
	s_and_saveexec_b64 s[4:5], s[2:3]
	s_cbranch_execz .LBB174_74
; %bb.73:
	v_lshlrev_b32_e32 v2, 3, v1
	ds_write_b64 v2, v[30:31]
.LBB174_74:
	s_or_b64 exec, exec, s[4:5]
	v_cmp_gt_u32_e64 s[2:3], 4, v0
	s_waitcnt lgkmcnt(0)
	s_barrier
	s_and_saveexec_b64 s[6:7], s[2:3]
	s_cbranch_execz .LBB174_76
; %bb.75:
	v_add_u32_e32 v4, v25, v0
	ds_read_b64 v[2:3], v4
	v_and_b32_e32 v5, 3, v23
	v_cmp_ne_u32_e64 s[4:5], 1, v5
	s_waitcnt lgkmcnt(0)
	v_mov_b32_dpp v6, v2 row_shr:1 row_mask:0xf bank_mask:0xf
	v_add_co_u32_e64 v6, s[2:3], v2, v6
	v_addc_co_u32_e64 v8, s[2:3], 0, v3, s[2:3]
	v_mov_b32_dpp v7, v3 row_shr:1 row_mask:0xf bank_mask:0xf
	v_add_co_u32_e64 v9, s[2:3], 0, v6
	v_addc_co_u32_e64 v7, s[2:3], v7, v8, s[2:3]
	v_cmp_eq_u32_e64 s[2:3], 0, v5
	v_cndmask_b32_e64 v6, v6, v2, s[2:3]
	v_cndmask_b32_e64 v8, v7, v3, s[2:3]
	s_nop 0
	v_mov_b32_dpp v6, v6 row_shr:2 row_mask:0xf bank_mask:0xf
	v_mov_b32_dpp v8, v8 row_shr:2 row_mask:0xf bank_mask:0xf
	v_cndmask_b32_e64 v5, 0, v6, s[4:5]
	v_cndmask_b32_e64 v6, 0, v8, s[4:5]
	v_add_co_u32_e64 v5, s[4:5], v5, v9
	v_addc_co_u32_e64 v6, s[4:5], v6, v7, s[4:5]
	v_cndmask_b32_e64 v3, v6, v3, s[2:3]
	v_cndmask_b32_e64 v2, v5, v2, s[2:3]
	ds_write_b64 v4, v[2:3]
.LBB174_76:
	s_or_b64 exec, exec, s[6:7]
	v_cmp_lt_u32_e64 s[2:3], 63, v0
	v_pk_mov_b32 v[2:3], 0, 0
	s_waitcnt lgkmcnt(0)
	s_barrier
	s_and_saveexec_b64 s[4:5], s[2:3]
	s_cbranch_execz .LBB174_78
; %bb.77:
	v_lshl_add_u32 v1, v1, 3, -8
	ds_read_b64 v[2:3], v1
.LBB174_78:
	s_or_b64 exec, exec, s[4:5]
	s_waitcnt lgkmcnt(0)
	v_add_co_u32_e64 v1, s[2:3], v2, v30
	v_addc_co_u32_e64 v4, s[2:3], v3, v31, s[2:3]
	v_add_u32_e32 v5, -1, v23
	v_and_b32_e32 v6, 64, v23
	v_cmp_lt_i32_e64 s[2:3], v5, v6
	v_cndmask_b32_e64 v5, v5, v23, s[2:3]
	v_lshlrev_b32_e32 v5, 2, v5
	v_mov_b32_e32 v7, 0
	ds_bpermute_b32 v1, v5, v1
	ds_bpermute_b32 v8, v5, v4
	ds_read_b64 v[4:5], v7 offset:24
	s_and_saveexec_b64 s[2:3], s[0:1]
	s_cbranch_execz .LBB174_80
; %bb.79:
	s_add_u32 s4, s22, 0x400
	s_addc_u32 s5, s23, 0
	v_mov_b32_e32 v6, 2
	v_pk_mov_b32 v[30:31], s[4:5], s[4:5] op_sel:[0,1]
	s_waitcnt lgkmcnt(0)
	;;#ASMSTART
	global_store_dwordx4 v[30:31], v[4:7] off	
s_waitcnt vmcnt(0)
	;;#ASMEND
.LBB174_80:
	s_or_b64 exec, exec, s[2:3]
	s_waitcnt lgkmcnt(2)
	v_cndmask_b32_e32 v1, v1, v2, vcc
	s_waitcnt lgkmcnt(1)
	v_cndmask_b32_e32 v2, v8, v3, vcc
	v_cndmask_b32_e64 v40, v1, 0, s[0:1]
	v_cndmask_b32_e64 v41, v2, 0, s[0:1]
	v_add_co_u32_e32 v38, vcc, v40, v28
	v_addc_co_u32_e32 v39, vcc, 0, v41, vcc
	v_add_co_u32_e32 v36, vcc, v38, v26
	v_addc_co_u32_e32 v37, vcc, 0, v39, vcc
	;; [unrolled: 2-line block ×6, first 2 shown]
	s_waitcnt lgkmcnt(0)
	s_barrier
	v_pk_mov_b32 v[6:7], 0, 0
.LBB174_81:
	s_mov_b64 s[2:3], 0x101
	s_waitcnt lgkmcnt(0)
	v_cmp_gt_u64_e32 vcc, s[2:3], v[4:5]
	s_mov_b64 s[2:3], -1
	s_cbranch_vccnz .LBB174_85
; %bb.82:
	s_and_b64 vcc, exec, s[2:3]
	s_cbranch_vccnz .LBB174_107
.LBB174_83:
	s_and_b64 s[0:1], s[0:1], s[18:19]
	s_and_saveexec_b64 s[2:3], s[0:1]
	s_cbranch_execnz .LBB174_126
.LBB174_84:
	s_endpgm
.LBB174_85:
	v_add_co_u32_e32 v30, vcc, v6, v4
	v_addc_co_u32_e32 v31, vcc, v7, v5, vcc
	s_waitcnt vmcnt(0)
	v_lshlrev_b64 v[42:43], 2, v[12:13]
	v_mov_b32_e32 v23, s15
	v_add_co_u32_e32 v1, vcc, s14, v42
	v_addc_co_u32_e32 v23, vcc, v23, v43, vcc
	v_cmp_lt_u64_e32 vcc, v[40:41], v[30:31]
	s_or_b64 s[4:5], s[20:21], vcc
	s_and_saveexec_b64 s[2:3], s[4:5]
	s_cbranch_execz .LBB174_88
; %bb.86:
	v_cmp_eq_u32_e32 vcc, 1, v28
	s_and_b64 exec, exec, vcc
	s_cbranch_execz .LBB174_88
; %bb.87:
	v_lshlrev_b64 v[42:43], 2, v[40:41]
	v_add_co_u32_e32 v42, vcc, v1, v42
	v_addc_co_u32_e32 v43, vcc, v23, v43, vcc
	global_store_dword v[42:43], v16, off
.LBB174_88:
	s_or_b64 exec, exec, s[2:3]
	v_cmp_lt_u64_e32 vcc, v[38:39], v[30:31]
	s_or_b64 s[4:5], s[20:21], vcc
	s_and_saveexec_b64 s[2:3], s[4:5]
	s_cbranch_execz .LBB174_91
; %bb.89:
	v_cmp_eq_u32_e32 vcc, 1, v26
	s_and_b64 exec, exec, vcc
	s_cbranch_execz .LBB174_91
; %bb.90:
	v_lshlrev_b64 v[42:43], 2, v[38:39]
	v_add_co_u32_e32 v42, vcc, v1, v42
	v_addc_co_u32_e32 v43, vcc, v23, v43, vcc
	global_store_dword v[42:43], v17, off
.LBB174_91:
	s_or_b64 exec, exec, s[2:3]
	;; [unrolled: 15-line block ×7, first 2 shown]
	s_branch .LBB174_83
.LBB174_107:
	v_cmp_eq_u32_e32 vcc, 1, v28
	s_and_saveexec_b64 s[2:3], vcc
	s_cbranch_execnz .LBB174_127
; %bb.108:
	s_or_b64 exec, exec, s[2:3]
	v_cmp_eq_u32_e32 vcc, 1, v26
	s_and_saveexec_b64 s[2:3], vcc
	s_cbranch_execnz .LBB174_128
.LBB174_109:
	s_or_b64 exec, exec, s[2:3]
	v_cmp_eq_u32_e32 vcc, 1, v24
	s_and_saveexec_b64 s[2:3], vcc
	s_cbranch_execnz .LBB174_129
.LBB174_110:
	s_or_b64 exec, exec, s[2:3]
	v_cmp_eq_u32_e32 vcc, 1, v22
	s_and_saveexec_b64 s[2:3], vcc
	s_cbranch_execnz .LBB174_130
.LBB174_111:
	s_or_b64 exec, exec, s[2:3]
	v_cmp_eq_u32_e32 vcc, 1, v20
	s_and_saveexec_b64 s[2:3], vcc
	s_cbranch_execnz .LBB174_131
.LBB174_112:
	s_or_b64 exec, exec, s[2:3]
	v_cmp_eq_u32_e32 vcc, 1, v18
	s_and_saveexec_b64 s[2:3], vcc
	s_cbranch_execnz .LBB174_132
.LBB174_113:
	s_or_b64 exec, exec, s[2:3]
	v_cmp_eq_u32_e32 vcc, 1, v21
	s_and_saveexec_b64 s[2:3], vcc
	s_cbranch_execz .LBB174_115
.LBB174_114:
	v_sub_u32_e32 v1, v8, v6
	v_lshlrev_b32_e32 v1, 2, v1
	ds_write_b32 v1, v19
.LBB174_115:
	s_or_b64 exec, exec, s[2:3]
	v_mov_b32_e32 v1, 0
	v_cmp_gt_u64_e32 vcc, v[4:5], v[0:1]
	s_waitcnt lgkmcnt(0)
	s_barrier
	s_and_saveexec_b64 s[8:9], vcc
	s_cbranch_execz .LBB174_125
; %bb.116:
	v_not_b32_e32 v3, v0
	v_not_b32_e32 v2, 0
	v_add_co_u32_e32 v8, vcc, v4, v3
	v_addc_co_u32_e32 v9, vcc, v5, v2, vcc
	s_mov_b64 s[2:3], 0x2f00
	s_mov_b64 s[4:5], 0x2eff
	v_cmp_gt_u64_e64 s[2:3], s[2:3], v[8:9]
	v_cmp_lt_u64_e32 vcc, s[4:5], v[8:9]
	v_pk_mov_b32 v[2:3], v[0:1], v[0:1] op_sel:[0,1]
	s_and_saveexec_b64 s[10:11], vcc
	s_cbranch_execz .LBB174_122
; %bb.117:
	v_alignbit_b32 v2, v9, v8, 8
	s_mov_b32 s4, 0xffffff
	s_mov_b32 s6, -1
	v_lshlrev_b32_e32 v3, 8, v2
	v_cmp_lt_u32_e32 vcc, s4, v2
	v_not_b32_e32 v2, v0
	s_movk_i32 s7, 0xff
	v_cmp_gt_u32_e64 s[4:5], v3, v2
	v_xor_b32_e32 v2, 0xfffffeff, v0
	v_cmp_lt_u64_e64 s[6:7], s[6:7], v[8:9]
	s_or_b64 s[12:13], s[4:5], vcc
	v_cmp_lt_u32_e64 s[4:5], v2, v3
	s_or_b64 s[6:7], vcc, s[6:7]
	s_or_b64 s[4:5], s[6:7], s[4:5]
	s_or_b64 s[6:7], s[12:13], s[4:5]
	s_mov_b64 s[4:5], -1
	s_xor_b64 s[12:13], s[6:7], -1
	v_pk_mov_b32 v[2:3], v[0:1], v[0:1] op_sel:[0,1]
	s_and_saveexec_b64 s[6:7], s[12:13]
	s_cbranch_execz .LBB174_121
; %bb.118:
	v_lshrrev_b64 v[2:3], 8, v[8:9]
	v_add_co_u32_e32 v14, vcc, 1, v2
	v_addc_co_u32_e32 v15, vcc, 0, v3, vcc
	v_lshlrev_b64 v[8:9], 2, v[6:7]
	s_waitcnt vmcnt(0)
	v_lshlrev_b64 v[10:11], 2, v[12:13]
	v_add_co_u32_e32 v8, vcc, v8, v10
	v_addc_co_u32_e32 v9, vcc, v9, v11, vcc
	v_mov_b32_e32 v11, s15
	v_add_co_u32_e32 v8, vcc, s14, v8
	v_lshlrev_b32_e32 v10, 2, v0
	v_addc_co_u32_e32 v9, vcc, v11, v9, vcc
	v_add_co_u32_e32 v8, vcc, v8, v10
	v_addc_co_u32_e32 v9, vcc, 0, v9, vcc
	s_movk_i32 s4, 0x400
	v_or_b32_e32 v2, 0x100, v0
	v_mov_b32_e32 v3, v1
	v_add_co_u32_e32 v18, vcc, s4, v8
	v_and_b32_e32 v16, -2, v14
	v_mov_b32_e32 v17, v15
	v_addc_co_u32_e32 v19, vcc, 0, v9, vcc
	v_pk_mov_b32 v[10:11], v[2:3], v[2:3] op_sel:[0,1]
	s_mov_b64 s[12:13], 0
	v_pk_mov_b32 v[20:21], v[16:17], v[16:17] op_sel:[0,1]
	v_pk_mov_b32 v[8:9], v[0:1], v[0:1] op_sel:[0,1]
.LBB174_119:                            ; =>This Inner Loop Header: Depth=1
	v_lshlrev_b32_e32 v1, 2, v8
	v_lshlrev_b32_e32 v2, 2, v10
	ds_read_b32 v1, v1
	ds_read_b32 v2, v2
	v_add_co_u32_e32 v10, vcc, 0x200, v10
	v_addc_co_u32_e32 v11, vcc, 0, v11, vcc
	v_add_co_u32_e64 v20, s[4:5], -2, v20
	v_add_co_u32_e32 v8, vcc, 0x200, v8
	v_addc_co_u32_e64 v21, s[4:5], -1, v21, s[4:5]
	v_addc_co_u32_e32 v9, vcc, 0, v9, vcc
	v_cmp_eq_u64_e64 s[4:5], 0, v[20:21]
	s_waitcnt lgkmcnt(1)
	global_store_dword v[18:19], v1, off offset:-1024
	s_waitcnt lgkmcnt(0)
	global_store_dword v[18:19], v2, off
	v_add_co_u32_e32 v18, vcc, 0x800, v18
	s_or_b64 s[12:13], s[4:5], s[12:13]
	v_addc_co_u32_e32 v19, vcc, 0, v19, vcc
	s_andn2_b64 exec, exec, s[12:13]
	s_cbranch_execnz .LBB174_119
; %bb.120:
	s_or_b64 exec, exec, s[12:13]
	v_lshlrev_b64 v[2:3], 8, v[16:17]
	v_cmp_ne_u64_e32 vcc, v[14:15], v[16:17]
	v_or_b32_e32 v3, 0, v3
	v_or_b32_e32 v2, v2, v0
	v_lshl_or_b32 v0, v16, 8, v0
	s_orn2_b64 s[4:5], vcc, exec
.LBB174_121:
	s_or_b64 exec, exec, s[6:7]
	s_andn2_b64 s[2:3], s[2:3], exec
	s_and_b64 s[4:5], s[4:5], exec
	s_or_b64 s[2:3], s[2:3], s[4:5]
.LBB174_122:
	s_or_b64 exec, exec, s[10:11]
	s_and_b64 exec, exec, s[2:3]
	s_cbranch_execz .LBB174_125
; %bb.123:
	v_lshlrev_b64 v[8:9], 2, v[6:7]
	v_mov_b32_e32 v1, s15
	v_add_co_u32_e32 v10, vcc, s14, v8
	v_addc_co_u32_e32 v1, vcc, v1, v9, vcc
	s_waitcnt vmcnt(0)
	v_lshlrev_b64 v[8:9], 2, v[12:13]
	v_add_co_u32_e32 v8, vcc, v10, v8
	v_addc_co_u32_e32 v9, vcc, v1, v9, vcc
	v_add_u32_e32 v0, 0x100, v0
	s_mov_b64 s[4:5], 0
	v_mov_b32_e32 v1, 0
.LBB174_124:                            ; =>This Inner Loop Header: Depth=1
	v_lshlrev_b32_e32 v14, 2, v2
	ds_read_b32 v14, v14
	v_lshlrev_b64 v[10:11], 2, v[2:3]
	v_cmp_le_u64_e32 vcc, v[4:5], v[0:1]
	v_add_co_u32_e64 v10, s[2:3], v8, v10
	v_pk_mov_b32 v[2:3], v[0:1], v[0:1] op_sel:[0,1]
	v_add_u32_e32 v0, 0x100, v0
	v_addc_co_u32_e64 v11, s[2:3], v9, v11, s[2:3]
	s_or_b64 s[4:5], vcc, s[4:5]
	s_waitcnt lgkmcnt(0)
	global_store_dword v[10:11], v14, off
	s_andn2_b64 exec, exec, s[4:5]
	s_cbranch_execnz .LBB174_124
.LBB174_125:
	s_or_b64 exec, exec, s[8:9]
	s_and_b64 s[0:1], s[0:1], s[18:19]
	s_and_saveexec_b64 s[2:3], s[0:1]
	s_cbranch_execz .LBB174_84
.LBB174_126:
	v_add_co_u32_e32 v0, vcc, v6, v4
	v_addc_co_u32_e32 v1, vcc, v7, v5, vcc
	s_waitcnt vmcnt(0)
	v_add_co_u32_e32 v0, vcc, v0, v12
	v_mov_b32_e32 v2, 0
	v_addc_co_u32_e32 v1, vcc, v1, v13, vcc
	global_store_dwordx2 v2, v[0:1], s[16:17]
	s_endpgm
.LBB174_127:
	v_sub_u32_e32 v1, v40, v6
	v_lshlrev_b32_e32 v1, 2, v1
	ds_write_b32 v1, v16
	s_or_b64 exec, exec, s[2:3]
	v_cmp_eq_u32_e32 vcc, 1, v26
	s_and_saveexec_b64 s[2:3], vcc
	s_cbranch_execz .LBB174_109
.LBB174_128:
	v_sub_u32_e32 v1, v38, v6
	v_lshlrev_b32_e32 v1, 2, v1
	ds_write_b32 v1, v17
	s_or_b64 exec, exec, s[2:3]
	v_cmp_eq_u32_e32 vcc, 1, v24
	s_and_saveexec_b64 s[2:3], vcc
	s_cbranch_execz .LBB174_110
.LBB174_129:
	v_sub_u32_e32 v1, v36, v6
	v_lshlrev_b32_e32 v1, 2, v1
	ds_write_b32 v1, v14
	s_or_b64 exec, exec, s[2:3]
	v_cmp_eq_u32_e32 vcc, 1, v22
	s_and_saveexec_b64 s[2:3], vcc
	s_cbranch_execz .LBB174_111
.LBB174_130:
	v_sub_u32_e32 v1, v34, v6
	v_lshlrev_b32_e32 v1, 2, v1
	ds_write_b32 v1, v15
	s_or_b64 exec, exec, s[2:3]
	v_cmp_eq_u32_e32 vcc, 1, v20
	s_and_saveexec_b64 s[2:3], vcc
	s_cbranch_execz .LBB174_112
.LBB174_131:
	v_sub_u32_e32 v1, v32, v6
	v_lshlrev_b32_e32 v1, 2, v1
	ds_write_b32 v1, v10
	s_or_b64 exec, exec, s[2:3]
	v_cmp_eq_u32_e32 vcc, 1, v18
	s_and_saveexec_b64 s[2:3], vcc
	s_cbranch_execz .LBB174_113
.LBB174_132:
	v_sub_u32_e32 v1, v2, v6
	v_lshlrev_b32_e32 v1, 2, v1
	ds_write_b32 v1, v11
	s_or_b64 exec, exec, s[2:3]
	v_cmp_eq_u32_e32 vcc, 1, v21
	s_and_saveexec_b64 s[2:3], vcc
	s_cbranch_execnz .LBB174_114
	s_branch .LBB174_115
	.section	.rodata,"a",@progbits
	.p2align	6, 0x0
	.amdhsa_kernel _ZN7rocprim17ROCPRIM_400000_NS6detail17trampoline_kernelINS0_14default_configENS1_25partition_config_selectorILNS1_17partition_subalgoE5EiNS0_10empty_typeEbEEZZNS1_14partition_implILS5_5ELb0ES3_mPiPS6_N6thrust23THRUST_200600_302600_NS18transform_iteratorIN6dUtils5isOneIiEES9_NSC_11use_defaultESH_EENS0_5tupleIJS9_S6_EEENSJ_IJSA_SA_EEES6_PlJS6_EEE10hipError_tPvRmT3_T4_T5_T6_T7_T9_mT8_P12ihipStream_tbDpT10_ENKUlT_T0_E_clISt17integral_constantIbLb0EES15_IbLb1EEEEDaS11_S12_EUlS11_E_NS1_11comp_targetILNS1_3genE4ELNS1_11target_archE910ELNS1_3gpuE8ELNS1_3repE0EEENS1_30default_config_static_selectorELNS0_4arch9wavefront6targetE1EEEvT1_
		.amdhsa_group_segment_fixed_size 7184
		.amdhsa_private_segment_fixed_size 0
		.amdhsa_kernarg_size 136
		.amdhsa_user_sgpr_count 6
		.amdhsa_user_sgpr_private_segment_buffer 1
		.amdhsa_user_sgpr_dispatch_ptr 0
		.amdhsa_user_sgpr_queue_ptr 0
		.amdhsa_user_sgpr_kernarg_segment_ptr 1
		.amdhsa_user_sgpr_dispatch_id 0
		.amdhsa_user_sgpr_flat_scratch_init 0
		.amdhsa_user_sgpr_kernarg_preload_length 0
		.amdhsa_user_sgpr_kernarg_preload_offset 0
		.amdhsa_user_sgpr_private_segment_size 0
		.amdhsa_uses_dynamic_stack 0
		.amdhsa_system_sgpr_private_segment_wavefront_offset 0
		.amdhsa_system_sgpr_workgroup_id_x 1
		.amdhsa_system_sgpr_workgroup_id_y 0
		.amdhsa_system_sgpr_workgroup_id_z 0
		.amdhsa_system_sgpr_workgroup_info 0
		.amdhsa_system_vgpr_workitem_id 0
		.amdhsa_next_free_vgpr 58
		.amdhsa_next_free_sgpr 28
		.amdhsa_accum_offset 60
		.amdhsa_reserve_vcc 1
		.amdhsa_reserve_flat_scratch 0
		.amdhsa_float_round_mode_32 0
		.amdhsa_float_round_mode_16_64 0
		.amdhsa_float_denorm_mode_32 3
		.amdhsa_float_denorm_mode_16_64 3
		.amdhsa_dx10_clamp 1
		.amdhsa_ieee_mode 1
		.amdhsa_fp16_overflow 0
		.amdhsa_tg_split 0
		.amdhsa_exception_fp_ieee_invalid_op 0
		.amdhsa_exception_fp_denorm_src 0
		.amdhsa_exception_fp_ieee_div_zero 0
		.amdhsa_exception_fp_ieee_overflow 0
		.amdhsa_exception_fp_ieee_underflow 0
		.amdhsa_exception_fp_ieee_inexact 0
		.amdhsa_exception_int_div_zero 0
	.end_amdhsa_kernel
	.section	.text._ZN7rocprim17ROCPRIM_400000_NS6detail17trampoline_kernelINS0_14default_configENS1_25partition_config_selectorILNS1_17partition_subalgoE5EiNS0_10empty_typeEbEEZZNS1_14partition_implILS5_5ELb0ES3_mPiPS6_N6thrust23THRUST_200600_302600_NS18transform_iteratorIN6dUtils5isOneIiEES9_NSC_11use_defaultESH_EENS0_5tupleIJS9_S6_EEENSJ_IJSA_SA_EEES6_PlJS6_EEE10hipError_tPvRmT3_T4_T5_T6_T7_T9_mT8_P12ihipStream_tbDpT10_ENKUlT_T0_E_clISt17integral_constantIbLb0EES15_IbLb1EEEEDaS11_S12_EUlS11_E_NS1_11comp_targetILNS1_3genE4ELNS1_11target_archE910ELNS1_3gpuE8ELNS1_3repE0EEENS1_30default_config_static_selectorELNS0_4arch9wavefront6targetE1EEEvT1_,"axG",@progbits,_ZN7rocprim17ROCPRIM_400000_NS6detail17trampoline_kernelINS0_14default_configENS1_25partition_config_selectorILNS1_17partition_subalgoE5EiNS0_10empty_typeEbEEZZNS1_14partition_implILS5_5ELb0ES3_mPiPS6_N6thrust23THRUST_200600_302600_NS18transform_iteratorIN6dUtils5isOneIiEES9_NSC_11use_defaultESH_EENS0_5tupleIJS9_S6_EEENSJ_IJSA_SA_EEES6_PlJS6_EEE10hipError_tPvRmT3_T4_T5_T6_T7_T9_mT8_P12ihipStream_tbDpT10_ENKUlT_T0_E_clISt17integral_constantIbLb0EES15_IbLb1EEEEDaS11_S12_EUlS11_E_NS1_11comp_targetILNS1_3genE4ELNS1_11target_archE910ELNS1_3gpuE8ELNS1_3repE0EEENS1_30default_config_static_selectorELNS0_4arch9wavefront6targetE1EEEvT1_,comdat
.Lfunc_end174:
	.size	_ZN7rocprim17ROCPRIM_400000_NS6detail17trampoline_kernelINS0_14default_configENS1_25partition_config_selectorILNS1_17partition_subalgoE5EiNS0_10empty_typeEbEEZZNS1_14partition_implILS5_5ELb0ES3_mPiPS6_N6thrust23THRUST_200600_302600_NS18transform_iteratorIN6dUtils5isOneIiEES9_NSC_11use_defaultESH_EENS0_5tupleIJS9_S6_EEENSJ_IJSA_SA_EEES6_PlJS6_EEE10hipError_tPvRmT3_T4_T5_T6_T7_T9_mT8_P12ihipStream_tbDpT10_ENKUlT_T0_E_clISt17integral_constantIbLb0EES15_IbLb1EEEEDaS11_S12_EUlS11_E_NS1_11comp_targetILNS1_3genE4ELNS1_11target_archE910ELNS1_3gpuE8ELNS1_3repE0EEENS1_30default_config_static_selectorELNS0_4arch9wavefront6targetE1EEEvT1_, .Lfunc_end174-_ZN7rocprim17ROCPRIM_400000_NS6detail17trampoline_kernelINS0_14default_configENS1_25partition_config_selectorILNS1_17partition_subalgoE5EiNS0_10empty_typeEbEEZZNS1_14partition_implILS5_5ELb0ES3_mPiPS6_N6thrust23THRUST_200600_302600_NS18transform_iteratorIN6dUtils5isOneIiEES9_NSC_11use_defaultESH_EENS0_5tupleIJS9_S6_EEENSJ_IJSA_SA_EEES6_PlJS6_EEE10hipError_tPvRmT3_T4_T5_T6_T7_T9_mT8_P12ihipStream_tbDpT10_ENKUlT_T0_E_clISt17integral_constantIbLb0EES15_IbLb1EEEEDaS11_S12_EUlS11_E_NS1_11comp_targetILNS1_3genE4ELNS1_11target_archE910ELNS1_3gpuE8ELNS1_3repE0EEENS1_30default_config_static_selectorELNS0_4arch9wavefront6targetE1EEEvT1_
                                        ; -- End function
	.section	.AMDGPU.csdata,"",@progbits
; Kernel info:
; codeLenInByte = 6700
; NumSgprs: 32
; NumVgprs: 58
; NumAgprs: 0
; TotalNumVgprs: 58
; ScratchSize: 0
; MemoryBound: 0
; FloatMode: 240
; IeeeMode: 1
; LDSByteSize: 7184 bytes/workgroup (compile time only)
; SGPRBlocks: 3
; VGPRBlocks: 7
; NumSGPRsForWavesPerEU: 32
; NumVGPRsForWavesPerEU: 58
; AccumOffset: 60
; Occupancy: 8
; WaveLimiterHint : 1
; COMPUTE_PGM_RSRC2:SCRATCH_EN: 0
; COMPUTE_PGM_RSRC2:USER_SGPR: 6
; COMPUTE_PGM_RSRC2:TRAP_HANDLER: 0
; COMPUTE_PGM_RSRC2:TGID_X_EN: 1
; COMPUTE_PGM_RSRC2:TGID_Y_EN: 0
; COMPUTE_PGM_RSRC2:TGID_Z_EN: 0
; COMPUTE_PGM_RSRC2:TIDIG_COMP_CNT: 0
; COMPUTE_PGM_RSRC3_GFX90A:ACCUM_OFFSET: 14
; COMPUTE_PGM_RSRC3_GFX90A:TG_SPLIT: 0
	.section	.text._ZN7rocprim17ROCPRIM_400000_NS6detail17trampoline_kernelINS0_14default_configENS1_25partition_config_selectorILNS1_17partition_subalgoE5EiNS0_10empty_typeEbEEZZNS1_14partition_implILS5_5ELb0ES3_mPiPS6_N6thrust23THRUST_200600_302600_NS18transform_iteratorIN6dUtils5isOneIiEES9_NSC_11use_defaultESH_EENS0_5tupleIJS9_S6_EEENSJ_IJSA_SA_EEES6_PlJS6_EEE10hipError_tPvRmT3_T4_T5_T6_T7_T9_mT8_P12ihipStream_tbDpT10_ENKUlT_T0_E_clISt17integral_constantIbLb0EES15_IbLb1EEEEDaS11_S12_EUlS11_E_NS1_11comp_targetILNS1_3genE3ELNS1_11target_archE908ELNS1_3gpuE7ELNS1_3repE0EEENS1_30default_config_static_selectorELNS0_4arch9wavefront6targetE1EEEvT1_,"axG",@progbits,_ZN7rocprim17ROCPRIM_400000_NS6detail17trampoline_kernelINS0_14default_configENS1_25partition_config_selectorILNS1_17partition_subalgoE5EiNS0_10empty_typeEbEEZZNS1_14partition_implILS5_5ELb0ES3_mPiPS6_N6thrust23THRUST_200600_302600_NS18transform_iteratorIN6dUtils5isOneIiEES9_NSC_11use_defaultESH_EENS0_5tupleIJS9_S6_EEENSJ_IJSA_SA_EEES6_PlJS6_EEE10hipError_tPvRmT3_T4_T5_T6_T7_T9_mT8_P12ihipStream_tbDpT10_ENKUlT_T0_E_clISt17integral_constantIbLb0EES15_IbLb1EEEEDaS11_S12_EUlS11_E_NS1_11comp_targetILNS1_3genE3ELNS1_11target_archE908ELNS1_3gpuE7ELNS1_3repE0EEENS1_30default_config_static_selectorELNS0_4arch9wavefront6targetE1EEEvT1_,comdat
	.protected	_ZN7rocprim17ROCPRIM_400000_NS6detail17trampoline_kernelINS0_14default_configENS1_25partition_config_selectorILNS1_17partition_subalgoE5EiNS0_10empty_typeEbEEZZNS1_14partition_implILS5_5ELb0ES3_mPiPS6_N6thrust23THRUST_200600_302600_NS18transform_iteratorIN6dUtils5isOneIiEES9_NSC_11use_defaultESH_EENS0_5tupleIJS9_S6_EEENSJ_IJSA_SA_EEES6_PlJS6_EEE10hipError_tPvRmT3_T4_T5_T6_T7_T9_mT8_P12ihipStream_tbDpT10_ENKUlT_T0_E_clISt17integral_constantIbLb0EES15_IbLb1EEEEDaS11_S12_EUlS11_E_NS1_11comp_targetILNS1_3genE3ELNS1_11target_archE908ELNS1_3gpuE7ELNS1_3repE0EEENS1_30default_config_static_selectorELNS0_4arch9wavefront6targetE1EEEvT1_ ; -- Begin function _ZN7rocprim17ROCPRIM_400000_NS6detail17trampoline_kernelINS0_14default_configENS1_25partition_config_selectorILNS1_17partition_subalgoE5EiNS0_10empty_typeEbEEZZNS1_14partition_implILS5_5ELb0ES3_mPiPS6_N6thrust23THRUST_200600_302600_NS18transform_iteratorIN6dUtils5isOneIiEES9_NSC_11use_defaultESH_EENS0_5tupleIJS9_S6_EEENSJ_IJSA_SA_EEES6_PlJS6_EEE10hipError_tPvRmT3_T4_T5_T6_T7_T9_mT8_P12ihipStream_tbDpT10_ENKUlT_T0_E_clISt17integral_constantIbLb0EES15_IbLb1EEEEDaS11_S12_EUlS11_E_NS1_11comp_targetILNS1_3genE3ELNS1_11target_archE908ELNS1_3gpuE7ELNS1_3repE0EEENS1_30default_config_static_selectorELNS0_4arch9wavefront6targetE1EEEvT1_
	.globl	_ZN7rocprim17ROCPRIM_400000_NS6detail17trampoline_kernelINS0_14default_configENS1_25partition_config_selectorILNS1_17partition_subalgoE5EiNS0_10empty_typeEbEEZZNS1_14partition_implILS5_5ELb0ES3_mPiPS6_N6thrust23THRUST_200600_302600_NS18transform_iteratorIN6dUtils5isOneIiEES9_NSC_11use_defaultESH_EENS0_5tupleIJS9_S6_EEENSJ_IJSA_SA_EEES6_PlJS6_EEE10hipError_tPvRmT3_T4_T5_T6_T7_T9_mT8_P12ihipStream_tbDpT10_ENKUlT_T0_E_clISt17integral_constantIbLb0EES15_IbLb1EEEEDaS11_S12_EUlS11_E_NS1_11comp_targetILNS1_3genE3ELNS1_11target_archE908ELNS1_3gpuE7ELNS1_3repE0EEENS1_30default_config_static_selectorELNS0_4arch9wavefront6targetE1EEEvT1_
	.p2align	8
	.type	_ZN7rocprim17ROCPRIM_400000_NS6detail17trampoline_kernelINS0_14default_configENS1_25partition_config_selectorILNS1_17partition_subalgoE5EiNS0_10empty_typeEbEEZZNS1_14partition_implILS5_5ELb0ES3_mPiPS6_N6thrust23THRUST_200600_302600_NS18transform_iteratorIN6dUtils5isOneIiEES9_NSC_11use_defaultESH_EENS0_5tupleIJS9_S6_EEENSJ_IJSA_SA_EEES6_PlJS6_EEE10hipError_tPvRmT3_T4_T5_T6_T7_T9_mT8_P12ihipStream_tbDpT10_ENKUlT_T0_E_clISt17integral_constantIbLb0EES15_IbLb1EEEEDaS11_S12_EUlS11_E_NS1_11comp_targetILNS1_3genE3ELNS1_11target_archE908ELNS1_3gpuE7ELNS1_3repE0EEENS1_30default_config_static_selectorELNS0_4arch9wavefront6targetE1EEEvT1_,@function
_ZN7rocprim17ROCPRIM_400000_NS6detail17trampoline_kernelINS0_14default_configENS1_25partition_config_selectorILNS1_17partition_subalgoE5EiNS0_10empty_typeEbEEZZNS1_14partition_implILS5_5ELb0ES3_mPiPS6_N6thrust23THRUST_200600_302600_NS18transform_iteratorIN6dUtils5isOneIiEES9_NSC_11use_defaultESH_EENS0_5tupleIJS9_S6_EEENSJ_IJSA_SA_EEES6_PlJS6_EEE10hipError_tPvRmT3_T4_T5_T6_T7_T9_mT8_P12ihipStream_tbDpT10_ENKUlT_T0_E_clISt17integral_constantIbLb0EES15_IbLb1EEEEDaS11_S12_EUlS11_E_NS1_11comp_targetILNS1_3genE3ELNS1_11target_archE908ELNS1_3gpuE7ELNS1_3repE0EEENS1_30default_config_static_selectorELNS0_4arch9wavefront6targetE1EEEvT1_: ; @_ZN7rocprim17ROCPRIM_400000_NS6detail17trampoline_kernelINS0_14default_configENS1_25partition_config_selectorILNS1_17partition_subalgoE5EiNS0_10empty_typeEbEEZZNS1_14partition_implILS5_5ELb0ES3_mPiPS6_N6thrust23THRUST_200600_302600_NS18transform_iteratorIN6dUtils5isOneIiEES9_NSC_11use_defaultESH_EENS0_5tupleIJS9_S6_EEENSJ_IJSA_SA_EEES6_PlJS6_EEE10hipError_tPvRmT3_T4_T5_T6_T7_T9_mT8_P12ihipStream_tbDpT10_ENKUlT_T0_E_clISt17integral_constantIbLb0EES15_IbLb1EEEEDaS11_S12_EUlS11_E_NS1_11comp_targetILNS1_3genE3ELNS1_11target_archE908ELNS1_3gpuE7ELNS1_3repE0EEENS1_30default_config_static_selectorELNS0_4arch9wavefront6targetE1EEEvT1_
; %bb.0:
	.section	.rodata,"a",@progbits
	.p2align	6, 0x0
	.amdhsa_kernel _ZN7rocprim17ROCPRIM_400000_NS6detail17trampoline_kernelINS0_14default_configENS1_25partition_config_selectorILNS1_17partition_subalgoE5EiNS0_10empty_typeEbEEZZNS1_14partition_implILS5_5ELb0ES3_mPiPS6_N6thrust23THRUST_200600_302600_NS18transform_iteratorIN6dUtils5isOneIiEES9_NSC_11use_defaultESH_EENS0_5tupleIJS9_S6_EEENSJ_IJSA_SA_EEES6_PlJS6_EEE10hipError_tPvRmT3_T4_T5_T6_T7_T9_mT8_P12ihipStream_tbDpT10_ENKUlT_T0_E_clISt17integral_constantIbLb0EES15_IbLb1EEEEDaS11_S12_EUlS11_E_NS1_11comp_targetILNS1_3genE3ELNS1_11target_archE908ELNS1_3gpuE7ELNS1_3repE0EEENS1_30default_config_static_selectorELNS0_4arch9wavefront6targetE1EEEvT1_
		.amdhsa_group_segment_fixed_size 0
		.amdhsa_private_segment_fixed_size 0
		.amdhsa_kernarg_size 136
		.amdhsa_user_sgpr_count 6
		.amdhsa_user_sgpr_private_segment_buffer 1
		.amdhsa_user_sgpr_dispatch_ptr 0
		.amdhsa_user_sgpr_queue_ptr 0
		.amdhsa_user_sgpr_kernarg_segment_ptr 1
		.amdhsa_user_sgpr_dispatch_id 0
		.amdhsa_user_sgpr_flat_scratch_init 0
		.amdhsa_user_sgpr_kernarg_preload_length 0
		.amdhsa_user_sgpr_kernarg_preload_offset 0
		.amdhsa_user_sgpr_private_segment_size 0
		.amdhsa_uses_dynamic_stack 0
		.amdhsa_system_sgpr_private_segment_wavefront_offset 0
		.amdhsa_system_sgpr_workgroup_id_x 1
		.amdhsa_system_sgpr_workgroup_id_y 0
		.amdhsa_system_sgpr_workgroup_id_z 0
		.amdhsa_system_sgpr_workgroup_info 0
		.amdhsa_system_vgpr_workitem_id 0
		.amdhsa_next_free_vgpr 1
		.amdhsa_next_free_sgpr 0
		.amdhsa_accum_offset 4
		.amdhsa_reserve_vcc 0
		.amdhsa_reserve_flat_scratch 0
		.amdhsa_float_round_mode_32 0
		.amdhsa_float_round_mode_16_64 0
		.amdhsa_float_denorm_mode_32 3
		.amdhsa_float_denorm_mode_16_64 3
		.amdhsa_dx10_clamp 1
		.amdhsa_ieee_mode 1
		.amdhsa_fp16_overflow 0
		.amdhsa_tg_split 0
		.amdhsa_exception_fp_ieee_invalid_op 0
		.amdhsa_exception_fp_denorm_src 0
		.amdhsa_exception_fp_ieee_div_zero 0
		.amdhsa_exception_fp_ieee_overflow 0
		.amdhsa_exception_fp_ieee_underflow 0
		.amdhsa_exception_fp_ieee_inexact 0
		.amdhsa_exception_int_div_zero 0
	.end_amdhsa_kernel
	.section	.text._ZN7rocprim17ROCPRIM_400000_NS6detail17trampoline_kernelINS0_14default_configENS1_25partition_config_selectorILNS1_17partition_subalgoE5EiNS0_10empty_typeEbEEZZNS1_14partition_implILS5_5ELb0ES3_mPiPS6_N6thrust23THRUST_200600_302600_NS18transform_iteratorIN6dUtils5isOneIiEES9_NSC_11use_defaultESH_EENS0_5tupleIJS9_S6_EEENSJ_IJSA_SA_EEES6_PlJS6_EEE10hipError_tPvRmT3_T4_T5_T6_T7_T9_mT8_P12ihipStream_tbDpT10_ENKUlT_T0_E_clISt17integral_constantIbLb0EES15_IbLb1EEEEDaS11_S12_EUlS11_E_NS1_11comp_targetILNS1_3genE3ELNS1_11target_archE908ELNS1_3gpuE7ELNS1_3repE0EEENS1_30default_config_static_selectorELNS0_4arch9wavefront6targetE1EEEvT1_,"axG",@progbits,_ZN7rocprim17ROCPRIM_400000_NS6detail17trampoline_kernelINS0_14default_configENS1_25partition_config_selectorILNS1_17partition_subalgoE5EiNS0_10empty_typeEbEEZZNS1_14partition_implILS5_5ELb0ES3_mPiPS6_N6thrust23THRUST_200600_302600_NS18transform_iteratorIN6dUtils5isOneIiEES9_NSC_11use_defaultESH_EENS0_5tupleIJS9_S6_EEENSJ_IJSA_SA_EEES6_PlJS6_EEE10hipError_tPvRmT3_T4_T5_T6_T7_T9_mT8_P12ihipStream_tbDpT10_ENKUlT_T0_E_clISt17integral_constantIbLb0EES15_IbLb1EEEEDaS11_S12_EUlS11_E_NS1_11comp_targetILNS1_3genE3ELNS1_11target_archE908ELNS1_3gpuE7ELNS1_3repE0EEENS1_30default_config_static_selectorELNS0_4arch9wavefront6targetE1EEEvT1_,comdat
.Lfunc_end175:
	.size	_ZN7rocprim17ROCPRIM_400000_NS6detail17trampoline_kernelINS0_14default_configENS1_25partition_config_selectorILNS1_17partition_subalgoE5EiNS0_10empty_typeEbEEZZNS1_14partition_implILS5_5ELb0ES3_mPiPS6_N6thrust23THRUST_200600_302600_NS18transform_iteratorIN6dUtils5isOneIiEES9_NSC_11use_defaultESH_EENS0_5tupleIJS9_S6_EEENSJ_IJSA_SA_EEES6_PlJS6_EEE10hipError_tPvRmT3_T4_T5_T6_T7_T9_mT8_P12ihipStream_tbDpT10_ENKUlT_T0_E_clISt17integral_constantIbLb0EES15_IbLb1EEEEDaS11_S12_EUlS11_E_NS1_11comp_targetILNS1_3genE3ELNS1_11target_archE908ELNS1_3gpuE7ELNS1_3repE0EEENS1_30default_config_static_selectorELNS0_4arch9wavefront6targetE1EEEvT1_, .Lfunc_end175-_ZN7rocprim17ROCPRIM_400000_NS6detail17trampoline_kernelINS0_14default_configENS1_25partition_config_selectorILNS1_17partition_subalgoE5EiNS0_10empty_typeEbEEZZNS1_14partition_implILS5_5ELb0ES3_mPiPS6_N6thrust23THRUST_200600_302600_NS18transform_iteratorIN6dUtils5isOneIiEES9_NSC_11use_defaultESH_EENS0_5tupleIJS9_S6_EEENSJ_IJSA_SA_EEES6_PlJS6_EEE10hipError_tPvRmT3_T4_T5_T6_T7_T9_mT8_P12ihipStream_tbDpT10_ENKUlT_T0_E_clISt17integral_constantIbLb0EES15_IbLb1EEEEDaS11_S12_EUlS11_E_NS1_11comp_targetILNS1_3genE3ELNS1_11target_archE908ELNS1_3gpuE7ELNS1_3repE0EEENS1_30default_config_static_selectorELNS0_4arch9wavefront6targetE1EEEvT1_
                                        ; -- End function
	.section	.AMDGPU.csdata,"",@progbits
; Kernel info:
; codeLenInByte = 0
; NumSgprs: 4
; NumVgprs: 0
; NumAgprs: 0
; TotalNumVgprs: 0
; ScratchSize: 0
; MemoryBound: 0
; FloatMode: 240
; IeeeMode: 1
; LDSByteSize: 0 bytes/workgroup (compile time only)
; SGPRBlocks: 0
; VGPRBlocks: 0
; NumSGPRsForWavesPerEU: 4
; NumVGPRsForWavesPerEU: 1
; AccumOffset: 4
; Occupancy: 8
; WaveLimiterHint : 0
; COMPUTE_PGM_RSRC2:SCRATCH_EN: 0
; COMPUTE_PGM_RSRC2:USER_SGPR: 6
; COMPUTE_PGM_RSRC2:TRAP_HANDLER: 0
; COMPUTE_PGM_RSRC2:TGID_X_EN: 1
; COMPUTE_PGM_RSRC2:TGID_Y_EN: 0
; COMPUTE_PGM_RSRC2:TGID_Z_EN: 0
; COMPUTE_PGM_RSRC2:TIDIG_COMP_CNT: 0
; COMPUTE_PGM_RSRC3_GFX90A:ACCUM_OFFSET: 0
; COMPUTE_PGM_RSRC3_GFX90A:TG_SPLIT: 0
	.section	.text._ZN7rocprim17ROCPRIM_400000_NS6detail17trampoline_kernelINS0_14default_configENS1_25partition_config_selectorILNS1_17partition_subalgoE5EiNS0_10empty_typeEbEEZZNS1_14partition_implILS5_5ELb0ES3_mPiPS6_N6thrust23THRUST_200600_302600_NS18transform_iteratorIN6dUtils5isOneIiEES9_NSC_11use_defaultESH_EENS0_5tupleIJS9_S6_EEENSJ_IJSA_SA_EEES6_PlJS6_EEE10hipError_tPvRmT3_T4_T5_T6_T7_T9_mT8_P12ihipStream_tbDpT10_ENKUlT_T0_E_clISt17integral_constantIbLb0EES15_IbLb1EEEEDaS11_S12_EUlS11_E_NS1_11comp_targetILNS1_3genE2ELNS1_11target_archE906ELNS1_3gpuE6ELNS1_3repE0EEENS1_30default_config_static_selectorELNS0_4arch9wavefront6targetE1EEEvT1_,"axG",@progbits,_ZN7rocprim17ROCPRIM_400000_NS6detail17trampoline_kernelINS0_14default_configENS1_25partition_config_selectorILNS1_17partition_subalgoE5EiNS0_10empty_typeEbEEZZNS1_14partition_implILS5_5ELb0ES3_mPiPS6_N6thrust23THRUST_200600_302600_NS18transform_iteratorIN6dUtils5isOneIiEES9_NSC_11use_defaultESH_EENS0_5tupleIJS9_S6_EEENSJ_IJSA_SA_EEES6_PlJS6_EEE10hipError_tPvRmT3_T4_T5_T6_T7_T9_mT8_P12ihipStream_tbDpT10_ENKUlT_T0_E_clISt17integral_constantIbLb0EES15_IbLb1EEEEDaS11_S12_EUlS11_E_NS1_11comp_targetILNS1_3genE2ELNS1_11target_archE906ELNS1_3gpuE6ELNS1_3repE0EEENS1_30default_config_static_selectorELNS0_4arch9wavefront6targetE1EEEvT1_,comdat
	.protected	_ZN7rocprim17ROCPRIM_400000_NS6detail17trampoline_kernelINS0_14default_configENS1_25partition_config_selectorILNS1_17partition_subalgoE5EiNS0_10empty_typeEbEEZZNS1_14partition_implILS5_5ELb0ES3_mPiPS6_N6thrust23THRUST_200600_302600_NS18transform_iteratorIN6dUtils5isOneIiEES9_NSC_11use_defaultESH_EENS0_5tupleIJS9_S6_EEENSJ_IJSA_SA_EEES6_PlJS6_EEE10hipError_tPvRmT3_T4_T5_T6_T7_T9_mT8_P12ihipStream_tbDpT10_ENKUlT_T0_E_clISt17integral_constantIbLb0EES15_IbLb1EEEEDaS11_S12_EUlS11_E_NS1_11comp_targetILNS1_3genE2ELNS1_11target_archE906ELNS1_3gpuE6ELNS1_3repE0EEENS1_30default_config_static_selectorELNS0_4arch9wavefront6targetE1EEEvT1_ ; -- Begin function _ZN7rocprim17ROCPRIM_400000_NS6detail17trampoline_kernelINS0_14default_configENS1_25partition_config_selectorILNS1_17partition_subalgoE5EiNS0_10empty_typeEbEEZZNS1_14partition_implILS5_5ELb0ES3_mPiPS6_N6thrust23THRUST_200600_302600_NS18transform_iteratorIN6dUtils5isOneIiEES9_NSC_11use_defaultESH_EENS0_5tupleIJS9_S6_EEENSJ_IJSA_SA_EEES6_PlJS6_EEE10hipError_tPvRmT3_T4_T5_T6_T7_T9_mT8_P12ihipStream_tbDpT10_ENKUlT_T0_E_clISt17integral_constantIbLb0EES15_IbLb1EEEEDaS11_S12_EUlS11_E_NS1_11comp_targetILNS1_3genE2ELNS1_11target_archE906ELNS1_3gpuE6ELNS1_3repE0EEENS1_30default_config_static_selectorELNS0_4arch9wavefront6targetE1EEEvT1_
	.globl	_ZN7rocprim17ROCPRIM_400000_NS6detail17trampoline_kernelINS0_14default_configENS1_25partition_config_selectorILNS1_17partition_subalgoE5EiNS0_10empty_typeEbEEZZNS1_14partition_implILS5_5ELb0ES3_mPiPS6_N6thrust23THRUST_200600_302600_NS18transform_iteratorIN6dUtils5isOneIiEES9_NSC_11use_defaultESH_EENS0_5tupleIJS9_S6_EEENSJ_IJSA_SA_EEES6_PlJS6_EEE10hipError_tPvRmT3_T4_T5_T6_T7_T9_mT8_P12ihipStream_tbDpT10_ENKUlT_T0_E_clISt17integral_constantIbLb0EES15_IbLb1EEEEDaS11_S12_EUlS11_E_NS1_11comp_targetILNS1_3genE2ELNS1_11target_archE906ELNS1_3gpuE6ELNS1_3repE0EEENS1_30default_config_static_selectorELNS0_4arch9wavefront6targetE1EEEvT1_
	.p2align	8
	.type	_ZN7rocprim17ROCPRIM_400000_NS6detail17trampoline_kernelINS0_14default_configENS1_25partition_config_selectorILNS1_17partition_subalgoE5EiNS0_10empty_typeEbEEZZNS1_14partition_implILS5_5ELb0ES3_mPiPS6_N6thrust23THRUST_200600_302600_NS18transform_iteratorIN6dUtils5isOneIiEES9_NSC_11use_defaultESH_EENS0_5tupleIJS9_S6_EEENSJ_IJSA_SA_EEES6_PlJS6_EEE10hipError_tPvRmT3_T4_T5_T6_T7_T9_mT8_P12ihipStream_tbDpT10_ENKUlT_T0_E_clISt17integral_constantIbLb0EES15_IbLb1EEEEDaS11_S12_EUlS11_E_NS1_11comp_targetILNS1_3genE2ELNS1_11target_archE906ELNS1_3gpuE6ELNS1_3repE0EEENS1_30default_config_static_selectorELNS0_4arch9wavefront6targetE1EEEvT1_,@function
_ZN7rocprim17ROCPRIM_400000_NS6detail17trampoline_kernelINS0_14default_configENS1_25partition_config_selectorILNS1_17partition_subalgoE5EiNS0_10empty_typeEbEEZZNS1_14partition_implILS5_5ELb0ES3_mPiPS6_N6thrust23THRUST_200600_302600_NS18transform_iteratorIN6dUtils5isOneIiEES9_NSC_11use_defaultESH_EENS0_5tupleIJS9_S6_EEENSJ_IJSA_SA_EEES6_PlJS6_EEE10hipError_tPvRmT3_T4_T5_T6_T7_T9_mT8_P12ihipStream_tbDpT10_ENKUlT_T0_E_clISt17integral_constantIbLb0EES15_IbLb1EEEEDaS11_S12_EUlS11_E_NS1_11comp_targetILNS1_3genE2ELNS1_11target_archE906ELNS1_3gpuE6ELNS1_3repE0EEENS1_30default_config_static_selectorELNS0_4arch9wavefront6targetE1EEEvT1_: ; @_ZN7rocprim17ROCPRIM_400000_NS6detail17trampoline_kernelINS0_14default_configENS1_25partition_config_selectorILNS1_17partition_subalgoE5EiNS0_10empty_typeEbEEZZNS1_14partition_implILS5_5ELb0ES3_mPiPS6_N6thrust23THRUST_200600_302600_NS18transform_iteratorIN6dUtils5isOneIiEES9_NSC_11use_defaultESH_EENS0_5tupleIJS9_S6_EEENSJ_IJSA_SA_EEES6_PlJS6_EEE10hipError_tPvRmT3_T4_T5_T6_T7_T9_mT8_P12ihipStream_tbDpT10_ENKUlT_T0_E_clISt17integral_constantIbLb0EES15_IbLb1EEEEDaS11_S12_EUlS11_E_NS1_11comp_targetILNS1_3genE2ELNS1_11target_archE906ELNS1_3gpuE6ELNS1_3repE0EEENS1_30default_config_static_selectorELNS0_4arch9wavefront6targetE1EEEvT1_
; %bb.0:
	.section	.rodata,"a",@progbits
	.p2align	6, 0x0
	.amdhsa_kernel _ZN7rocprim17ROCPRIM_400000_NS6detail17trampoline_kernelINS0_14default_configENS1_25partition_config_selectorILNS1_17partition_subalgoE5EiNS0_10empty_typeEbEEZZNS1_14partition_implILS5_5ELb0ES3_mPiPS6_N6thrust23THRUST_200600_302600_NS18transform_iteratorIN6dUtils5isOneIiEES9_NSC_11use_defaultESH_EENS0_5tupleIJS9_S6_EEENSJ_IJSA_SA_EEES6_PlJS6_EEE10hipError_tPvRmT3_T4_T5_T6_T7_T9_mT8_P12ihipStream_tbDpT10_ENKUlT_T0_E_clISt17integral_constantIbLb0EES15_IbLb1EEEEDaS11_S12_EUlS11_E_NS1_11comp_targetILNS1_3genE2ELNS1_11target_archE906ELNS1_3gpuE6ELNS1_3repE0EEENS1_30default_config_static_selectorELNS0_4arch9wavefront6targetE1EEEvT1_
		.amdhsa_group_segment_fixed_size 0
		.amdhsa_private_segment_fixed_size 0
		.amdhsa_kernarg_size 136
		.amdhsa_user_sgpr_count 6
		.amdhsa_user_sgpr_private_segment_buffer 1
		.amdhsa_user_sgpr_dispatch_ptr 0
		.amdhsa_user_sgpr_queue_ptr 0
		.amdhsa_user_sgpr_kernarg_segment_ptr 1
		.amdhsa_user_sgpr_dispatch_id 0
		.amdhsa_user_sgpr_flat_scratch_init 0
		.amdhsa_user_sgpr_kernarg_preload_length 0
		.amdhsa_user_sgpr_kernarg_preload_offset 0
		.amdhsa_user_sgpr_private_segment_size 0
		.amdhsa_uses_dynamic_stack 0
		.amdhsa_system_sgpr_private_segment_wavefront_offset 0
		.amdhsa_system_sgpr_workgroup_id_x 1
		.amdhsa_system_sgpr_workgroup_id_y 0
		.amdhsa_system_sgpr_workgroup_id_z 0
		.amdhsa_system_sgpr_workgroup_info 0
		.amdhsa_system_vgpr_workitem_id 0
		.amdhsa_next_free_vgpr 1
		.amdhsa_next_free_sgpr 0
		.amdhsa_accum_offset 4
		.amdhsa_reserve_vcc 0
		.amdhsa_reserve_flat_scratch 0
		.amdhsa_float_round_mode_32 0
		.amdhsa_float_round_mode_16_64 0
		.amdhsa_float_denorm_mode_32 3
		.amdhsa_float_denorm_mode_16_64 3
		.amdhsa_dx10_clamp 1
		.amdhsa_ieee_mode 1
		.amdhsa_fp16_overflow 0
		.amdhsa_tg_split 0
		.amdhsa_exception_fp_ieee_invalid_op 0
		.amdhsa_exception_fp_denorm_src 0
		.amdhsa_exception_fp_ieee_div_zero 0
		.amdhsa_exception_fp_ieee_overflow 0
		.amdhsa_exception_fp_ieee_underflow 0
		.amdhsa_exception_fp_ieee_inexact 0
		.amdhsa_exception_int_div_zero 0
	.end_amdhsa_kernel
	.section	.text._ZN7rocprim17ROCPRIM_400000_NS6detail17trampoline_kernelINS0_14default_configENS1_25partition_config_selectorILNS1_17partition_subalgoE5EiNS0_10empty_typeEbEEZZNS1_14partition_implILS5_5ELb0ES3_mPiPS6_N6thrust23THRUST_200600_302600_NS18transform_iteratorIN6dUtils5isOneIiEES9_NSC_11use_defaultESH_EENS0_5tupleIJS9_S6_EEENSJ_IJSA_SA_EEES6_PlJS6_EEE10hipError_tPvRmT3_T4_T5_T6_T7_T9_mT8_P12ihipStream_tbDpT10_ENKUlT_T0_E_clISt17integral_constantIbLb0EES15_IbLb1EEEEDaS11_S12_EUlS11_E_NS1_11comp_targetILNS1_3genE2ELNS1_11target_archE906ELNS1_3gpuE6ELNS1_3repE0EEENS1_30default_config_static_selectorELNS0_4arch9wavefront6targetE1EEEvT1_,"axG",@progbits,_ZN7rocprim17ROCPRIM_400000_NS6detail17trampoline_kernelINS0_14default_configENS1_25partition_config_selectorILNS1_17partition_subalgoE5EiNS0_10empty_typeEbEEZZNS1_14partition_implILS5_5ELb0ES3_mPiPS6_N6thrust23THRUST_200600_302600_NS18transform_iteratorIN6dUtils5isOneIiEES9_NSC_11use_defaultESH_EENS0_5tupleIJS9_S6_EEENSJ_IJSA_SA_EEES6_PlJS6_EEE10hipError_tPvRmT3_T4_T5_T6_T7_T9_mT8_P12ihipStream_tbDpT10_ENKUlT_T0_E_clISt17integral_constantIbLb0EES15_IbLb1EEEEDaS11_S12_EUlS11_E_NS1_11comp_targetILNS1_3genE2ELNS1_11target_archE906ELNS1_3gpuE6ELNS1_3repE0EEENS1_30default_config_static_selectorELNS0_4arch9wavefront6targetE1EEEvT1_,comdat
.Lfunc_end176:
	.size	_ZN7rocprim17ROCPRIM_400000_NS6detail17trampoline_kernelINS0_14default_configENS1_25partition_config_selectorILNS1_17partition_subalgoE5EiNS0_10empty_typeEbEEZZNS1_14partition_implILS5_5ELb0ES3_mPiPS6_N6thrust23THRUST_200600_302600_NS18transform_iteratorIN6dUtils5isOneIiEES9_NSC_11use_defaultESH_EENS0_5tupleIJS9_S6_EEENSJ_IJSA_SA_EEES6_PlJS6_EEE10hipError_tPvRmT3_T4_T5_T6_T7_T9_mT8_P12ihipStream_tbDpT10_ENKUlT_T0_E_clISt17integral_constantIbLb0EES15_IbLb1EEEEDaS11_S12_EUlS11_E_NS1_11comp_targetILNS1_3genE2ELNS1_11target_archE906ELNS1_3gpuE6ELNS1_3repE0EEENS1_30default_config_static_selectorELNS0_4arch9wavefront6targetE1EEEvT1_, .Lfunc_end176-_ZN7rocprim17ROCPRIM_400000_NS6detail17trampoline_kernelINS0_14default_configENS1_25partition_config_selectorILNS1_17partition_subalgoE5EiNS0_10empty_typeEbEEZZNS1_14partition_implILS5_5ELb0ES3_mPiPS6_N6thrust23THRUST_200600_302600_NS18transform_iteratorIN6dUtils5isOneIiEES9_NSC_11use_defaultESH_EENS0_5tupleIJS9_S6_EEENSJ_IJSA_SA_EEES6_PlJS6_EEE10hipError_tPvRmT3_T4_T5_T6_T7_T9_mT8_P12ihipStream_tbDpT10_ENKUlT_T0_E_clISt17integral_constantIbLb0EES15_IbLb1EEEEDaS11_S12_EUlS11_E_NS1_11comp_targetILNS1_3genE2ELNS1_11target_archE906ELNS1_3gpuE6ELNS1_3repE0EEENS1_30default_config_static_selectorELNS0_4arch9wavefront6targetE1EEEvT1_
                                        ; -- End function
	.section	.AMDGPU.csdata,"",@progbits
; Kernel info:
; codeLenInByte = 0
; NumSgprs: 4
; NumVgprs: 0
; NumAgprs: 0
; TotalNumVgprs: 0
; ScratchSize: 0
; MemoryBound: 0
; FloatMode: 240
; IeeeMode: 1
; LDSByteSize: 0 bytes/workgroup (compile time only)
; SGPRBlocks: 0
; VGPRBlocks: 0
; NumSGPRsForWavesPerEU: 4
; NumVGPRsForWavesPerEU: 1
; AccumOffset: 4
; Occupancy: 8
; WaveLimiterHint : 0
; COMPUTE_PGM_RSRC2:SCRATCH_EN: 0
; COMPUTE_PGM_RSRC2:USER_SGPR: 6
; COMPUTE_PGM_RSRC2:TRAP_HANDLER: 0
; COMPUTE_PGM_RSRC2:TGID_X_EN: 1
; COMPUTE_PGM_RSRC2:TGID_Y_EN: 0
; COMPUTE_PGM_RSRC2:TGID_Z_EN: 0
; COMPUTE_PGM_RSRC2:TIDIG_COMP_CNT: 0
; COMPUTE_PGM_RSRC3_GFX90A:ACCUM_OFFSET: 0
; COMPUTE_PGM_RSRC3_GFX90A:TG_SPLIT: 0
	.section	.text._ZN7rocprim17ROCPRIM_400000_NS6detail17trampoline_kernelINS0_14default_configENS1_25partition_config_selectorILNS1_17partition_subalgoE5EiNS0_10empty_typeEbEEZZNS1_14partition_implILS5_5ELb0ES3_mPiPS6_N6thrust23THRUST_200600_302600_NS18transform_iteratorIN6dUtils5isOneIiEES9_NSC_11use_defaultESH_EENS0_5tupleIJS9_S6_EEENSJ_IJSA_SA_EEES6_PlJS6_EEE10hipError_tPvRmT3_T4_T5_T6_T7_T9_mT8_P12ihipStream_tbDpT10_ENKUlT_T0_E_clISt17integral_constantIbLb0EES15_IbLb1EEEEDaS11_S12_EUlS11_E_NS1_11comp_targetILNS1_3genE10ELNS1_11target_archE1200ELNS1_3gpuE4ELNS1_3repE0EEENS1_30default_config_static_selectorELNS0_4arch9wavefront6targetE1EEEvT1_,"axG",@progbits,_ZN7rocprim17ROCPRIM_400000_NS6detail17trampoline_kernelINS0_14default_configENS1_25partition_config_selectorILNS1_17partition_subalgoE5EiNS0_10empty_typeEbEEZZNS1_14partition_implILS5_5ELb0ES3_mPiPS6_N6thrust23THRUST_200600_302600_NS18transform_iteratorIN6dUtils5isOneIiEES9_NSC_11use_defaultESH_EENS0_5tupleIJS9_S6_EEENSJ_IJSA_SA_EEES6_PlJS6_EEE10hipError_tPvRmT3_T4_T5_T6_T7_T9_mT8_P12ihipStream_tbDpT10_ENKUlT_T0_E_clISt17integral_constantIbLb0EES15_IbLb1EEEEDaS11_S12_EUlS11_E_NS1_11comp_targetILNS1_3genE10ELNS1_11target_archE1200ELNS1_3gpuE4ELNS1_3repE0EEENS1_30default_config_static_selectorELNS0_4arch9wavefront6targetE1EEEvT1_,comdat
	.protected	_ZN7rocprim17ROCPRIM_400000_NS6detail17trampoline_kernelINS0_14default_configENS1_25partition_config_selectorILNS1_17partition_subalgoE5EiNS0_10empty_typeEbEEZZNS1_14partition_implILS5_5ELb0ES3_mPiPS6_N6thrust23THRUST_200600_302600_NS18transform_iteratorIN6dUtils5isOneIiEES9_NSC_11use_defaultESH_EENS0_5tupleIJS9_S6_EEENSJ_IJSA_SA_EEES6_PlJS6_EEE10hipError_tPvRmT3_T4_T5_T6_T7_T9_mT8_P12ihipStream_tbDpT10_ENKUlT_T0_E_clISt17integral_constantIbLb0EES15_IbLb1EEEEDaS11_S12_EUlS11_E_NS1_11comp_targetILNS1_3genE10ELNS1_11target_archE1200ELNS1_3gpuE4ELNS1_3repE0EEENS1_30default_config_static_selectorELNS0_4arch9wavefront6targetE1EEEvT1_ ; -- Begin function _ZN7rocprim17ROCPRIM_400000_NS6detail17trampoline_kernelINS0_14default_configENS1_25partition_config_selectorILNS1_17partition_subalgoE5EiNS0_10empty_typeEbEEZZNS1_14partition_implILS5_5ELb0ES3_mPiPS6_N6thrust23THRUST_200600_302600_NS18transform_iteratorIN6dUtils5isOneIiEES9_NSC_11use_defaultESH_EENS0_5tupleIJS9_S6_EEENSJ_IJSA_SA_EEES6_PlJS6_EEE10hipError_tPvRmT3_T4_T5_T6_T7_T9_mT8_P12ihipStream_tbDpT10_ENKUlT_T0_E_clISt17integral_constantIbLb0EES15_IbLb1EEEEDaS11_S12_EUlS11_E_NS1_11comp_targetILNS1_3genE10ELNS1_11target_archE1200ELNS1_3gpuE4ELNS1_3repE0EEENS1_30default_config_static_selectorELNS0_4arch9wavefront6targetE1EEEvT1_
	.globl	_ZN7rocprim17ROCPRIM_400000_NS6detail17trampoline_kernelINS0_14default_configENS1_25partition_config_selectorILNS1_17partition_subalgoE5EiNS0_10empty_typeEbEEZZNS1_14partition_implILS5_5ELb0ES3_mPiPS6_N6thrust23THRUST_200600_302600_NS18transform_iteratorIN6dUtils5isOneIiEES9_NSC_11use_defaultESH_EENS0_5tupleIJS9_S6_EEENSJ_IJSA_SA_EEES6_PlJS6_EEE10hipError_tPvRmT3_T4_T5_T6_T7_T9_mT8_P12ihipStream_tbDpT10_ENKUlT_T0_E_clISt17integral_constantIbLb0EES15_IbLb1EEEEDaS11_S12_EUlS11_E_NS1_11comp_targetILNS1_3genE10ELNS1_11target_archE1200ELNS1_3gpuE4ELNS1_3repE0EEENS1_30default_config_static_selectorELNS0_4arch9wavefront6targetE1EEEvT1_
	.p2align	8
	.type	_ZN7rocprim17ROCPRIM_400000_NS6detail17trampoline_kernelINS0_14default_configENS1_25partition_config_selectorILNS1_17partition_subalgoE5EiNS0_10empty_typeEbEEZZNS1_14partition_implILS5_5ELb0ES3_mPiPS6_N6thrust23THRUST_200600_302600_NS18transform_iteratorIN6dUtils5isOneIiEES9_NSC_11use_defaultESH_EENS0_5tupleIJS9_S6_EEENSJ_IJSA_SA_EEES6_PlJS6_EEE10hipError_tPvRmT3_T4_T5_T6_T7_T9_mT8_P12ihipStream_tbDpT10_ENKUlT_T0_E_clISt17integral_constantIbLb0EES15_IbLb1EEEEDaS11_S12_EUlS11_E_NS1_11comp_targetILNS1_3genE10ELNS1_11target_archE1200ELNS1_3gpuE4ELNS1_3repE0EEENS1_30default_config_static_selectorELNS0_4arch9wavefront6targetE1EEEvT1_,@function
_ZN7rocprim17ROCPRIM_400000_NS6detail17trampoline_kernelINS0_14default_configENS1_25partition_config_selectorILNS1_17partition_subalgoE5EiNS0_10empty_typeEbEEZZNS1_14partition_implILS5_5ELb0ES3_mPiPS6_N6thrust23THRUST_200600_302600_NS18transform_iteratorIN6dUtils5isOneIiEES9_NSC_11use_defaultESH_EENS0_5tupleIJS9_S6_EEENSJ_IJSA_SA_EEES6_PlJS6_EEE10hipError_tPvRmT3_T4_T5_T6_T7_T9_mT8_P12ihipStream_tbDpT10_ENKUlT_T0_E_clISt17integral_constantIbLb0EES15_IbLb1EEEEDaS11_S12_EUlS11_E_NS1_11comp_targetILNS1_3genE10ELNS1_11target_archE1200ELNS1_3gpuE4ELNS1_3repE0EEENS1_30default_config_static_selectorELNS0_4arch9wavefront6targetE1EEEvT1_: ; @_ZN7rocprim17ROCPRIM_400000_NS6detail17trampoline_kernelINS0_14default_configENS1_25partition_config_selectorILNS1_17partition_subalgoE5EiNS0_10empty_typeEbEEZZNS1_14partition_implILS5_5ELb0ES3_mPiPS6_N6thrust23THRUST_200600_302600_NS18transform_iteratorIN6dUtils5isOneIiEES9_NSC_11use_defaultESH_EENS0_5tupleIJS9_S6_EEENSJ_IJSA_SA_EEES6_PlJS6_EEE10hipError_tPvRmT3_T4_T5_T6_T7_T9_mT8_P12ihipStream_tbDpT10_ENKUlT_T0_E_clISt17integral_constantIbLb0EES15_IbLb1EEEEDaS11_S12_EUlS11_E_NS1_11comp_targetILNS1_3genE10ELNS1_11target_archE1200ELNS1_3gpuE4ELNS1_3repE0EEENS1_30default_config_static_selectorELNS0_4arch9wavefront6targetE1EEEvT1_
; %bb.0:
	.section	.rodata,"a",@progbits
	.p2align	6, 0x0
	.amdhsa_kernel _ZN7rocprim17ROCPRIM_400000_NS6detail17trampoline_kernelINS0_14default_configENS1_25partition_config_selectorILNS1_17partition_subalgoE5EiNS0_10empty_typeEbEEZZNS1_14partition_implILS5_5ELb0ES3_mPiPS6_N6thrust23THRUST_200600_302600_NS18transform_iteratorIN6dUtils5isOneIiEES9_NSC_11use_defaultESH_EENS0_5tupleIJS9_S6_EEENSJ_IJSA_SA_EEES6_PlJS6_EEE10hipError_tPvRmT3_T4_T5_T6_T7_T9_mT8_P12ihipStream_tbDpT10_ENKUlT_T0_E_clISt17integral_constantIbLb0EES15_IbLb1EEEEDaS11_S12_EUlS11_E_NS1_11comp_targetILNS1_3genE10ELNS1_11target_archE1200ELNS1_3gpuE4ELNS1_3repE0EEENS1_30default_config_static_selectorELNS0_4arch9wavefront6targetE1EEEvT1_
		.amdhsa_group_segment_fixed_size 0
		.amdhsa_private_segment_fixed_size 0
		.amdhsa_kernarg_size 136
		.amdhsa_user_sgpr_count 6
		.amdhsa_user_sgpr_private_segment_buffer 1
		.amdhsa_user_sgpr_dispatch_ptr 0
		.amdhsa_user_sgpr_queue_ptr 0
		.amdhsa_user_sgpr_kernarg_segment_ptr 1
		.amdhsa_user_sgpr_dispatch_id 0
		.amdhsa_user_sgpr_flat_scratch_init 0
		.amdhsa_user_sgpr_kernarg_preload_length 0
		.amdhsa_user_sgpr_kernarg_preload_offset 0
		.amdhsa_user_sgpr_private_segment_size 0
		.amdhsa_uses_dynamic_stack 0
		.amdhsa_system_sgpr_private_segment_wavefront_offset 0
		.amdhsa_system_sgpr_workgroup_id_x 1
		.amdhsa_system_sgpr_workgroup_id_y 0
		.amdhsa_system_sgpr_workgroup_id_z 0
		.amdhsa_system_sgpr_workgroup_info 0
		.amdhsa_system_vgpr_workitem_id 0
		.amdhsa_next_free_vgpr 1
		.amdhsa_next_free_sgpr 0
		.amdhsa_accum_offset 4
		.amdhsa_reserve_vcc 0
		.amdhsa_reserve_flat_scratch 0
		.amdhsa_float_round_mode_32 0
		.amdhsa_float_round_mode_16_64 0
		.amdhsa_float_denorm_mode_32 3
		.amdhsa_float_denorm_mode_16_64 3
		.amdhsa_dx10_clamp 1
		.amdhsa_ieee_mode 1
		.amdhsa_fp16_overflow 0
		.amdhsa_tg_split 0
		.amdhsa_exception_fp_ieee_invalid_op 0
		.amdhsa_exception_fp_denorm_src 0
		.amdhsa_exception_fp_ieee_div_zero 0
		.amdhsa_exception_fp_ieee_overflow 0
		.amdhsa_exception_fp_ieee_underflow 0
		.amdhsa_exception_fp_ieee_inexact 0
		.amdhsa_exception_int_div_zero 0
	.end_amdhsa_kernel
	.section	.text._ZN7rocprim17ROCPRIM_400000_NS6detail17trampoline_kernelINS0_14default_configENS1_25partition_config_selectorILNS1_17partition_subalgoE5EiNS0_10empty_typeEbEEZZNS1_14partition_implILS5_5ELb0ES3_mPiPS6_N6thrust23THRUST_200600_302600_NS18transform_iteratorIN6dUtils5isOneIiEES9_NSC_11use_defaultESH_EENS0_5tupleIJS9_S6_EEENSJ_IJSA_SA_EEES6_PlJS6_EEE10hipError_tPvRmT3_T4_T5_T6_T7_T9_mT8_P12ihipStream_tbDpT10_ENKUlT_T0_E_clISt17integral_constantIbLb0EES15_IbLb1EEEEDaS11_S12_EUlS11_E_NS1_11comp_targetILNS1_3genE10ELNS1_11target_archE1200ELNS1_3gpuE4ELNS1_3repE0EEENS1_30default_config_static_selectorELNS0_4arch9wavefront6targetE1EEEvT1_,"axG",@progbits,_ZN7rocprim17ROCPRIM_400000_NS6detail17trampoline_kernelINS0_14default_configENS1_25partition_config_selectorILNS1_17partition_subalgoE5EiNS0_10empty_typeEbEEZZNS1_14partition_implILS5_5ELb0ES3_mPiPS6_N6thrust23THRUST_200600_302600_NS18transform_iteratorIN6dUtils5isOneIiEES9_NSC_11use_defaultESH_EENS0_5tupleIJS9_S6_EEENSJ_IJSA_SA_EEES6_PlJS6_EEE10hipError_tPvRmT3_T4_T5_T6_T7_T9_mT8_P12ihipStream_tbDpT10_ENKUlT_T0_E_clISt17integral_constantIbLb0EES15_IbLb1EEEEDaS11_S12_EUlS11_E_NS1_11comp_targetILNS1_3genE10ELNS1_11target_archE1200ELNS1_3gpuE4ELNS1_3repE0EEENS1_30default_config_static_selectorELNS0_4arch9wavefront6targetE1EEEvT1_,comdat
.Lfunc_end177:
	.size	_ZN7rocprim17ROCPRIM_400000_NS6detail17trampoline_kernelINS0_14default_configENS1_25partition_config_selectorILNS1_17partition_subalgoE5EiNS0_10empty_typeEbEEZZNS1_14partition_implILS5_5ELb0ES3_mPiPS6_N6thrust23THRUST_200600_302600_NS18transform_iteratorIN6dUtils5isOneIiEES9_NSC_11use_defaultESH_EENS0_5tupleIJS9_S6_EEENSJ_IJSA_SA_EEES6_PlJS6_EEE10hipError_tPvRmT3_T4_T5_T6_T7_T9_mT8_P12ihipStream_tbDpT10_ENKUlT_T0_E_clISt17integral_constantIbLb0EES15_IbLb1EEEEDaS11_S12_EUlS11_E_NS1_11comp_targetILNS1_3genE10ELNS1_11target_archE1200ELNS1_3gpuE4ELNS1_3repE0EEENS1_30default_config_static_selectorELNS0_4arch9wavefront6targetE1EEEvT1_, .Lfunc_end177-_ZN7rocprim17ROCPRIM_400000_NS6detail17trampoline_kernelINS0_14default_configENS1_25partition_config_selectorILNS1_17partition_subalgoE5EiNS0_10empty_typeEbEEZZNS1_14partition_implILS5_5ELb0ES3_mPiPS6_N6thrust23THRUST_200600_302600_NS18transform_iteratorIN6dUtils5isOneIiEES9_NSC_11use_defaultESH_EENS0_5tupleIJS9_S6_EEENSJ_IJSA_SA_EEES6_PlJS6_EEE10hipError_tPvRmT3_T4_T5_T6_T7_T9_mT8_P12ihipStream_tbDpT10_ENKUlT_T0_E_clISt17integral_constantIbLb0EES15_IbLb1EEEEDaS11_S12_EUlS11_E_NS1_11comp_targetILNS1_3genE10ELNS1_11target_archE1200ELNS1_3gpuE4ELNS1_3repE0EEENS1_30default_config_static_selectorELNS0_4arch9wavefront6targetE1EEEvT1_
                                        ; -- End function
	.section	.AMDGPU.csdata,"",@progbits
; Kernel info:
; codeLenInByte = 0
; NumSgprs: 4
; NumVgprs: 0
; NumAgprs: 0
; TotalNumVgprs: 0
; ScratchSize: 0
; MemoryBound: 0
; FloatMode: 240
; IeeeMode: 1
; LDSByteSize: 0 bytes/workgroup (compile time only)
; SGPRBlocks: 0
; VGPRBlocks: 0
; NumSGPRsForWavesPerEU: 4
; NumVGPRsForWavesPerEU: 1
; AccumOffset: 4
; Occupancy: 8
; WaveLimiterHint : 0
; COMPUTE_PGM_RSRC2:SCRATCH_EN: 0
; COMPUTE_PGM_RSRC2:USER_SGPR: 6
; COMPUTE_PGM_RSRC2:TRAP_HANDLER: 0
; COMPUTE_PGM_RSRC2:TGID_X_EN: 1
; COMPUTE_PGM_RSRC2:TGID_Y_EN: 0
; COMPUTE_PGM_RSRC2:TGID_Z_EN: 0
; COMPUTE_PGM_RSRC2:TIDIG_COMP_CNT: 0
; COMPUTE_PGM_RSRC3_GFX90A:ACCUM_OFFSET: 0
; COMPUTE_PGM_RSRC3_GFX90A:TG_SPLIT: 0
	.section	.text._ZN7rocprim17ROCPRIM_400000_NS6detail17trampoline_kernelINS0_14default_configENS1_25partition_config_selectorILNS1_17partition_subalgoE5EiNS0_10empty_typeEbEEZZNS1_14partition_implILS5_5ELb0ES3_mPiPS6_N6thrust23THRUST_200600_302600_NS18transform_iteratorIN6dUtils5isOneIiEES9_NSC_11use_defaultESH_EENS0_5tupleIJS9_S6_EEENSJ_IJSA_SA_EEES6_PlJS6_EEE10hipError_tPvRmT3_T4_T5_T6_T7_T9_mT8_P12ihipStream_tbDpT10_ENKUlT_T0_E_clISt17integral_constantIbLb0EES15_IbLb1EEEEDaS11_S12_EUlS11_E_NS1_11comp_targetILNS1_3genE9ELNS1_11target_archE1100ELNS1_3gpuE3ELNS1_3repE0EEENS1_30default_config_static_selectorELNS0_4arch9wavefront6targetE1EEEvT1_,"axG",@progbits,_ZN7rocprim17ROCPRIM_400000_NS6detail17trampoline_kernelINS0_14default_configENS1_25partition_config_selectorILNS1_17partition_subalgoE5EiNS0_10empty_typeEbEEZZNS1_14partition_implILS5_5ELb0ES3_mPiPS6_N6thrust23THRUST_200600_302600_NS18transform_iteratorIN6dUtils5isOneIiEES9_NSC_11use_defaultESH_EENS0_5tupleIJS9_S6_EEENSJ_IJSA_SA_EEES6_PlJS6_EEE10hipError_tPvRmT3_T4_T5_T6_T7_T9_mT8_P12ihipStream_tbDpT10_ENKUlT_T0_E_clISt17integral_constantIbLb0EES15_IbLb1EEEEDaS11_S12_EUlS11_E_NS1_11comp_targetILNS1_3genE9ELNS1_11target_archE1100ELNS1_3gpuE3ELNS1_3repE0EEENS1_30default_config_static_selectorELNS0_4arch9wavefront6targetE1EEEvT1_,comdat
	.protected	_ZN7rocprim17ROCPRIM_400000_NS6detail17trampoline_kernelINS0_14default_configENS1_25partition_config_selectorILNS1_17partition_subalgoE5EiNS0_10empty_typeEbEEZZNS1_14partition_implILS5_5ELb0ES3_mPiPS6_N6thrust23THRUST_200600_302600_NS18transform_iteratorIN6dUtils5isOneIiEES9_NSC_11use_defaultESH_EENS0_5tupleIJS9_S6_EEENSJ_IJSA_SA_EEES6_PlJS6_EEE10hipError_tPvRmT3_T4_T5_T6_T7_T9_mT8_P12ihipStream_tbDpT10_ENKUlT_T0_E_clISt17integral_constantIbLb0EES15_IbLb1EEEEDaS11_S12_EUlS11_E_NS1_11comp_targetILNS1_3genE9ELNS1_11target_archE1100ELNS1_3gpuE3ELNS1_3repE0EEENS1_30default_config_static_selectorELNS0_4arch9wavefront6targetE1EEEvT1_ ; -- Begin function _ZN7rocprim17ROCPRIM_400000_NS6detail17trampoline_kernelINS0_14default_configENS1_25partition_config_selectorILNS1_17partition_subalgoE5EiNS0_10empty_typeEbEEZZNS1_14partition_implILS5_5ELb0ES3_mPiPS6_N6thrust23THRUST_200600_302600_NS18transform_iteratorIN6dUtils5isOneIiEES9_NSC_11use_defaultESH_EENS0_5tupleIJS9_S6_EEENSJ_IJSA_SA_EEES6_PlJS6_EEE10hipError_tPvRmT3_T4_T5_T6_T7_T9_mT8_P12ihipStream_tbDpT10_ENKUlT_T0_E_clISt17integral_constantIbLb0EES15_IbLb1EEEEDaS11_S12_EUlS11_E_NS1_11comp_targetILNS1_3genE9ELNS1_11target_archE1100ELNS1_3gpuE3ELNS1_3repE0EEENS1_30default_config_static_selectorELNS0_4arch9wavefront6targetE1EEEvT1_
	.globl	_ZN7rocprim17ROCPRIM_400000_NS6detail17trampoline_kernelINS0_14default_configENS1_25partition_config_selectorILNS1_17partition_subalgoE5EiNS0_10empty_typeEbEEZZNS1_14partition_implILS5_5ELb0ES3_mPiPS6_N6thrust23THRUST_200600_302600_NS18transform_iteratorIN6dUtils5isOneIiEES9_NSC_11use_defaultESH_EENS0_5tupleIJS9_S6_EEENSJ_IJSA_SA_EEES6_PlJS6_EEE10hipError_tPvRmT3_T4_T5_T6_T7_T9_mT8_P12ihipStream_tbDpT10_ENKUlT_T0_E_clISt17integral_constantIbLb0EES15_IbLb1EEEEDaS11_S12_EUlS11_E_NS1_11comp_targetILNS1_3genE9ELNS1_11target_archE1100ELNS1_3gpuE3ELNS1_3repE0EEENS1_30default_config_static_selectorELNS0_4arch9wavefront6targetE1EEEvT1_
	.p2align	8
	.type	_ZN7rocprim17ROCPRIM_400000_NS6detail17trampoline_kernelINS0_14default_configENS1_25partition_config_selectorILNS1_17partition_subalgoE5EiNS0_10empty_typeEbEEZZNS1_14partition_implILS5_5ELb0ES3_mPiPS6_N6thrust23THRUST_200600_302600_NS18transform_iteratorIN6dUtils5isOneIiEES9_NSC_11use_defaultESH_EENS0_5tupleIJS9_S6_EEENSJ_IJSA_SA_EEES6_PlJS6_EEE10hipError_tPvRmT3_T4_T5_T6_T7_T9_mT8_P12ihipStream_tbDpT10_ENKUlT_T0_E_clISt17integral_constantIbLb0EES15_IbLb1EEEEDaS11_S12_EUlS11_E_NS1_11comp_targetILNS1_3genE9ELNS1_11target_archE1100ELNS1_3gpuE3ELNS1_3repE0EEENS1_30default_config_static_selectorELNS0_4arch9wavefront6targetE1EEEvT1_,@function
_ZN7rocprim17ROCPRIM_400000_NS6detail17trampoline_kernelINS0_14default_configENS1_25partition_config_selectorILNS1_17partition_subalgoE5EiNS0_10empty_typeEbEEZZNS1_14partition_implILS5_5ELb0ES3_mPiPS6_N6thrust23THRUST_200600_302600_NS18transform_iteratorIN6dUtils5isOneIiEES9_NSC_11use_defaultESH_EENS0_5tupleIJS9_S6_EEENSJ_IJSA_SA_EEES6_PlJS6_EEE10hipError_tPvRmT3_T4_T5_T6_T7_T9_mT8_P12ihipStream_tbDpT10_ENKUlT_T0_E_clISt17integral_constantIbLb0EES15_IbLb1EEEEDaS11_S12_EUlS11_E_NS1_11comp_targetILNS1_3genE9ELNS1_11target_archE1100ELNS1_3gpuE3ELNS1_3repE0EEENS1_30default_config_static_selectorELNS0_4arch9wavefront6targetE1EEEvT1_: ; @_ZN7rocprim17ROCPRIM_400000_NS6detail17trampoline_kernelINS0_14default_configENS1_25partition_config_selectorILNS1_17partition_subalgoE5EiNS0_10empty_typeEbEEZZNS1_14partition_implILS5_5ELb0ES3_mPiPS6_N6thrust23THRUST_200600_302600_NS18transform_iteratorIN6dUtils5isOneIiEES9_NSC_11use_defaultESH_EENS0_5tupleIJS9_S6_EEENSJ_IJSA_SA_EEES6_PlJS6_EEE10hipError_tPvRmT3_T4_T5_T6_T7_T9_mT8_P12ihipStream_tbDpT10_ENKUlT_T0_E_clISt17integral_constantIbLb0EES15_IbLb1EEEEDaS11_S12_EUlS11_E_NS1_11comp_targetILNS1_3genE9ELNS1_11target_archE1100ELNS1_3gpuE3ELNS1_3repE0EEENS1_30default_config_static_selectorELNS0_4arch9wavefront6targetE1EEEvT1_
; %bb.0:
	.section	.rodata,"a",@progbits
	.p2align	6, 0x0
	.amdhsa_kernel _ZN7rocprim17ROCPRIM_400000_NS6detail17trampoline_kernelINS0_14default_configENS1_25partition_config_selectorILNS1_17partition_subalgoE5EiNS0_10empty_typeEbEEZZNS1_14partition_implILS5_5ELb0ES3_mPiPS6_N6thrust23THRUST_200600_302600_NS18transform_iteratorIN6dUtils5isOneIiEES9_NSC_11use_defaultESH_EENS0_5tupleIJS9_S6_EEENSJ_IJSA_SA_EEES6_PlJS6_EEE10hipError_tPvRmT3_T4_T5_T6_T7_T9_mT8_P12ihipStream_tbDpT10_ENKUlT_T0_E_clISt17integral_constantIbLb0EES15_IbLb1EEEEDaS11_S12_EUlS11_E_NS1_11comp_targetILNS1_3genE9ELNS1_11target_archE1100ELNS1_3gpuE3ELNS1_3repE0EEENS1_30default_config_static_selectorELNS0_4arch9wavefront6targetE1EEEvT1_
		.amdhsa_group_segment_fixed_size 0
		.amdhsa_private_segment_fixed_size 0
		.amdhsa_kernarg_size 136
		.amdhsa_user_sgpr_count 6
		.amdhsa_user_sgpr_private_segment_buffer 1
		.amdhsa_user_sgpr_dispatch_ptr 0
		.amdhsa_user_sgpr_queue_ptr 0
		.amdhsa_user_sgpr_kernarg_segment_ptr 1
		.amdhsa_user_sgpr_dispatch_id 0
		.amdhsa_user_sgpr_flat_scratch_init 0
		.amdhsa_user_sgpr_kernarg_preload_length 0
		.amdhsa_user_sgpr_kernarg_preload_offset 0
		.amdhsa_user_sgpr_private_segment_size 0
		.amdhsa_uses_dynamic_stack 0
		.amdhsa_system_sgpr_private_segment_wavefront_offset 0
		.amdhsa_system_sgpr_workgroup_id_x 1
		.amdhsa_system_sgpr_workgroup_id_y 0
		.amdhsa_system_sgpr_workgroup_id_z 0
		.amdhsa_system_sgpr_workgroup_info 0
		.amdhsa_system_vgpr_workitem_id 0
		.amdhsa_next_free_vgpr 1
		.amdhsa_next_free_sgpr 0
		.amdhsa_accum_offset 4
		.amdhsa_reserve_vcc 0
		.amdhsa_reserve_flat_scratch 0
		.amdhsa_float_round_mode_32 0
		.amdhsa_float_round_mode_16_64 0
		.amdhsa_float_denorm_mode_32 3
		.amdhsa_float_denorm_mode_16_64 3
		.amdhsa_dx10_clamp 1
		.amdhsa_ieee_mode 1
		.amdhsa_fp16_overflow 0
		.amdhsa_tg_split 0
		.amdhsa_exception_fp_ieee_invalid_op 0
		.amdhsa_exception_fp_denorm_src 0
		.amdhsa_exception_fp_ieee_div_zero 0
		.amdhsa_exception_fp_ieee_overflow 0
		.amdhsa_exception_fp_ieee_underflow 0
		.amdhsa_exception_fp_ieee_inexact 0
		.amdhsa_exception_int_div_zero 0
	.end_amdhsa_kernel
	.section	.text._ZN7rocprim17ROCPRIM_400000_NS6detail17trampoline_kernelINS0_14default_configENS1_25partition_config_selectorILNS1_17partition_subalgoE5EiNS0_10empty_typeEbEEZZNS1_14partition_implILS5_5ELb0ES3_mPiPS6_N6thrust23THRUST_200600_302600_NS18transform_iteratorIN6dUtils5isOneIiEES9_NSC_11use_defaultESH_EENS0_5tupleIJS9_S6_EEENSJ_IJSA_SA_EEES6_PlJS6_EEE10hipError_tPvRmT3_T4_T5_T6_T7_T9_mT8_P12ihipStream_tbDpT10_ENKUlT_T0_E_clISt17integral_constantIbLb0EES15_IbLb1EEEEDaS11_S12_EUlS11_E_NS1_11comp_targetILNS1_3genE9ELNS1_11target_archE1100ELNS1_3gpuE3ELNS1_3repE0EEENS1_30default_config_static_selectorELNS0_4arch9wavefront6targetE1EEEvT1_,"axG",@progbits,_ZN7rocprim17ROCPRIM_400000_NS6detail17trampoline_kernelINS0_14default_configENS1_25partition_config_selectorILNS1_17partition_subalgoE5EiNS0_10empty_typeEbEEZZNS1_14partition_implILS5_5ELb0ES3_mPiPS6_N6thrust23THRUST_200600_302600_NS18transform_iteratorIN6dUtils5isOneIiEES9_NSC_11use_defaultESH_EENS0_5tupleIJS9_S6_EEENSJ_IJSA_SA_EEES6_PlJS6_EEE10hipError_tPvRmT3_T4_T5_T6_T7_T9_mT8_P12ihipStream_tbDpT10_ENKUlT_T0_E_clISt17integral_constantIbLb0EES15_IbLb1EEEEDaS11_S12_EUlS11_E_NS1_11comp_targetILNS1_3genE9ELNS1_11target_archE1100ELNS1_3gpuE3ELNS1_3repE0EEENS1_30default_config_static_selectorELNS0_4arch9wavefront6targetE1EEEvT1_,comdat
.Lfunc_end178:
	.size	_ZN7rocprim17ROCPRIM_400000_NS6detail17trampoline_kernelINS0_14default_configENS1_25partition_config_selectorILNS1_17partition_subalgoE5EiNS0_10empty_typeEbEEZZNS1_14partition_implILS5_5ELb0ES3_mPiPS6_N6thrust23THRUST_200600_302600_NS18transform_iteratorIN6dUtils5isOneIiEES9_NSC_11use_defaultESH_EENS0_5tupleIJS9_S6_EEENSJ_IJSA_SA_EEES6_PlJS6_EEE10hipError_tPvRmT3_T4_T5_T6_T7_T9_mT8_P12ihipStream_tbDpT10_ENKUlT_T0_E_clISt17integral_constantIbLb0EES15_IbLb1EEEEDaS11_S12_EUlS11_E_NS1_11comp_targetILNS1_3genE9ELNS1_11target_archE1100ELNS1_3gpuE3ELNS1_3repE0EEENS1_30default_config_static_selectorELNS0_4arch9wavefront6targetE1EEEvT1_, .Lfunc_end178-_ZN7rocprim17ROCPRIM_400000_NS6detail17trampoline_kernelINS0_14default_configENS1_25partition_config_selectorILNS1_17partition_subalgoE5EiNS0_10empty_typeEbEEZZNS1_14partition_implILS5_5ELb0ES3_mPiPS6_N6thrust23THRUST_200600_302600_NS18transform_iteratorIN6dUtils5isOneIiEES9_NSC_11use_defaultESH_EENS0_5tupleIJS9_S6_EEENSJ_IJSA_SA_EEES6_PlJS6_EEE10hipError_tPvRmT3_T4_T5_T6_T7_T9_mT8_P12ihipStream_tbDpT10_ENKUlT_T0_E_clISt17integral_constantIbLb0EES15_IbLb1EEEEDaS11_S12_EUlS11_E_NS1_11comp_targetILNS1_3genE9ELNS1_11target_archE1100ELNS1_3gpuE3ELNS1_3repE0EEENS1_30default_config_static_selectorELNS0_4arch9wavefront6targetE1EEEvT1_
                                        ; -- End function
	.section	.AMDGPU.csdata,"",@progbits
; Kernel info:
; codeLenInByte = 0
; NumSgprs: 4
; NumVgprs: 0
; NumAgprs: 0
; TotalNumVgprs: 0
; ScratchSize: 0
; MemoryBound: 0
; FloatMode: 240
; IeeeMode: 1
; LDSByteSize: 0 bytes/workgroup (compile time only)
; SGPRBlocks: 0
; VGPRBlocks: 0
; NumSGPRsForWavesPerEU: 4
; NumVGPRsForWavesPerEU: 1
; AccumOffset: 4
; Occupancy: 8
; WaveLimiterHint : 0
; COMPUTE_PGM_RSRC2:SCRATCH_EN: 0
; COMPUTE_PGM_RSRC2:USER_SGPR: 6
; COMPUTE_PGM_RSRC2:TRAP_HANDLER: 0
; COMPUTE_PGM_RSRC2:TGID_X_EN: 1
; COMPUTE_PGM_RSRC2:TGID_Y_EN: 0
; COMPUTE_PGM_RSRC2:TGID_Z_EN: 0
; COMPUTE_PGM_RSRC2:TIDIG_COMP_CNT: 0
; COMPUTE_PGM_RSRC3_GFX90A:ACCUM_OFFSET: 0
; COMPUTE_PGM_RSRC3_GFX90A:TG_SPLIT: 0
	.section	.text._ZN7rocprim17ROCPRIM_400000_NS6detail17trampoline_kernelINS0_14default_configENS1_25partition_config_selectorILNS1_17partition_subalgoE5EiNS0_10empty_typeEbEEZZNS1_14partition_implILS5_5ELb0ES3_mPiPS6_N6thrust23THRUST_200600_302600_NS18transform_iteratorIN6dUtils5isOneIiEES9_NSC_11use_defaultESH_EENS0_5tupleIJS9_S6_EEENSJ_IJSA_SA_EEES6_PlJS6_EEE10hipError_tPvRmT3_T4_T5_T6_T7_T9_mT8_P12ihipStream_tbDpT10_ENKUlT_T0_E_clISt17integral_constantIbLb0EES15_IbLb1EEEEDaS11_S12_EUlS11_E_NS1_11comp_targetILNS1_3genE8ELNS1_11target_archE1030ELNS1_3gpuE2ELNS1_3repE0EEENS1_30default_config_static_selectorELNS0_4arch9wavefront6targetE1EEEvT1_,"axG",@progbits,_ZN7rocprim17ROCPRIM_400000_NS6detail17trampoline_kernelINS0_14default_configENS1_25partition_config_selectorILNS1_17partition_subalgoE5EiNS0_10empty_typeEbEEZZNS1_14partition_implILS5_5ELb0ES3_mPiPS6_N6thrust23THRUST_200600_302600_NS18transform_iteratorIN6dUtils5isOneIiEES9_NSC_11use_defaultESH_EENS0_5tupleIJS9_S6_EEENSJ_IJSA_SA_EEES6_PlJS6_EEE10hipError_tPvRmT3_T4_T5_T6_T7_T9_mT8_P12ihipStream_tbDpT10_ENKUlT_T0_E_clISt17integral_constantIbLb0EES15_IbLb1EEEEDaS11_S12_EUlS11_E_NS1_11comp_targetILNS1_3genE8ELNS1_11target_archE1030ELNS1_3gpuE2ELNS1_3repE0EEENS1_30default_config_static_selectorELNS0_4arch9wavefront6targetE1EEEvT1_,comdat
	.protected	_ZN7rocprim17ROCPRIM_400000_NS6detail17trampoline_kernelINS0_14default_configENS1_25partition_config_selectorILNS1_17partition_subalgoE5EiNS0_10empty_typeEbEEZZNS1_14partition_implILS5_5ELb0ES3_mPiPS6_N6thrust23THRUST_200600_302600_NS18transform_iteratorIN6dUtils5isOneIiEES9_NSC_11use_defaultESH_EENS0_5tupleIJS9_S6_EEENSJ_IJSA_SA_EEES6_PlJS6_EEE10hipError_tPvRmT3_T4_T5_T6_T7_T9_mT8_P12ihipStream_tbDpT10_ENKUlT_T0_E_clISt17integral_constantIbLb0EES15_IbLb1EEEEDaS11_S12_EUlS11_E_NS1_11comp_targetILNS1_3genE8ELNS1_11target_archE1030ELNS1_3gpuE2ELNS1_3repE0EEENS1_30default_config_static_selectorELNS0_4arch9wavefront6targetE1EEEvT1_ ; -- Begin function _ZN7rocprim17ROCPRIM_400000_NS6detail17trampoline_kernelINS0_14default_configENS1_25partition_config_selectorILNS1_17partition_subalgoE5EiNS0_10empty_typeEbEEZZNS1_14partition_implILS5_5ELb0ES3_mPiPS6_N6thrust23THRUST_200600_302600_NS18transform_iteratorIN6dUtils5isOneIiEES9_NSC_11use_defaultESH_EENS0_5tupleIJS9_S6_EEENSJ_IJSA_SA_EEES6_PlJS6_EEE10hipError_tPvRmT3_T4_T5_T6_T7_T9_mT8_P12ihipStream_tbDpT10_ENKUlT_T0_E_clISt17integral_constantIbLb0EES15_IbLb1EEEEDaS11_S12_EUlS11_E_NS1_11comp_targetILNS1_3genE8ELNS1_11target_archE1030ELNS1_3gpuE2ELNS1_3repE0EEENS1_30default_config_static_selectorELNS0_4arch9wavefront6targetE1EEEvT1_
	.globl	_ZN7rocprim17ROCPRIM_400000_NS6detail17trampoline_kernelINS0_14default_configENS1_25partition_config_selectorILNS1_17partition_subalgoE5EiNS0_10empty_typeEbEEZZNS1_14partition_implILS5_5ELb0ES3_mPiPS6_N6thrust23THRUST_200600_302600_NS18transform_iteratorIN6dUtils5isOneIiEES9_NSC_11use_defaultESH_EENS0_5tupleIJS9_S6_EEENSJ_IJSA_SA_EEES6_PlJS6_EEE10hipError_tPvRmT3_T4_T5_T6_T7_T9_mT8_P12ihipStream_tbDpT10_ENKUlT_T0_E_clISt17integral_constantIbLb0EES15_IbLb1EEEEDaS11_S12_EUlS11_E_NS1_11comp_targetILNS1_3genE8ELNS1_11target_archE1030ELNS1_3gpuE2ELNS1_3repE0EEENS1_30default_config_static_selectorELNS0_4arch9wavefront6targetE1EEEvT1_
	.p2align	8
	.type	_ZN7rocprim17ROCPRIM_400000_NS6detail17trampoline_kernelINS0_14default_configENS1_25partition_config_selectorILNS1_17partition_subalgoE5EiNS0_10empty_typeEbEEZZNS1_14partition_implILS5_5ELb0ES3_mPiPS6_N6thrust23THRUST_200600_302600_NS18transform_iteratorIN6dUtils5isOneIiEES9_NSC_11use_defaultESH_EENS0_5tupleIJS9_S6_EEENSJ_IJSA_SA_EEES6_PlJS6_EEE10hipError_tPvRmT3_T4_T5_T6_T7_T9_mT8_P12ihipStream_tbDpT10_ENKUlT_T0_E_clISt17integral_constantIbLb0EES15_IbLb1EEEEDaS11_S12_EUlS11_E_NS1_11comp_targetILNS1_3genE8ELNS1_11target_archE1030ELNS1_3gpuE2ELNS1_3repE0EEENS1_30default_config_static_selectorELNS0_4arch9wavefront6targetE1EEEvT1_,@function
_ZN7rocprim17ROCPRIM_400000_NS6detail17trampoline_kernelINS0_14default_configENS1_25partition_config_selectorILNS1_17partition_subalgoE5EiNS0_10empty_typeEbEEZZNS1_14partition_implILS5_5ELb0ES3_mPiPS6_N6thrust23THRUST_200600_302600_NS18transform_iteratorIN6dUtils5isOneIiEES9_NSC_11use_defaultESH_EENS0_5tupleIJS9_S6_EEENSJ_IJSA_SA_EEES6_PlJS6_EEE10hipError_tPvRmT3_T4_T5_T6_T7_T9_mT8_P12ihipStream_tbDpT10_ENKUlT_T0_E_clISt17integral_constantIbLb0EES15_IbLb1EEEEDaS11_S12_EUlS11_E_NS1_11comp_targetILNS1_3genE8ELNS1_11target_archE1030ELNS1_3gpuE2ELNS1_3repE0EEENS1_30default_config_static_selectorELNS0_4arch9wavefront6targetE1EEEvT1_: ; @_ZN7rocprim17ROCPRIM_400000_NS6detail17trampoline_kernelINS0_14default_configENS1_25partition_config_selectorILNS1_17partition_subalgoE5EiNS0_10empty_typeEbEEZZNS1_14partition_implILS5_5ELb0ES3_mPiPS6_N6thrust23THRUST_200600_302600_NS18transform_iteratorIN6dUtils5isOneIiEES9_NSC_11use_defaultESH_EENS0_5tupleIJS9_S6_EEENSJ_IJSA_SA_EEES6_PlJS6_EEE10hipError_tPvRmT3_T4_T5_T6_T7_T9_mT8_P12ihipStream_tbDpT10_ENKUlT_T0_E_clISt17integral_constantIbLb0EES15_IbLb1EEEEDaS11_S12_EUlS11_E_NS1_11comp_targetILNS1_3genE8ELNS1_11target_archE1030ELNS1_3gpuE2ELNS1_3repE0EEENS1_30default_config_static_selectorELNS0_4arch9wavefront6targetE1EEEvT1_
; %bb.0:
	.section	.rodata,"a",@progbits
	.p2align	6, 0x0
	.amdhsa_kernel _ZN7rocprim17ROCPRIM_400000_NS6detail17trampoline_kernelINS0_14default_configENS1_25partition_config_selectorILNS1_17partition_subalgoE5EiNS0_10empty_typeEbEEZZNS1_14partition_implILS5_5ELb0ES3_mPiPS6_N6thrust23THRUST_200600_302600_NS18transform_iteratorIN6dUtils5isOneIiEES9_NSC_11use_defaultESH_EENS0_5tupleIJS9_S6_EEENSJ_IJSA_SA_EEES6_PlJS6_EEE10hipError_tPvRmT3_T4_T5_T6_T7_T9_mT8_P12ihipStream_tbDpT10_ENKUlT_T0_E_clISt17integral_constantIbLb0EES15_IbLb1EEEEDaS11_S12_EUlS11_E_NS1_11comp_targetILNS1_3genE8ELNS1_11target_archE1030ELNS1_3gpuE2ELNS1_3repE0EEENS1_30default_config_static_selectorELNS0_4arch9wavefront6targetE1EEEvT1_
		.amdhsa_group_segment_fixed_size 0
		.amdhsa_private_segment_fixed_size 0
		.amdhsa_kernarg_size 136
		.amdhsa_user_sgpr_count 6
		.amdhsa_user_sgpr_private_segment_buffer 1
		.amdhsa_user_sgpr_dispatch_ptr 0
		.amdhsa_user_sgpr_queue_ptr 0
		.amdhsa_user_sgpr_kernarg_segment_ptr 1
		.amdhsa_user_sgpr_dispatch_id 0
		.amdhsa_user_sgpr_flat_scratch_init 0
		.amdhsa_user_sgpr_kernarg_preload_length 0
		.amdhsa_user_sgpr_kernarg_preload_offset 0
		.amdhsa_user_sgpr_private_segment_size 0
		.amdhsa_uses_dynamic_stack 0
		.amdhsa_system_sgpr_private_segment_wavefront_offset 0
		.amdhsa_system_sgpr_workgroup_id_x 1
		.amdhsa_system_sgpr_workgroup_id_y 0
		.amdhsa_system_sgpr_workgroup_id_z 0
		.amdhsa_system_sgpr_workgroup_info 0
		.amdhsa_system_vgpr_workitem_id 0
		.amdhsa_next_free_vgpr 1
		.amdhsa_next_free_sgpr 0
		.amdhsa_accum_offset 4
		.amdhsa_reserve_vcc 0
		.amdhsa_reserve_flat_scratch 0
		.amdhsa_float_round_mode_32 0
		.amdhsa_float_round_mode_16_64 0
		.amdhsa_float_denorm_mode_32 3
		.amdhsa_float_denorm_mode_16_64 3
		.amdhsa_dx10_clamp 1
		.amdhsa_ieee_mode 1
		.amdhsa_fp16_overflow 0
		.amdhsa_tg_split 0
		.amdhsa_exception_fp_ieee_invalid_op 0
		.amdhsa_exception_fp_denorm_src 0
		.amdhsa_exception_fp_ieee_div_zero 0
		.amdhsa_exception_fp_ieee_overflow 0
		.amdhsa_exception_fp_ieee_underflow 0
		.amdhsa_exception_fp_ieee_inexact 0
		.amdhsa_exception_int_div_zero 0
	.end_amdhsa_kernel
	.section	.text._ZN7rocprim17ROCPRIM_400000_NS6detail17trampoline_kernelINS0_14default_configENS1_25partition_config_selectorILNS1_17partition_subalgoE5EiNS0_10empty_typeEbEEZZNS1_14partition_implILS5_5ELb0ES3_mPiPS6_N6thrust23THRUST_200600_302600_NS18transform_iteratorIN6dUtils5isOneIiEES9_NSC_11use_defaultESH_EENS0_5tupleIJS9_S6_EEENSJ_IJSA_SA_EEES6_PlJS6_EEE10hipError_tPvRmT3_T4_T5_T6_T7_T9_mT8_P12ihipStream_tbDpT10_ENKUlT_T0_E_clISt17integral_constantIbLb0EES15_IbLb1EEEEDaS11_S12_EUlS11_E_NS1_11comp_targetILNS1_3genE8ELNS1_11target_archE1030ELNS1_3gpuE2ELNS1_3repE0EEENS1_30default_config_static_selectorELNS0_4arch9wavefront6targetE1EEEvT1_,"axG",@progbits,_ZN7rocprim17ROCPRIM_400000_NS6detail17trampoline_kernelINS0_14default_configENS1_25partition_config_selectorILNS1_17partition_subalgoE5EiNS0_10empty_typeEbEEZZNS1_14partition_implILS5_5ELb0ES3_mPiPS6_N6thrust23THRUST_200600_302600_NS18transform_iteratorIN6dUtils5isOneIiEES9_NSC_11use_defaultESH_EENS0_5tupleIJS9_S6_EEENSJ_IJSA_SA_EEES6_PlJS6_EEE10hipError_tPvRmT3_T4_T5_T6_T7_T9_mT8_P12ihipStream_tbDpT10_ENKUlT_T0_E_clISt17integral_constantIbLb0EES15_IbLb1EEEEDaS11_S12_EUlS11_E_NS1_11comp_targetILNS1_3genE8ELNS1_11target_archE1030ELNS1_3gpuE2ELNS1_3repE0EEENS1_30default_config_static_selectorELNS0_4arch9wavefront6targetE1EEEvT1_,comdat
.Lfunc_end179:
	.size	_ZN7rocprim17ROCPRIM_400000_NS6detail17trampoline_kernelINS0_14default_configENS1_25partition_config_selectorILNS1_17partition_subalgoE5EiNS0_10empty_typeEbEEZZNS1_14partition_implILS5_5ELb0ES3_mPiPS6_N6thrust23THRUST_200600_302600_NS18transform_iteratorIN6dUtils5isOneIiEES9_NSC_11use_defaultESH_EENS0_5tupleIJS9_S6_EEENSJ_IJSA_SA_EEES6_PlJS6_EEE10hipError_tPvRmT3_T4_T5_T6_T7_T9_mT8_P12ihipStream_tbDpT10_ENKUlT_T0_E_clISt17integral_constantIbLb0EES15_IbLb1EEEEDaS11_S12_EUlS11_E_NS1_11comp_targetILNS1_3genE8ELNS1_11target_archE1030ELNS1_3gpuE2ELNS1_3repE0EEENS1_30default_config_static_selectorELNS0_4arch9wavefront6targetE1EEEvT1_, .Lfunc_end179-_ZN7rocprim17ROCPRIM_400000_NS6detail17trampoline_kernelINS0_14default_configENS1_25partition_config_selectorILNS1_17partition_subalgoE5EiNS0_10empty_typeEbEEZZNS1_14partition_implILS5_5ELb0ES3_mPiPS6_N6thrust23THRUST_200600_302600_NS18transform_iteratorIN6dUtils5isOneIiEES9_NSC_11use_defaultESH_EENS0_5tupleIJS9_S6_EEENSJ_IJSA_SA_EEES6_PlJS6_EEE10hipError_tPvRmT3_T4_T5_T6_T7_T9_mT8_P12ihipStream_tbDpT10_ENKUlT_T0_E_clISt17integral_constantIbLb0EES15_IbLb1EEEEDaS11_S12_EUlS11_E_NS1_11comp_targetILNS1_3genE8ELNS1_11target_archE1030ELNS1_3gpuE2ELNS1_3repE0EEENS1_30default_config_static_selectorELNS0_4arch9wavefront6targetE1EEEvT1_
                                        ; -- End function
	.section	.AMDGPU.csdata,"",@progbits
; Kernel info:
; codeLenInByte = 0
; NumSgprs: 4
; NumVgprs: 0
; NumAgprs: 0
; TotalNumVgprs: 0
; ScratchSize: 0
; MemoryBound: 0
; FloatMode: 240
; IeeeMode: 1
; LDSByteSize: 0 bytes/workgroup (compile time only)
; SGPRBlocks: 0
; VGPRBlocks: 0
; NumSGPRsForWavesPerEU: 4
; NumVGPRsForWavesPerEU: 1
; AccumOffset: 4
; Occupancy: 8
; WaveLimiterHint : 0
; COMPUTE_PGM_RSRC2:SCRATCH_EN: 0
; COMPUTE_PGM_RSRC2:USER_SGPR: 6
; COMPUTE_PGM_RSRC2:TRAP_HANDLER: 0
; COMPUTE_PGM_RSRC2:TGID_X_EN: 1
; COMPUTE_PGM_RSRC2:TGID_Y_EN: 0
; COMPUTE_PGM_RSRC2:TGID_Z_EN: 0
; COMPUTE_PGM_RSRC2:TIDIG_COMP_CNT: 0
; COMPUTE_PGM_RSRC3_GFX90A:ACCUM_OFFSET: 0
; COMPUTE_PGM_RSRC3_GFX90A:TG_SPLIT: 0
	.section	.text._ZN7rocprim17ROCPRIM_400000_NS6detail17trampoline_kernelINS0_14default_configENS1_22reduce_config_selectorIN6thrust23THRUST_200600_302600_NS5tupleIilNS6_9null_typeES8_S8_S8_S8_S8_S8_S8_EEEEZNS1_11reduce_implILb0ES3_PS9_SC_S9_NS6_11hip_rocprim9__extrema9arg_max_fIilNS6_4lessIiEEEEEE10hipError_tPvRmT1_T2_T3_mT4_P12ihipStream_tbEUlT_E0_NS1_11comp_targetILNS1_3genE0ELNS1_11target_archE4294967295ELNS1_3gpuE0ELNS1_3repE0EEENS1_30default_config_static_selectorELNS0_4arch9wavefront6targetE1EEEvSM_,"axG",@progbits,_ZN7rocprim17ROCPRIM_400000_NS6detail17trampoline_kernelINS0_14default_configENS1_22reduce_config_selectorIN6thrust23THRUST_200600_302600_NS5tupleIilNS6_9null_typeES8_S8_S8_S8_S8_S8_S8_EEEEZNS1_11reduce_implILb0ES3_PS9_SC_S9_NS6_11hip_rocprim9__extrema9arg_max_fIilNS6_4lessIiEEEEEE10hipError_tPvRmT1_T2_T3_mT4_P12ihipStream_tbEUlT_E0_NS1_11comp_targetILNS1_3genE0ELNS1_11target_archE4294967295ELNS1_3gpuE0ELNS1_3repE0EEENS1_30default_config_static_selectorELNS0_4arch9wavefront6targetE1EEEvSM_,comdat
	.protected	_ZN7rocprim17ROCPRIM_400000_NS6detail17trampoline_kernelINS0_14default_configENS1_22reduce_config_selectorIN6thrust23THRUST_200600_302600_NS5tupleIilNS6_9null_typeES8_S8_S8_S8_S8_S8_S8_EEEEZNS1_11reduce_implILb0ES3_PS9_SC_S9_NS6_11hip_rocprim9__extrema9arg_max_fIilNS6_4lessIiEEEEEE10hipError_tPvRmT1_T2_T3_mT4_P12ihipStream_tbEUlT_E0_NS1_11comp_targetILNS1_3genE0ELNS1_11target_archE4294967295ELNS1_3gpuE0ELNS1_3repE0EEENS1_30default_config_static_selectorELNS0_4arch9wavefront6targetE1EEEvSM_ ; -- Begin function _ZN7rocprim17ROCPRIM_400000_NS6detail17trampoline_kernelINS0_14default_configENS1_22reduce_config_selectorIN6thrust23THRUST_200600_302600_NS5tupleIilNS6_9null_typeES8_S8_S8_S8_S8_S8_S8_EEEEZNS1_11reduce_implILb0ES3_PS9_SC_S9_NS6_11hip_rocprim9__extrema9arg_max_fIilNS6_4lessIiEEEEEE10hipError_tPvRmT1_T2_T3_mT4_P12ihipStream_tbEUlT_E0_NS1_11comp_targetILNS1_3genE0ELNS1_11target_archE4294967295ELNS1_3gpuE0ELNS1_3repE0EEENS1_30default_config_static_selectorELNS0_4arch9wavefront6targetE1EEEvSM_
	.globl	_ZN7rocprim17ROCPRIM_400000_NS6detail17trampoline_kernelINS0_14default_configENS1_22reduce_config_selectorIN6thrust23THRUST_200600_302600_NS5tupleIilNS6_9null_typeES8_S8_S8_S8_S8_S8_S8_EEEEZNS1_11reduce_implILb0ES3_PS9_SC_S9_NS6_11hip_rocprim9__extrema9arg_max_fIilNS6_4lessIiEEEEEE10hipError_tPvRmT1_T2_T3_mT4_P12ihipStream_tbEUlT_E0_NS1_11comp_targetILNS1_3genE0ELNS1_11target_archE4294967295ELNS1_3gpuE0ELNS1_3repE0EEENS1_30default_config_static_selectorELNS0_4arch9wavefront6targetE1EEEvSM_
	.p2align	8
	.type	_ZN7rocprim17ROCPRIM_400000_NS6detail17trampoline_kernelINS0_14default_configENS1_22reduce_config_selectorIN6thrust23THRUST_200600_302600_NS5tupleIilNS6_9null_typeES8_S8_S8_S8_S8_S8_S8_EEEEZNS1_11reduce_implILb0ES3_PS9_SC_S9_NS6_11hip_rocprim9__extrema9arg_max_fIilNS6_4lessIiEEEEEE10hipError_tPvRmT1_T2_T3_mT4_P12ihipStream_tbEUlT_E0_NS1_11comp_targetILNS1_3genE0ELNS1_11target_archE4294967295ELNS1_3gpuE0ELNS1_3repE0EEENS1_30default_config_static_selectorELNS0_4arch9wavefront6targetE1EEEvSM_,@function
_ZN7rocprim17ROCPRIM_400000_NS6detail17trampoline_kernelINS0_14default_configENS1_22reduce_config_selectorIN6thrust23THRUST_200600_302600_NS5tupleIilNS6_9null_typeES8_S8_S8_S8_S8_S8_S8_EEEEZNS1_11reduce_implILb0ES3_PS9_SC_S9_NS6_11hip_rocprim9__extrema9arg_max_fIilNS6_4lessIiEEEEEE10hipError_tPvRmT1_T2_T3_mT4_P12ihipStream_tbEUlT_E0_NS1_11comp_targetILNS1_3genE0ELNS1_11target_archE4294967295ELNS1_3gpuE0ELNS1_3repE0EEENS1_30default_config_static_selectorELNS0_4arch9wavefront6targetE1EEEvSM_: ; @_ZN7rocprim17ROCPRIM_400000_NS6detail17trampoline_kernelINS0_14default_configENS1_22reduce_config_selectorIN6thrust23THRUST_200600_302600_NS5tupleIilNS6_9null_typeES8_S8_S8_S8_S8_S8_S8_EEEEZNS1_11reduce_implILb0ES3_PS9_SC_S9_NS6_11hip_rocprim9__extrema9arg_max_fIilNS6_4lessIiEEEEEE10hipError_tPvRmT1_T2_T3_mT4_P12ihipStream_tbEUlT_E0_NS1_11comp_targetILNS1_3genE0ELNS1_11target_archE4294967295ELNS1_3gpuE0ELNS1_3repE0EEENS1_30default_config_static_selectorELNS0_4arch9wavefront6targetE1EEEvSM_
; %bb.0:
	.section	.rodata,"a",@progbits
	.p2align	6, 0x0
	.amdhsa_kernel _ZN7rocprim17ROCPRIM_400000_NS6detail17trampoline_kernelINS0_14default_configENS1_22reduce_config_selectorIN6thrust23THRUST_200600_302600_NS5tupleIilNS6_9null_typeES8_S8_S8_S8_S8_S8_S8_EEEEZNS1_11reduce_implILb0ES3_PS9_SC_S9_NS6_11hip_rocprim9__extrema9arg_max_fIilNS6_4lessIiEEEEEE10hipError_tPvRmT1_T2_T3_mT4_P12ihipStream_tbEUlT_E0_NS1_11comp_targetILNS1_3genE0ELNS1_11target_archE4294967295ELNS1_3gpuE0ELNS1_3repE0EEENS1_30default_config_static_selectorELNS0_4arch9wavefront6targetE1EEEvSM_
		.amdhsa_group_segment_fixed_size 0
		.amdhsa_private_segment_fixed_size 0
		.amdhsa_kernarg_size 72
		.amdhsa_user_sgpr_count 6
		.amdhsa_user_sgpr_private_segment_buffer 1
		.amdhsa_user_sgpr_dispatch_ptr 0
		.amdhsa_user_sgpr_queue_ptr 0
		.amdhsa_user_sgpr_kernarg_segment_ptr 1
		.amdhsa_user_sgpr_dispatch_id 0
		.amdhsa_user_sgpr_flat_scratch_init 0
		.amdhsa_user_sgpr_kernarg_preload_length 0
		.amdhsa_user_sgpr_kernarg_preload_offset 0
		.amdhsa_user_sgpr_private_segment_size 0
		.amdhsa_uses_dynamic_stack 0
		.amdhsa_system_sgpr_private_segment_wavefront_offset 0
		.amdhsa_system_sgpr_workgroup_id_x 1
		.amdhsa_system_sgpr_workgroup_id_y 0
		.amdhsa_system_sgpr_workgroup_id_z 0
		.amdhsa_system_sgpr_workgroup_info 0
		.amdhsa_system_vgpr_workitem_id 0
		.amdhsa_next_free_vgpr 1
		.amdhsa_next_free_sgpr 0
		.amdhsa_accum_offset 4
		.amdhsa_reserve_vcc 0
		.amdhsa_reserve_flat_scratch 0
		.amdhsa_float_round_mode_32 0
		.amdhsa_float_round_mode_16_64 0
		.amdhsa_float_denorm_mode_32 3
		.amdhsa_float_denorm_mode_16_64 3
		.amdhsa_dx10_clamp 1
		.amdhsa_ieee_mode 1
		.amdhsa_fp16_overflow 0
		.amdhsa_tg_split 0
		.amdhsa_exception_fp_ieee_invalid_op 0
		.amdhsa_exception_fp_denorm_src 0
		.amdhsa_exception_fp_ieee_div_zero 0
		.amdhsa_exception_fp_ieee_overflow 0
		.amdhsa_exception_fp_ieee_underflow 0
		.amdhsa_exception_fp_ieee_inexact 0
		.amdhsa_exception_int_div_zero 0
	.end_amdhsa_kernel
	.section	.text._ZN7rocprim17ROCPRIM_400000_NS6detail17trampoline_kernelINS0_14default_configENS1_22reduce_config_selectorIN6thrust23THRUST_200600_302600_NS5tupleIilNS6_9null_typeES8_S8_S8_S8_S8_S8_S8_EEEEZNS1_11reduce_implILb0ES3_PS9_SC_S9_NS6_11hip_rocprim9__extrema9arg_max_fIilNS6_4lessIiEEEEEE10hipError_tPvRmT1_T2_T3_mT4_P12ihipStream_tbEUlT_E0_NS1_11comp_targetILNS1_3genE0ELNS1_11target_archE4294967295ELNS1_3gpuE0ELNS1_3repE0EEENS1_30default_config_static_selectorELNS0_4arch9wavefront6targetE1EEEvSM_,"axG",@progbits,_ZN7rocprim17ROCPRIM_400000_NS6detail17trampoline_kernelINS0_14default_configENS1_22reduce_config_selectorIN6thrust23THRUST_200600_302600_NS5tupleIilNS6_9null_typeES8_S8_S8_S8_S8_S8_S8_EEEEZNS1_11reduce_implILb0ES3_PS9_SC_S9_NS6_11hip_rocprim9__extrema9arg_max_fIilNS6_4lessIiEEEEEE10hipError_tPvRmT1_T2_T3_mT4_P12ihipStream_tbEUlT_E0_NS1_11comp_targetILNS1_3genE0ELNS1_11target_archE4294967295ELNS1_3gpuE0ELNS1_3repE0EEENS1_30default_config_static_selectorELNS0_4arch9wavefront6targetE1EEEvSM_,comdat
.Lfunc_end180:
	.size	_ZN7rocprim17ROCPRIM_400000_NS6detail17trampoline_kernelINS0_14default_configENS1_22reduce_config_selectorIN6thrust23THRUST_200600_302600_NS5tupleIilNS6_9null_typeES8_S8_S8_S8_S8_S8_S8_EEEEZNS1_11reduce_implILb0ES3_PS9_SC_S9_NS6_11hip_rocprim9__extrema9arg_max_fIilNS6_4lessIiEEEEEE10hipError_tPvRmT1_T2_T3_mT4_P12ihipStream_tbEUlT_E0_NS1_11comp_targetILNS1_3genE0ELNS1_11target_archE4294967295ELNS1_3gpuE0ELNS1_3repE0EEENS1_30default_config_static_selectorELNS0_4arch9wavefront6targetE1EEEvSM_, .Lfunc_end180-_ZN7rocprim17ROCPRIM_400000_NS6detail17trampoline_kernelINS0_14default_configENS1_22reduce_config_selectorIN6thrust23THRUST_200600_302600_NS5tupleIilNS6_9null_typeES8_S8_S8_S8_S8_S8_S8_EEEEZNS1_11reduce_implILb0ES3_PS9_SC_S9_NS6_11hip_rocprim9__extrema9arg_max_fIilNS6_4lessIiEEEEEE10hipError_tPvRmT1_T2_T3_mT4_P12ihipStream_tbEUlT_E0_NS1_11comp_targetILNS1_3genE0ELNS1_11target_archE4294967295ELNS1_3gpuE0ELNS1_3repE0EEENS1_30default_config_static_selectorELNS0_4arch9wavefront6targetE1EEEvSM_
                                        ; -- End function
	.section	.AMDGPU.csdata,"",@progbits
; Kernel info:
; codeLenInByte = 0
; NumSgprs: 4
; NumVgprs: 0
; NumAgprs: 0
; TotalNumVgprs: 0
; ScratchSize: 0
; MemoryBound: 0
; FloatMode: 240
; IeeeMode: 1
; LDSByteSize: 0 bytes/workgroup (compile time only)
; SGPRBlocks: 0
; VGPRBlocks: 0
; NumSGPRsForWavesPerEU: 4
; NumVGPRsForWavesPerEU: 1
; AccumOffset: 4
; Occupancy: 8
; WaveLimiterHint : 0
; COMPUTE_PGM_RSRC2:SCRATCH_EN: 0
; COMPUTE_PGM_RSRC2:USER_SGPR: 6
; COMPUTE_PGM_RSRC2:TRAP_HANDLER: 0
; COMPUTE_PGM_RSRC2:TGID_X_EN: 1
; COMPUTE_PGM_RSRC2:TGID_Y_EN: 0
; COMPUTE_PGM_RSRC2:TGID_Z_EN: 0
; COMPUTE_PGM_RSRC2:TIDIG_COMP_CNT: 0
; COMPUTE_PGM_RSRC3_GFX90A:ACCUM_OFFSET: 0
; COMPUTE_PGM_RSRC3_GFX90A:TG_SPLIT: 0
	.section	.text._ZN7rocprim17ROCPRIM_400000_NS6detail17trampoline_kernelINS0_14default_configENS1_22reduce_config_selectorIN6thrust23THRUST_200600_302600_NS5tupleIilNS6_9null_typeES8_S8_S8_S8_S8_S8_S8_EEEEZNS1_11reduce_implILb0ES3_PS9_SC_S9_NS6_11hip_rocprim9__extrema9arg_max_fIilNS6_4lessIiEEEEEE10hipError_tPvRmT1_T2_T3_mT4_P12ihipStream_tbEUlT_E0_NS1_11comp_targetILNS1_3genE5ELNS1_11target_archE942ELNS1_3gpuE9ELNS1_3repE0EEENS1_30default_config_static_selectorELNS0_4arch9wavefront6targetE1EEEvSM_,"axG",@progbits,_ZN7rocprim17ROCPRIM_400000_NS6detail17trampoline_kernelINS0_14default_configENS1_22reduce_config_selectorIN6thrust23THRUST_200600_302600_NS5tupleIilNS6_9null_typeES8_S8_S8_S8_S8_S8_S8_EEEEZNS1_11reduce_implILb0ES3_PS9_SC_S9_NS6_11hip_rocprim9__extrema9arg_max_fIilNS6_4lessIiEEEEEE10hipError_tPvRmT1_T2_T3_mT4_P12ihipStream_tbEUlT_E0_NS1_11comp_targetILNS1_3genE5ELNS1_11target_archE942ELNS1_3gpuE9ELNS1_3repE0EEENS1_30default_config_static_selectorELNS0_4arch9wavefront6targetE1EEEvSM_,comdat
	.protected	_ZN7rocprim17ROCPRIM_400000_NS6detail17trampoline_kernelINS0_14default_configENS1_22reduce_config_selectorIN6thrust23THRUST_200600_302600_NS5tupleIilNS6_9null_typeES8_S8_S8_S8_S8_S8_S8_EEEEZNS1_11reduce_implILb0ES3_PS9_SC_S9_NS6_11hip_rocprim9__extrema9arg_max_fIilNS6_4lessIiEEEEEE10hipError_tPvRmT1_T2_T3_mT4_P12ihipStream_tbEUlT_E0_NS1_11comp_targetILNS1_3genE5ELNS1_11target_archE942ELNS1_3gpuE9ELNS1_3repE0EEENS1_30default_config_static_selectorELNS0_4arch9wavefront6targetE1EEEvSM_ ; -- Begin function _ZN7rocprim17ROCPRIM_400000_NS6detail17trampoline_kernelINS0_14default_configENS1_22reduce_config_selectorIN6thrust23THRUST_200600_302600_NS5tupleIilNS6_9null_typeES8_S8_S8_S8_S8_S8_S8_EEEEZNS1_11reduce_implILb0ES3_PS9_SC_S9_NS6_11hip_rocprim9__extrema9arg_max_fIilNS6_4lessIiEEEEEE10hipError_tPvRmT1_T2_T3_mT4_P12ihipStream_tbEUlT_E0_NS1_11comp_targetILNS1_3genE5ELNS1_11target_archE942ELNS1_3gpuE9ELNS1_3repE0EEENS1_30default_config_static_selectorELNS0_4arch9wavefront6targetE1EEEvSM_
	.globl	_ZN7rocprim17ROCPRIM_400000_NS6detail17trampoline_kernelINS0_14default_configENS1_22reduce_config_selectorIN6thrust23THRUST_200600_302600_NS5tupleIilNS6_9null_typeES8_S8_S8_S8_S8_S8_S8_EEEEZNS1_11reduce_implILb0ES3_PS9_SC_S9_NS6_11hip_rocprim9__extrema9arg_max_fIilNS6_4lessIiEEEEEE10hipError_tPvRmT1_T2_T3_mT4_P12ihipStream_tbEUlT_E0_NS1_11comp_targetILNS1_3genE5ELNS1_11target_archE942ELNS1_3gpuE9ELNS1_3repE0EEENS1_30default_config_static_selectorELNS0_4arch9wavefront6targetE1EEEvSM_
	.p2align	8
	.type	_ZN7rocprim17ROCPRIM_400000_NS6detail17trampoline_kernelINS0_14default_configENS1_22reduce_config_selectorIN6thrust23THRUST_200600_302600_NS5tupleIilNS6_9null_typeES8_S8_S8_S8_S8_S8_S8_EEEEZNS1_11reduce_implILb0ES3_PS9_SC_S9_NS6_11hip_rocprim9__extrema9arg_max_fIilNS6_4lessIiEEEEEE10hipError_tPvRmT1_T2_T3_mT4_P12ihipStream_tbEUlT_E0_NS1_11comp_targetILNS1_3genE5ELNS1_11target_archE942ELNS1_3gpuE9ELNS1_3repE0EEENS1_30default_config_static_selectorELNS0_4arch9wavefront6targetE1EEEvSM_,@function
_ZN7rocprim17ROCPRIM_400000_NS6detail17trampoline_kernelINS0_14default_configENS1_22reduce_config_selectorIN6thrust23THRUST_200600_302600_NS5tupleIilNS6_9null_typeES8_S8_S8_S8_S8_S8_S8_EEEEZNS1_11reduce_implILb0ES3_PS9_SC_S9_NS6_11hip_rocprim9__extrema9arg_max_fIilNS6_4lessIiEEEEEE10hipError_tPvRmT1_T2_T3_mT4_P12ihipStream_tbEUlT_E0_NS1_11comp_targetILNS1_3genE5ELNS1_11target_archE942ELNS1_3gpuE9ELNS1_3repE0EEENS1_30default_config_static_selectorELNS0_4arch9wavefront6targetE1EEEvSM_: ; @_ZN7rocprim17ROCPRIM_400000_NS6detail17trampoline_kernelINS0_14default_configENS1_22reduce_config_selectorIN6thrust23THRUST_200600_302600_NS5tupleIilNS6_9null_typeES8_S8_S8_S8_S8_S8_S8_EEEEZNS1_11reduce_implILb0ES3_PS9_SC_S9_NS6_11hip_rocprim9__extrema9arg_max_fIilNS6_4lessIiEEEEEE10hipError_tPvRmT1_T2_T3_mT4_P12ihipStream_tbEUlT_E0_NS1_11comp_targetILNS1_3genE5ELNS1_11target_archE942ELNS1_3gpuE9ELNS1_3repE0EEENS1_30default_config_static_selectorELNS0_4arch9wavefront6targetE1EEEvSM_
; %bb.0:
	.section	.rodata,"a",@progbits
	.p2align	6, 0x0
	.amdhsa_kernel _ZN7rocprim17ROCPRIM_400000_NS6detail17trampoline_kernelINS0_14default_configENS1_22reduce_config_selectorIN6thrust23THRUST_200600_302600_NS5tupleIilNS6_9null_typeES8_S8_S8_S8_S8_S8_S8_EEEEZNS1_11reduce_implILb0ES3_PS9_SC_S9_NS6_11hip_rocprim9__extrema9arg_max_fIilNS6_4lessIiEEEEEE10hipError_tPvRmT1_T2_T3_mT4_P12ihipStream_tbEUlT_E0_NS1_11comp_targetILNS1_3genE5ELNS1_11target_archE942ELNS1_3gpuE9ELNS1_3repE0EEENS1_30default_config_static_selectorELNS0_4arch9wavefront6targetE1EEEvSM_
		.amdhsa_group_segment_fixed_size 0
		.amdhsa_private_segment_fixed_size 0
		.amdhsa_kernarg_size 72
		.amdhsa_user_sgpr_count 6
		.amdhsa_user_sgpr_private_segment_buffer 1
		.amdhsa_user_sgpr_dispatch_ptr 0
		.amdhsa_user_sgpr_queue_ptr 0
		.amdhsa_user_sgpr_kernarg_segment_ptr 1
		.amdhsa_user_sgpr_dispatch_id 0
		.amdhsa_user_sgpr_flat_scratch_init 0
		.amdhsa_user_sgpr_kernarg_preload_length 0
		.amdhsa_user_sgpr_kernarg_preload_offset 0
		.amdhsa_user_sgpr_private_segment_size 0
		.amdhsa_uses_dynamic_stack 0
		.amdhsa_system_sgpr_private_segment_wavefront_offset 0
		.amdhsa_system_sgpr_workgroup_id_x 1
		.amdhsa_system_sgpr_workgroup_id_y 0
		.amdhsa_system_sgpr_workgroup_id_z 0
		.amdhsa_system_sgpr_workgroup_info 0
		.amdhsa_system_vgpr_workitem_id 0
		.amdhsa_next_free_vgpr 1
		.amdhsa_next_free_sgpr 0
		.amdhsa_accum_offset 4
		.amdhsa_reserve_vcc 0
		.amdhsa_reserve_flat_scratch 0
		.amdhsa_float_round_mode_32 0
		.amdhsa_float_round_mode_16_64 0
		.amdhsa_float_denorm_mode_32 3
		.amdhsa_float_denorm_mode_16_64 3
		.amdhsa_dx10_clamp 1
		.amdhsa_ieee_mode 1
		.amdhsa_fp16_overflow 0
		.amdhsa_tg_split 0
		.amdhsa_exception_fp_ieee_invalid_op 0
		.amdhsa_exception_fp_denorm_src 0
		.amdhsa_exception_fp_ieee_div_zero 0
		.amdhsa_exception_fp_ieee_overflow 0
		.amdhsa_exception_fp_ieee_underflow 0
		.amdhsa_exception_fp_ieee_inexact 0
		.amdhsa_exception_int_div_zero 0
	.end_amdhsa_kernel
	.section	.text._ZN7rocprim17ROCPRIM_400000_NS6detail17trampoline_kernelINS0_14default_configENS1_22reduce_config_selectorIN6thrust23THRUST_200600_302600_NS5tupleIilNS6_9null_typeES8_S8_S8_S8_S8_S8_S8_EEEEZNS1_11reduce_implILb0ES3_PS9_SC_S9_NS6_11hip_rocprim9__extrema9arg_max_fIilNS6_4lessIiEEEEEE10hipError_tPvRmT1_T2_T3_mT4_P12ihipStream_tbEUlT_E0_NS1_11comp_targetILNS1_3genE5ELNS1_11target_archE942ELNS1_3gpuE9ELNS1_3repE0EEENS1_30default_config_static_selectorELNS0_4arch9wavefront6targetE1EEEvSM_,"axG",@progbits,_ZN7rocprim17ROCPRIM_400000_NS6detail17trampoline_kernelINS0_14default_configENS1_22reduce_config_selectorIN6thrust23THRUST_200600_302600_NS5tupleIilNS6_9null_typeES8_S8_S8_S8_S8_S8_S8_EEEEZNS1_11reduce_implILb0ES3_PS9_SC_S9_NS6_11hip_rocprim9__extrema9arg_max_fIilNS6_4lessIiEEEEEE10hipError_tPvRmT1_T2_T3_mT4_P12ihipStream_tbEUlT_E0_NS1_11comp_targetILNS1_3genE5ELNS1_11target_archE942ELNS1_3gpuE9ELNS1_3repE0EEENS1_30default_config_static_selectorELNS0_4arch9wavefront6targetE1EEEvSM_,comdat
.Lfunc_end181:
	.size	_ZN7rocprim17ROCPRIM_400000_NS6detail17trampoline_kernelINS0_14default_configENS1_22reduce_config_selectorIN6thrust23THRUST_200600_302600_NS5tupleIilNS6_9null_typeES8_S8_S8_S8_S8_S8_S8_EEEEZNS1_11reduce_implILb0ES3_PS9_SC_S9_NS6_11hip_rocprim9__extrema9arg_max_fIilNS6_4lessIiEEEEEE10hipError_tPvRmT1_T2_T3_mT4_P12ihipStream_tbEUlT_E0_NS1_11comp_targetILNS1_3genE5ELNS1_11target_archE942ELNS1_3gpuE9ELNS1_3repE0EEENS1_30default_config_static_selectorELNS0_4arch9wavefront6targetE1EEEvSM_, .Lfunc_end181-_ZN7rocprim17ROCPRIM_400000_NS6detail17trampoline_kernelINS0_14default_configENS1_22reduce_config_selectorIN6thrust23THRUST_200600_302600_NS5tupleIilNS6_9null_typeES8_S8_S8_S8_S8_S8_S8_EEEEZNS1_11reduce_implILb0ES3_PS9_SC_S9_NS6_11hip_rocprim9__extrema9arg_max_fIilNS6_4lessIiEEEEEE10hipError_tPvRmT1_T2_T3_mT4_P12ihipStream_tbEUlT_E0_NS1_11comp_targetILNS1_3genE5ELNS1_11target_archE942ELNS1_3gpuE9ELNS1_3repE0EEENS1_30default_config_static_selectorELNS0_4arch9wavefront6targetE1EEEvSM_
                                        ; -- End function
	.section	.AMDGPU.csdata,"",@progbits
; Kernel info:
; codeLenInByte = 0
; NumSgprs: 4
; NumVgprs: 0
; NumAgprs: 0
; TotalNumVgprs: 0
; ScratchSize: 0
; MemoryBound: 0
; FloatMode: 240
; IeeeMode: 1
; LDSByteSize: 0 bytes/workgroup (compile time only)
; SGPRBlocks: 0
; VGPRBlocks: 0
; NumSGPRsForWavesPerEU: 4
; NumVGPRsForWavesPerEU: 1
; AccumOffset: 4
; Occupancy: 8
; WaveLimiterHint : 0
; COMPUTE_PGM_RSRC2:SCRATCH_EN: 0
; COMPUTE_PGM_RSRC2:USER_SGPR: 6
; COMPUTE_PGM_RSRC2:TRAP_HANDLER: 0
; COMPUTE_PGM_RSRC2:TGID_X_EN: 1
; COMPUTE_PGM_RSRC2:TGID_Y_EN: 0
; COMPUTE_PGM_RSRC2:TGID_Z_EN: 0
; COMPUTE_PGM_RSRC2:TIDIG_COMP_CNT: 0
; COMPUTE_PGM_RSRC3_GFX90A:ACCUM_OFFSET: 0
; COMPUTE_PGM_RSRC3_GFX90A:TG_SPLIT: 0
	.section	.text._ZN7rocprim17ROCPRIM_400000_NS6detail17trampoline_kernelINS0_14default_configENS1_22reduce_config_selectorIN6thrust23THRUST_200600_302600_NS5tupleIilNS6_9null_typeES8_S8_S8_S8_S8_S8_S8_EEEEZNS1_11reduce_implILb0ES3_PS9_SC_S9_NS6_11hip_rocprim9__extrema9arg_max_fIilNS6_4lessIiEEEEEE10hipError_tPvRmT1_T2_T3_mT4_P12ihipStream_tbEUlT_E0_NS1_11comp_targetILNS1_3genE4ELNS1_11target_archE910ELNS1_3gpuE8ELNS1_3repE0EEENS1_30default_config_static_selectorELNS0_4arch9wavefront6targetE1EEEvSM_,"axG",@progbits,_ZN7rocprim17ROCPRIM_400000_NS6detail17trampoline_kernelINS0_14default_configENS1_22reduce_config_selectorIN6thrust23THRUST_200600_302600_NS5tupleIilNS6_9null_typeES8_S8_S8_S8_S8_S8_S8_EEEEZNS1_11reduce_implILb0ES3_PS9_SC_S9_NS6_11hip_rocprim9__extrema9arg_max_fIilNS6_4lessIiEEEEEE10hipError_tPvRmT1_T2_T3_mT4_P12ihipStream_tbEUlT_E0_NS1_11comp_targetILNS1_3genE4ELNS1_11target_archE910ELNS1_3gpuE8ELNS1_3repE0EEENS1_30default_config_static_selectorELNS0_4arch9wavefront6targetE1EEEvSM_,comdat
	.protected	_ZN7rocprim17ROCPRIM_400000_NS6detail17trampoline_kernelINS0_14default_configENS1_22reduce_config_selectorIN6thrust23THRUST_200600_302600_NS5tupleIilNS6_9null_typeES8_S8_S8_S8_S8_S8_S8_EEEEZNS1_11reduce_implILb0ES3_PS9_SC_S9_NS6_11hip_rocprim9__extrema9arg_max_fIilNS6_4lessIiEEEEEE10hipError_tPvRmT1_T2_T3_mT4_P12ihipStream_tbEUlT_E0_NS1_11comp_targetILNS1_3genE4ELNS1_11target_archE910ELNS1_3gpuE8ELNS1_3repE0EEENS1_30default_config_static_selectorELNS0_4arch9wavefront6targetE1EEEvSM_ ; -- Begin function _ZN7rocprim17ROCPRIM_400000_NS6detail17trampoline_kernelINS0_14default_configENS1_22reduce_config_selectorIN6thrust23THRUST_200600_302600_NS5tupleIilNS6_9null_typeES8_S8_S8_S8_S8_S8_S8_EEEEZNS1_11reduce_implILb0ES3_PS9_SC_S9_NS6_11hip_rocprim9__extrema9arg_max_fIilNS6_4lessIiEEEEEE10hipError_tPvRmT1_T2_T3_mT4_P12ihipStream_tbEUlT_E0_NS1_11comp_targetILNS1_3genE4ELNS1_11target_archE910ELNS1_3gpuE8ELNS1_3repE0EEENS1_30default_config_static_selectorELNS0_4arch9wavefront6targetE1EEEvSM_
	.globl	_ZN7rocprim17ROCPRIM_400000_NS6detail17trampoline_kernelINS0_14default_configENS1_22reduce_config_selectorIN6thrust23THRUST_200600_302600_NS5tupleIilNS6_9null_typeES8_S8_S8_S8_S8_S8_S8_EEEEZNS1_11reduce_implILb0ES3_PS9_SC_S9_NS6_11hip_rocprim9__extrema9arg_max_fIilNS6_4lessIiEEEEEE10hipError_tPvRmT1_T2_T3_mT4_P12ihipStream_tbEUlT_E0_NS1_11comp_targetILNS1_3genE4ELNS1_11target_archE910ELNS1_3gpuE8ELNS1_3repE0EEENS1_30default_config_static_selectorELNS0_4arch9wavefront6targetE1EEEvSM_
	.p2align	8
	.type	_ZN7rocprim17ROCPRIM_400000_NS6detail17trampoline_kernelINS0_14default_configENS1_22reduce_config_selectorIN6thrust23THRUST_200600_302600_NS5tupleIilNS6_9null_typeES8_S8_S8_S8_S8_S8_S8_EEEEZNS1_11reduce_implILb0ES3_PS9_SC_S9_NS6_11hip_rocprim9__extrema9arg_max_fIilNS6_4lessIiEEEEEE10hipError_tPvRmT1_T2_T3_mT4_P12ihipStream_tbEUlT_E0_NS1_11comp_targetILNS1_3genE4ELNS1_11target_archE910ELNS1_3gpuE8ELNS1_3repE0EEENS1_30default_config_static_selectorELNS0_4arch9wavefront6targetE1EEEvSM_,@function
_ZN7rocprim17ROCPRIM_400000_NS6detail17trampoline_kernelINS0_14default_configENS1_22reduce_config_selectorIN6thrust23THRUST_200600_302600_NS5tupleIilNS6_9null_typeES8_S8_S8_S8_S8_S8_S8_EEEEZNS1_11reduce_implILb0ES3_PS9_SC_S9_NS6_11hip_rocprim9__extrema9arg_max_fIilNS6_4lessIiEEEEEE10hipError_tPvRmT1_T2_T3_mT4_P12ihipStream_tbEUlT_E0_NS1_11comp_targetILNS1_3genE4ELNS1_11target_archE910ELNS1_3gpuE8ELNS1_3repE0EEENS1_30default_config_static_selectorELNS0_4arch9wavefront6targetE1EEEvSM_: ; @_ZN7rocprim17ROCPRIM_400000_NS6detail17trampoline_kernelINS0_14default_configENS1_22reduce_config_selectorIN6thrust23THRUST_200600_302600_NS5tupleIilNS6_9null_typeES8_S8_S8_S8_S8_S8_S8_EEEEZNS1_11reduce_implILb0ES3_PS9_SC_S9_NS6_11hip_rocprim9__extrema9arg_max_fIilNS6_4lessIiEEEEEE10hipError_tPvRmT1_T2_T3_mT4_P12ihipStream_tbEUlT_E0_NS1_11comp_targetILNS1_3genE4ELNS1_11target_archE910ELNS1_3gpuE8ELNS1_3repE0EEENS1_30default_config_static_selectorELNS0_4arch9wavefront6targetE1EEEvSM_
; %bb.0:
	s_load_dwordx8 s[8:15], s[4:5], 0x0
	s_load_dwordx4 s[16:19], s[4:5], 0x20
	s_waitcnt lgkmcnt(0)
	s_lshl_b64 s[0:1], s[10:11], 4
	s_add_u32 s8, s8, s0
	s_addc_u32 s9, s9, s1
	s_lshl_b32 s10, s6, 9
	s_mov_b32 s11, 0
	s_lshr_b64 s[0:1], s[12:13], 9
	s_lshl_b64 s[2:3], s[10:11], 4
	s_add_u32 s8, s8, s2
	s_mov_b32 s7, s11
	s_addc_u32 s9, s9, s3
	s_cmp_lg_u64 s[0:1], s[6:7]
	s_cbranch_scc0 .LBB182_16
; %bb.1:
	v_lshlrev_b32_e32 v1, 4, v0
	v_mov_b32_e32 v2, s9
	v_add_co_u32_e32 v3, vcc, s8, v1
	v_addc_co_u32_e32 v4, vcc, 0, v2, vcc
	v_add_co_u32_e32 v2, vcc, 0x1000, v3
	v_addc_co_u32_e32 v3, vcc, 0, v4, vcc
	global_load_dword v8, v1, s[8:9]
	global_load_dwordx2 v[4:5], v1, s[8:9] offset:8
	global_load_dword v9, v[2:3], off
	global_load_dwordx2 v[6:7], v[2:3], off offset:8
	s_waitcnt vmcnt(1)
	v_cmp_lt_i32_e32 vcc, v9, v8
	s_waitcnt vmcnt(0)
	v_cmp_lt_i64_e64 s[0:1], v[4:5], v[6:7]
	s_or_b64 vcc, vcc, s[0:1]
	v_cndmask_b32_e32 v1, v9, v8, vcc
	v_cndmask_b32_e32 v2, v6, v4, vcc
	;; [unrolled: 1-line block ×3, first 2 shown]
	v_cmp_lt_i32_e32 vcc, v8, v9
	v_cndmask_b32_e32 v1, v1, v9, vcc
	v_cndmask_b32_e32 v3, v3, v7, vcc
	;; [unrolled: 1-line block ×3, first 2 shown]
	v_mov_b32_dpp v7, v1 quad_perm:[1,0,3,2] row_mask:0xf bank_mask:0xf bound_ctrl:1
	v_mov_b32_dpp v6, v3 quad_perm:[1,0,3,2] row_mask:0xf bank_mask:0xf bound_ctrl:1
	v_mov_b32_dpp v4, v2 quad_perm:[1,0,3,2] row_mask:0xf bank_mask:0xf bound_ctrl:1
	v_cmp_ge_i32_e32 vcc, v7, v1
	s_and_saveexec_b64 s[2:3], vcc
; %bb.2:
	v_mov_b32_e32 v5, v6
	v_cmp_gt_i32_e32 vcc, v7, v1
	v_cmp_lt_i64_e64 s[0:1], v[4:5], v[2:3]
	s_or_b64 vcc, vcc, s[0:1]
	v_cndmask_b32_e32 v3, v3, v6, vcc
	v_cndmask_b32_e32 v2, v2, v4, vcc
	;; [unrolled: 1-line block ×3, first 2 shown]
; %bb.3:
	s_or_b64 exec, exec, s[2:3]
	s_nop 0
	v_mov_b32_dpp v7, v1 quad_perm:[2,3,0,1] row_mask:0xf bank_mask:0xf bound_ctrl:1
	v_mov_b32_dpp v4, v2 quad_perm:[2,3,0,1] row_mask:0xf bank_mask:0xf bound_ctrl:1
	;; [unrolled: 1-line block ×3, first 2 shown]
	v_cmp_ge_i32_e32 vcc, v7, v1
	s_and_saveexec_b64 s[2:3], vcc
; %bb.4:
	v_mov_b32_e32 v5, v6
	v_cmp_lt_i32_e32 vcc, v1, v7
	v_cmp_lt_i64_e64 s[0:1], v[4:5], v[2:3]
	s_or_b64 vcc, vcc, s[0:1]
	v_cndmask_b32_e32 v3, v3, v6, vcc
	v_cndmask_b32_e32 v2, v2, v4, vcc
	;; [unrolled: 1-line block ×3, first 2 shown]
; %bb.5:
	s_or_b64 exec, exec, s[2:3]
	s_nop 0
	v_mov_b32_dpp v7, v1 row_ror:4 row_mask:0xf bank_mask:0xf bound_ctrl:1
	v_mov_b32_dpp v4, v2 row_ror:4 row_mask:0xf bank_mask:0xf bound_ctrl:1
	;; [unrolled: 1-line block ×3, first 2 shown]
	v_cmp_ge_i32_e32 vcc, v7, v1
	s_and_saveexec_b64 s[2:3], vcc
; %bb.6:
	v_mov_b32_e32 v5, v6
	v_cmp_lt_i32_e32 vcc, v1, v7
	v_cmp_lt_i64_e64 s[0:1], v[4:5], v[2:3]
	s_or_b64 vcc, vcc, s[0:1]
	v_cndmask_b32_e32 v3, v3, v6, vcc
	v_cndmask_b32_e32 v2, v2, v4, vcc
	;; [unrolled: 1-line block ×3, first 2 shown]
; %bb.7:
	s_or_b64 exec, exec, s[2:3]
	s_nop 0
	v_mov_b32_dpp v7, v1 row_ror:8 row_mask:0xf bank_mask:0xf bound_ctrl:1
	v_mov_b32_dpp v4, v2 row_ror:8 row_mask:0xf bank_mask:0xf bound_ctrl:1
	;; [unrolled: 1-line block ×3, first 2 shown]
	v_cmp_ge_i32_e32 vcc, v7, v1
	s_and_saveexec_b64 s[2:3], vcc
; %bb.8:
	v_mov_b32_e32 v5, v6
	v_cmp_lt_i32_e32 vcc, v1, v7
	v_cmp_lt_i64_e64 s[0:1], v[4:5], v[2:3]
	s_or_b64 vcc, vcc, s[0:1]
	v_cndmask_b32_e32 v3, v3, v6, vcc
	v_cndmask_b32_e32 v2, v2, v4, vcc
	;; [unrolled: 1-line block ×3, first 2 shown]
; %bb.9:
	s_or_b64 exec, exec, s[2:3]
	s_nop 0
	v_mov_b32_dpp v7, v1 row_bcast:15 row_mask:0xf bank_mask:0xf bound_ctrl:1
	v_mov_b32_dpp v4, v2 row_bcast:15 row_mask:0xf bank_mask:0xf bound_ctrl:1
	;; [unrolled: 1-line block ×3, first 2 shown]
	v_cmp_ge_i32_e32 vcc, v7, v1
	s_and_saveexec_b64 s[2:3], vcc
; %bb.10:
	v_mov_b32_e32 v5, v6
	v_cmp_lt_i32_e32 vcc, v1, v7
	v_cmp_lt_i64_e64 s[0:1], v[4:5], v[2:3]
	s_or_b64 vcc, vcc, s[0:1]
	v_cndmask_b32_e32 v3, v3, v6, vcc
	v_cndmask_b32_e32 v2, v2, v4, vcc
	;; [unrolled: 1-line block ×3, first 2 shown]
; %bb.11:
	s_or_b64 exec, exec, s[2:3]
	s_nop 0
	v_mov_b32_dpp v5, v1 row_bcast:31 row_mask:0xf bank_mask:0xf bound_ctrl:1
	v_mov_b32_dpp v6, v2 row_bcast:31 row_mask:0xf bank_mask:0xf bound_ctrl:1
	;; [unrolled: 1-line block ×3, first 2 shown]
	v_cmp_lt_i32_e32 vcc, v1, v5
	v_cmp_lt_i64_e64 s[0:1], v[6:7], v[2:3]
	v_mbcnt_lo_u32_b32 v4, -1, 0
	s_or_b64 vcc, vcc, s[0:1]
	v_mbcnt_hi_u32_b32 v4, -1, v4
	v_cndmask_b32_e32 v8, v1, v5, vcc
	v_cndmask_b32_e32 v6, v2, v6, vcc
	;; [unrolled: 1-line block ×3, first 2 shown]
	v_cmp_lt_i32_e32 vcc, v5, v1
	v_bfrev_b32_e32 v5, 0.5
	v_cndmask_b32_e32 v3, v7, v3, vcc
	v_cndmask_b32_e32 v2, v6, v2, vcc
	;; [unrolled: 1-line block ×3, first 2 shown]
	v_lshl_or_b32 v5, v4, 2, v5
	ds_bpermute_b32 v1, v5, v1
	ds_bpermute_b32 v2, v5, v2
	;; [unrolled: 1-line block ×3, first 2 shown]
	v_cmp_eq_u32_e32 vcc, 0, v4
	s_and_saveexec_b64 s[0:1], vcc
	s_cbranch_execz .LBB182_13
; %bb.12:
	v_lshrrev_b32_e32 v5, 2, v0
	v_and_b32_e32 v5, 48, v5
	s_waitcnt lgkmcnt(2)
	ds_write_b32 v5, v1
	s_waitcnt lgkmcnt(1)
	ds_write_b64 v5, v[2:3] offset:8
.LBB182_13:
	s_or_b64 exec, exec, s[0:1]
	v_cmp_gt_u32_e32 vcc, 64, v0
	s_waitcnt lgkmcnt(0)
	s_barrier
	s_and_saveexec_b64 s[2:3], vcc
	s_cbranch_execz .LBB182_15
; %bb.14:
	v_and_b32_e32 v1, 3, v4
	v_lshlrev_b32_e32 v2, 4, v1
	ds_read_b32 v5, v2
	ds_read_b64 v[2:3], v2 offset:8
	v_cmp_ne_u32_e32 vcc, 3, v1
	v_addc_co_u32_e32 v6, vcc, 0, v4, vcc
	v_lshlrev_b32_e32 v7, 2, v6
	s_waitcnt lgkmcnt(0)
	ds_bpermute_b32 v6, v7, v3
	ds_bpermute_b32 v10, v7, v5
	;; [unrolled: 1-line block ×3, first 2 shown]
	s_waitcnt lgkmcnt(2)
	v_mov_b32_e32 v9, v6
	s_waitcnt lgkmcnt(1)
	v_cmp_lt_i32_e32 vcc, v10, v5
	s_waitcnt lgkmcnt(0)
	v_cmp_gt_i64_e64 s[0:1], v[8:9], v[2:3]
	s_or_b64 vcc, vcc, s[0:1]
	v_cndmask_b32_e32 v7, v10, v5, vcc
	v_cndmask_b32_e32 v2, v8, v2, vcc
	;; [unrolled: 1-line block ×3, first 2 shown]
	v_cmp_gt_i32_e32 vcc, v10, v5
	v_cndmask_b32_e32 v3, v3, v6, vcc
	v_cndmask_b32_e32 v2, v2, v8, vcc
	;; [unrolled: 1-line block ×3, first 2 shown]
	v_cmp_gt_u32_e32 vcc, 2, v1
	v_cndmask_b32_e64 v1, 0, 1, vcc
	v_lshlrev_b32_e32 v1, 1, v1
	v_add_lshl_u32 v1, v1, v4, 2
	ds_bpermute_b32 v4, v1, v3
	ds_bpermute_b32 v8, v1, v5
	;; [unrolled: 1-line block ×3, first 2 shown]
	s_waitcnt lgkmcnt(2)
	v_mov_b32_e32 v7, v4
	s_waitcnt lgkmcnt(1)
	v_cmp_lt_i32_e32 vcc, v8, v5
	s_waitcnt lgkmcnt(0)
	v_cmp_lt_i64_e64 s[0:1], v[2:3], v[6:7]
	s_or_b64 vcc, vcc, s[0:1]
	v_cndmask_b32_e32 v1, v8, v5, vcc
	v_cndmask_b32_e32 v2, v6, v2, vcc
	;; [unrolled: 1-line block ×3, first 2 shown]
	v_cmp_lt_i32_e32 vcc, v5, v8
	v_cndmask_b32_e32 v3, v3, v4, vcc
	v_cndmask_b32_e32 v2, v2, v6, vcc
	;; [unrolled: 1-line block ×3, first 2 shown]
.LBB182_15:
	s_or_b64 exec, exec, s[2:3]
	s_load_dword s11, s[4:5], 0x30
	s_load_dwordx2 s[2:3], s[4:5], 0x38
	s_branch .LBB182_44
.LBB182_16:
                                        ; implicit-def: $vgpr1
                                        ; implicit-def: $vgpr2_vgpr3
	s_load_dword s11, s[4:5], 0x30
	s_load_dwordx2 s[2:3], s[4:5], 0x38
	s_cbranch_execz .LBB182_44
; %bb.17:
	s_sub_i32 s10, s12, s10
	v_pk_mov_b32 v[4:5], 0, 0
	v_cmp_gt_u32_e32 vcc, s10, v0
	v_mov_b32_e32 v6, 0
	v_pk_mov_b32 v[2:3], v[4:5], v[4:5] op_sel:[0,1]
	v_mov_b32_e32 v1, 0
	s_and_saveexec_b64 s[0:1], vcc
	s_cbranch_execz .LBB182_19
; %bb.18:
	v_lshlrev_b32_e32 v7, 4, v0
	global_load_dword v1, v7, s[8:9]
	global_load_dwordx2 v[2:3], v7, s[8:9] offset:8
.LBB182_19:
	s_or_b64 exec, exec, s[0:1]
	v_or_b32_e32 v7, 0x100, v0
	v_cmp_gt_u32_e32 vcc, s10, v7
	s_and_saveexec_b64 s[0:1], vcc
	s_cbranch_execz .LBB182_21
; %bb.20:
	v_lshlrev_b32_e32 v7, 4, v7
	global_load_dword v6, v7, s[8:9]
	global_load_dwordx2 v[4:5], v7, s[8:9] offset:8
.LBB182_21:
	s_or_b64 exec, exec, s[0:1]
	s_and_saveexec_b64 s[4:5], vcc
	s_cbranch_execz .LBB182_23
; %bb.22:
	s_waitcnt vmcnt(1)
	v_cmp_lt_i32_e32 vcc, v6, v1
	s_waitcnt vmcnt(0)
	v_cmp_lt_i64_e64 s[0:1], v[2:3], v[4:5]
	s_or_b64 vcc, vcc, s[0:1]
	v_cndmask_b32_e32 v7, v6, v1, vcc
	v_cndmask_b32_e32 v2, v4, v2, vcc
	v_cndmask_b32_e32 v3, v5, v3, vcc
	v_cmp_lt_i32_e32 vcc, v1, v6
	v_cndmask_b32_e32 v3, v3, v5, vcc
	v_cndmask_b32_e32 v2, v2, v4, vcc
	;; [unrolled: 1-line block ×3, first 2 shown]
.LBB182_23:
	s_or_b64 exec, exec, s[4:5]
	s_waitcnt vmcnt(0)
	v_mbcnt_lo_u32_b32 v4, -1, 0
	v_mbcnt_hi_u32_b32 v7, -1, v4
	v_and_b32_e32 v8, 63, v7
	v_cmp_ne_u32_e32 vcc, 63, v8
	v_addc_co_u32_e32 v4, vcc, 0, v7, vcc
	v_lshlrev_b32_e32 v5, 2, v4
	ds_bpermute_b32 v10, v5, v1
	ds_bpermute_b32 v4, v5, v2
	;; [unrolled: 1-line block ×3, first 2 shown]
	s_min_u32 s8, s10, 0x100
	v_and_b32_e32 v5, 0xc0, v0
	v_sub_u32_e64 v9, s8, v5 clamp
	v_add_u32_e32 v5, 1, v8
	v_cmp_lt_u32_e32 vcc, v5, v9
	s_and_saveexec_b64 s[4:5], vcc
	s_cbranch_execz .LBB182_25
; %bb.24:
	s_waitcnt lgkmcnt(0)
	v_mov_b32_e32 v5, v6
	v_cmp_lt_i32_e32 vcc, v10, v1
	v_cmp_lt_i64_e64 s[0:1], v[2:3], v[4:5]
	s_or_b64 vcc, vcc, s[0:1]
	v_cndmask_b32_e32 v5, v10, v1, vcc
	v_cndmask_b32_e32 v2, v4, v2, vcc
	;; [unrolled: 1-line block ×3, first 2 shown]
	v_cmp_lt_i32_e32 vcc, v1, v10
	v_cndmask_b32_e32 v3, v3, v6, vcc
	v_cndmask_b32_e32 v2, v2, v4, vcc
	;; [unrolled: 1-line block ×3, first 2 shown]
.LBB182_25:
	s_or_b64 exec, exec, s[4:5]
	v_cmp_gt_u32_e32 vcc, 62, v8
	s_waitcnt lgkmcnt(0)
	v_cndmask_b32_e64 v4, 0, 1, vcc
	v_lshlrev_b32_e32 v4, 1, v4
	v_add_lshl_u32 v5, v4, v7, 2
	ds_bpermute_b32 v10, v5, v1
	ds_bpermute_b32 v4, v5, v2
	;; [unrolled: 1-line block ×3, first 2 shown]
	v_add_u32_e32 v5, 2, v8
	v_cmp_lt_u32_e32 vcc, v5, v9
	s_and_saveexec_b64 s[4:5], vcc
	s_cbranch_execz .LBB182_27
; %bb.26:
	s_waitcnt lgkmcnt(0)
	v_mov_b32_e32 v5, v6
	v_cmp_lt_i32_e32 vcc, v10, v1
	v_cmp_lt_i64_e64 s[0:1], v[2:3], v[4:5]
	s_or_b64 vcc, vcc, s[0:1]
	v_cndmask_b32_e32 v5, v10, v1, vcc
	v_cndmask_b32_e32 v2, v4, v2, vcc
	v_cndmask_b32_e32 v3, v6, v3, vcc
	v_cmp_lt_i32_e32 vcc, v1, v10
	v_cndmask_b32_e32 v3, v3, v6, vcc
	v_cndmask_b32_e32 v2, v2, v4, vcc
	v_cndmask_b32_e32 v1, v5, v10, vcc
.LBB182_27:
	s_or_b64 exec, exec, s[4:5]
	v_cmp_gt_u32_e32 vcc, 60, v8
	s_waitcnt lgkmcnt(1)
	v_cndmask_b32_e64 v4, 0, 1, vcc
	v_lshlrev_b32_e32 v4, 2, v4
	v_add_lshl_u32 v5, v4, v7, 2
	ds_bpermute_b32 v10, v5, v1
	ds_bpermute_b32 v4, v5, v2
	s_waitcnt lgkmcnt(2)
	ds_bpermute_b32 v6, v5, v3
	v_add_u32_e32 v5, 4, v8
	v_cmp_lt_u32_e32 vcc, v5, v9
	s_and_saveexec_b64 s[4:5], vcc
	s_cbranch_execz .LBB182_29
; %bb.28:
	s_waitcnt lgkmcnt(0)
	v_mov_b32_e32 v5, v6
	v_cmp_lt_i32_e32 vcc, v10, v1
	v_cmp_lt_i64_e64 s[0:1], v[2:3], v[4:5]
	s_or_b64 vcc, vcc, s[0:1]
	v_cndmask_b32_e32 v5, v10, v1, vcc
	v_cndmask_b32_e32 v2, v4, v2, vcc
	v_cndmask_b32_e32 v3, v6, v3, vcc
	v_cmp_lt_i32_e32 vcc, v1, v10
	v_cndmask_b32_e32 v3, v3, v6, vcc
	v_cndmask_b32_e32 v2, v2, v4, vcc
	v_cndmask_b32_e32 v1, v5, v10, vcc
.LBB182_29:
	s_or_b64 exec, exec, s[4:5]
	v_cmp_gt_u32_e32 vcc, 56, v8
	s_waitcnt lgkmcnt(1)
	v_cndmask_b32_e64 v4, 0, 1, vcc
	v_lshlrev_b32_e32 v4, 3, v4
	v_add_lshl_u32 v5, v4, v7, 2
	ds_bpermute_b32 v10, v5, v1
	ds_bpermute_b32 v4, v5, v2
	s_waitcnt lgkmcnt(2)
	ds_bpermute_b32 v6, v5, v3
	;; [unrolled: 28-line block ×3, first 2 shown]
	v_add_u32_e32 v5, 16, v8
	v_cmp_lt_u32_e32 vcc, v5, v9
	s_and_saveexec_b64 s[4:5], vcc
	s_cbranch_execz .LBB182_33
; %bb.32:
	s_waitcnt lgkmcnt(0)
	v_mov_b32_e32 v5, v6
	v_cmp_lt_i32_e32 vcc, v10, v1
	v_cmp_lt_i64_e64 s[0:1], v[2:3], v[4:5]
	s_or_b64 vcc, vcc, s[0:1]
	v_cndmask_b32_e32 v5, v10, v1, vcc
	v_cndmask_b32_e32 v2, v4, v2, vcc
	;; [unrolled: 1-line block ×3, first 2 shown]
	v_cmp_lt_i32_e32 vcc, v1, v10
	v_cndmask_b32_e32 v3, v3, v6, vcc
	v_cndmask_b32_e32 v2, v2, v4, vcc
	;; [unrolled: 1-line block ×3, first 2 shown]
.LBB182_33:
	s_or_b64 exec, exec, s[4:5]
	v_cmp_gt_u32_e32 vcc, 32, v8
	s_waitcnt lgkmcnt(1)
	v_cndmask_b32_e64 v4, 0, 1, vcc
	v_lshlrev_b32_e32 v4, 5, v4
	v_add_lshl_u32 v5, v4, v7, 2
	s_waitcnt lgkmcnt(0)
	ds_bpermute_b32 v6, v5, v1
	ds_bpermute_b32 v4, v5, v2
	;; [unrolled: 1-line block ×3, first 2 shown]
	v_add_u32_e32 v8, 32, v8
	v_cmp_lt_u32_e32 vcc, v8, v9
	s_and_saveexec_b64 s[4:5], vcc
	s_cbranch_execz .LBB182_35
; %bb.34:
	s_waitcnt lgkmcnt(2)
	v_cmp_lt_i32_e32 vcc, v6, v1
	s_waitcnt lgkmcnt(0)
	v_cmp_lt_i64_e64 s[0:1], v[2:3], v[4:5]
	s_or_b64 vcc, vcc, s[0:1]
	v_cndmask_b32_e32 v8, v6, v1, vcc
	v_cndmask_b32_e32 v2, v4, v2, vcc
	;; [unrolled: 1-line block ×3, first 2 shown]
	v_cmp_lt_i32_e32 vcc, v1, v6
	v_cndmask_b32_e32 v3, v3, v5, vcc
	v_cndmask_b32_e32 v2, v2, v4, vcc
	;; [unrolled: 1-line block ×3, first 2 shown]
.LBB182_35:
	s_or_b64 exec, exec, s[4:5]
	v_cmp_eq_u32_e32 vcc, 0, v7
	s_and_saveexec_b64 s[0:1], vcc
	s_cbranch_execz .LBB182_37
; %bb.36:
	s_waitcnt lgkmcnt(1)
	v_lshrrev_b32_e32 v4, 2, v0
	v_and_b32_e32 v4, 48, v4
	ds_write_b32 v4, v1 offset:64
	ds_write_b64 v4, v[2:3] offset:72
.LBB182_37:
	s_or_b64 exec, exec, s[0:1]
	v_cmp_gt_u32_e32 vcc, 4, v0
	s_waitcnt lgkmcnt(0)
	s_barrier
	s_and_saveexec_b64 s[4:5], vcc
	s_cbranch_execz .LBB182_43
; %bb.38:
	v_lshlrev_b32_e32 v2, 4, v7
	ds_read_b32 v1, v2 offset:64
	ds_read_b64 v[2:3], v2 offset:72
	v_and_b32_e32 v8, 3, v7
	v_cmp_ne_u32_e32 vcc, 3, v8
	v_addc_co_u32_e32 v4, vcc, 0, v7, vcc
	v_lshlrev_b32_e32 v5, 2, v4
	s_waitcnt lgkmcnt(1)
	ds_bpermute_b32 v9, v5, v1
	s_waitcnt lgkmcnt(1)
	ds_bpermute_b32 v4, v5, v2
	ds_bpermute_b32 v6, v5, v3
	s_add_i32 s8, s8, 63
	s_lshr_b32 s10, s8, 6
	v_add_u32_e32 v5, 1, v8
	v_cmp_gt_u32_e32 vcc, s10, v5
	s_and_saveexec_b64 s[8:9], vcc
	s_cbranch_execz .LBB182_40
; %bb.39:
	s_waitcnt lgkmcnt(0)
	v_mov_b32_e32 v5, v6
	v_cmp_lt_i32_e32 vcc, v9, v1
	v_cmp_lt_i64_e64 s[0:1], v[2:3], v[4:5]
	s_or_b64 vcc, vcc, s[0:1]
	v_cndmask_b32_e32 v5, v9, v1, vcc
	v_cndmask_b32_e32 v2, v4, v2, vcc
	;; [unrolled: 1-line block ×3, first 2 shown]
	v_cmp_lt_i32_e32 vcc, v1, v9
	v_cndmask_b32_e32 v3, v3, v6, vcc
	v_cndmask_b32_e32 v2, v2, v4, vcc
	;; [unrolled: 1-line block ×3, first 2 shown]
.LBB182_40:
	s_or_b64 exec, exec, s[8:9]
	v_cmp_gt_u32_e32 vcc, 2, v8
	s_waitcnt lgkmcnt(1)
	v_cndmask_b32_e64 v4, 0, 1, vcc
	v_lshlrev_b32_e32 v4, 1, v4
	v_add_lshl_u32 v5, v4, v7, 2
	s_waitcnt lgkmcnt(0)
	ds_bpermute_b32 v6, v5, v1
	ds_bpermute_b32 v4, v5, v2
	;; [unrolled: 1-line block ×3, first 2 shown]
	v_add_u32_e32 v7, 2, v8
	v_cmp_gt_u32_e32 vcc, s10, v7
	s_and_saveexec_b64 s[8:9], vcc
	s_cbranch_execz .LBB182_42
; %bb.41:
	s_waitcnt lgkmcnt(2)
	v_cmp_lt_i32_e32 vcc, v6, v1
	s_waitcnt lgkmcnt(0)
	v_cmp_lt_i64_e64 s[0:1], v[2:3], v[4:5]
	s_or_b64 vcc, vcc, s[0:1]
	v_cndmask_b32_e32 v7, v6, v1, vcc
	v_cndmask_b32_e32 v2, v4, v2, vcc
	;; [unrolled: 1-line block ×3, first 2 shown]
	v_cmp_lt_i32_e32 vcc, v1, v6
	v_cndmask_b32_e32 v3, v3, v5, vcc
	v_cndmask_b32_e32 v2, v2, v4, vcc
	;; [unrolled: 1-line block ×3, first 2 shown]
.LBB182_42:
	s_or_b64 exec, exec, s[8:9]
.LBB182_43:
	s_or_b64 exec, exec, s[4:5]
.LBB182_44:
	v_cmp_eq_u32_e32 vcc, 0, v0
	s_and_saveexec_b64 s[0:1], vcc
	s_cbranch_execnz .LBB182_46
; %bb.45:
	s_endpgm
.LBB182_46:
	s_mul_i32 s0, s18, s17
	s_mul_hi_u32 s1, s18, s16
	s_add_i32 s0, s1, s0
	s_mul_i32 s1, s19, s16
	s_add_i32 s1, s0, s1
	s_mul_i32 s0, s18, s16
	s_lshl_b64 s[0:1], s[0:1], 4
	s_add_u32 s4, s14, s0
	s_addc_u32 s5, s15, s1
	s_cmp_eq_u64 s[12:13], 0
	s_waitcnt lgkmcnt(0)
	v_mov_b32_e32 v0, s3
	s_cselect_b64 vcc, -1, 0
	v_cndmask_b32_e32 v3, v3, v0, vcc
	v_mov_b32_e32 v0, s2
	s_lshl_b64 s[0:1], s[6:7], 4
	v_cndmask_b32_e32 v2, v2, v0, vcc
	v_mov_b32_e32 v0, s11
	s_add_u32 s0, s4, s0
	v_cndmask_b32_e32 v0, v1, v0, vcc
	s_addc_u32 s1, s5, s1
	v_mov_b32_e32 v1, 0
	global_store_dword v1, v0, s[0:1]
	global_store_dwordx2 v1, v[2:3], s[0:1] offset:8
	s_endpgm
	.section	.rodata,"a",@progbits
	.p2align	6, 0x0
	.amdhsa_kernel _ZN7rocprim17ROCPRIM_400000_NS6detail17trampoline_kernelINS0_14default_configENS1_22reduce_config_selectorIN6thrust23THRUST_200600_302600_NS5tupleIilNS6_9null_typeES8_S8_S8_S8_S8_S8_S8_EEEEZNS1_11reduce_implILb0ES3_PS9_SC_S9_NS6_11hip_rocprim9__extrema9arg_max_fIilNS6_4lessIiEEEEEE10hipError_tPvRmT1_T2_T3_mT4_P12ihipStream_tbEUlT_E0_NS1_11comp_targetILNS1_3genE4ELNS1_11target_archE910ELNS1_3gpuE8ELNS1_3repE0EEENS1_30default_config_static_selectorELNS0_4arch9wavefront6targetE1EEEvSM_
		.amdhsa_group_segment_fixed_size 128
		.amdhsa_private_segment_fixed_size 0
		.amdhsa_kernarg_size 72
		.amdhsa_user_sgpr_count 6
		.amdhsa_user_sgpr_private_segment_buffer 1
		.amdhsa_user_sgpr_dispatch_ptr 0
		.amdhsa_user_sgpr_queue_ptr 0
		.amdhsa_user_sgpr_kernarg_segment_ptr 1
		.amdhsa_user_sgpr_dispatch_id 0
		.amdhsa_user_sgpr_flat_scratch_init 0
		.amdhsa_user_sgpr_kernarg_preload_length 0
		.amdhsa_user_sgpr_kernarg_preload_offset 0
		.amdhsa_user_sgpr_private_segment_size 0
		.amdhsa_uses_dynamic_stack 0
		.amdhsa_system_sgpr_private_segment_wavefront_offset 0
		.amdhsa_system_sgpr_workgroup_id_x 1
		.amdhsa_system_sgpr_workgroup_id_y 0
		.amdhsa_system_sgpr_workgroup_id_z 0
		.amdhsa_system_sgpr_workgroup_info 0
		.amdhsa_system_vgpr_workitem_id 0
		.amdhsa_next_free_vgpr 11
		.amdhsa_next_free_sgpr 20
		.amdhsa_accum_offset 12
		.amdhsa_reserve_vcc 1
		.amdhsa_reserve_flat_scratch 0
		.amdhsa_float_round_mode_32 0
		.amdhsa_float_round_mode_16_64 0
		.amdhsa_float_denorm_mode_32 3
		.amdhsa_float_denorm_mode_16_64 3
		.amdhsa_dx10_clamp 1
		.amdhsa_ieee_mode 1
		.amdhsa_fp16_overflow 0
		.amdhsa_tg_split 0
		.amdhsa_exception_fp_ieee_invalid_op 0
		.amdhsa_exception_fp_denorm_src 0
		.amdhsa_exception_fp_ieee_div_zero 0
		.amdhsa_exception_fp_ieee_overflow 0
		.amdhsa_exception_fp_ieee_underflow 0
		.amdhsa_exception_fp_ieee_inexact 0
		.amdhsa_exception_int_div_zero 0
	.end_amdhsa_kernel
	.section	.text._ZN7rocprim17ROCPRIM_400000_NS6detail17trampoline_kernelINS0_14default_configENS1_22reduce_config_selectorIN6thrust23THRUST_200600_302600_NS5tupleIilNS6_9null_typeES8_S8_S8_S8_S8_S8_S8_EEEEZNS1_11reduce_implILb0ES3_PS9_SC_S9_NS6_11hip_rocprim9__extrema9arg_max_fIilNS6_4lessIiEEEEEE10hipError_tPvRmT1_T2_T3_mT4_P12ihipStream_tbEUlT_E0_NS1_11comp_targetILNS1_3genE4ELNS1_11target_archE910ELNS1_3gpuE8ELNS1_3repE0EEENS1_30default_config_static_selectorELNS0_4arch9wavefront6targetE1EEEvSM_,"axG",@progbits,_ZN7rocprim17ROCPRIM_400000_NS6detail17trampoline_kernelINS0_14default_configENS1_22reduce_config_selectorIN6thrust23THRUST_200600_302600_NS5tupleIilNS6_9null_typeES8_S8_S8_S8_S8_S8_S8_EEEEZNS1_11reduce_implILb0ES3_PS9_SC_S9_NS6_11hip_rocprim9__extrema9arg_max_fIilNS6_4lessIiEEEEEE10hipError_tPvRmT1_T2_T3_mT4_P12ihipStream_tbEUlT_E0_NS1_11comp_targetILNS1_3genE4ELNS1_11target_archE910ELNS1_3gpuE8ELNS1_3repE0EEENS1_30default_config_static_selectorELNS0_4arch9wavefront6targetE1EEEvSM_,comdat
.Lfunc_end182:
	.size	_ZN7rocprim17ROCPRIM_400000_NS6detail17trampoline_kernelINS0_14default_configENS1_22reduce_config_selectorIN6thrust23THRUST_200600_302600_NS5tupleIilNS6_9null_typeES8_S8_S8_S8_S8_S8_S8_EEEEZNS1_11reduce_implILb0ES3_PS9_SC_S9_NS6_11hip_rocprim9__extrema9arg_max_fIilNS6_4lessIiEEEEEE10hipError_tPvRmT1_T2_T3_mT4_P12ihipStream_tbEUlT_E0_NS1_11comp_targetILNS1_3genE4ELNS1_11target_archE910ELNS1_3gpuE8ELNS1_3repE0EEENS1_30default_config_static_selectorELNS0_4arch9wavefront6targetE1EEEvSM_, .Lfunc_end182-_ZN7rocprim17ROCPRIM_400000_NS6detail17trampoline_kernelINS0_14default_configENS1_22reduce_config_selectorIN6thrust23THRUST_200600_302600_NS5tupleIilNS6_9null_typeES8_S8_S8_S8_S8_S8_S8_EEEEZNS1_11reduce_implILb0ES3_PS9_SC_S9_NS6_11hip_rocprim9__extrema9arg_max_fIilNS6_4lessIiEEEEEE10hipError_tPvRmT1_T2_T3_mT4_P12ihipStream_tbEUlT_E0_NS1_11comp_targetILNS1_3genE4ELNS1_11target_archE910ELNS1_3gpuE8ELNS1_3repE0EEENS1_30default_config_static_selectorELNS0_4arch9wavefront6targetE1EEEvSM_
                                        ; -- End function
	.section	.AMDGPU.csdata,"",@progbits
; Kernel info:
; codeLenInByte = 2436
; NumSgprs: 24
; NumVgprs: 11
; NumAgprs: 0
; TotalNumVgprs: 11
; ScratchSize: 0
; MemoryBound: 0
; FloatMode: 240
; IeeeMode: 1
; LDSByteSize: 128 bytes/workgroup (compile time only)
; SGPRBlocks: 2
; VGPRBlocks: 1
; NumSGPRsForWavesPerEU: 24
; NumVGPRsForWavesPerEU: 11
; AccumOffset: 12
; Occupancy: 8
; WaveLimiterHint : 1
; COMPUTE_PGM_RSRC2:SCRATCH_EN: 0
; COMPUTE_PGM_RSRC2:USER_SGPR: 6
; COMPUTE_PGM_RSRC2:TRAP_HANDLER: 0
; COMPUTE_PGM_RSRC2:TGID_X_EN: 1
; COMPUTE_PGM_RSRC2:TGID_Y_EN: 0
; COMPUTE_PGM_RSRC2:TGID_Z_EN: 0
; COMPUTE_PGM_RSRC2:TIDIG_COMP_CNT: 0
; COMPUTE_PGM_RSRC3_GFX90A:ACCUM_OFFSET: 2
; COMPUTE_PGM_RSRC3_GFX90A:TG_SPLIT: 0
	.section	.text._ZN7rocprim17ROCPRIM_400000_NS6detail17trampoline_kernelINS0_14default_configENS1_22reduce_config_selectorIN6thrust23THRUST_200600_302600_NS5tupleIilNS6_9null_typeES8_S8_S8_S8_S8_S8_S8_EEEEZNS1_11reduce_implILb0ES3_PS9_SC_S9_NS6_11hip_rocprim9__extrema9arg_max_fIilNS6_4lessIiEEEEEE10hipError_tPvRmT1_T2_T3_mT4_P12ihipStream_tbEUlT_E0_NS1_11comp_targetILNS1_3genE3ELNS1_11target_archE908ELNS1_3gpuE7ELNS1_3repE0EEENS1_30default_config_static_selectorELNS0_4arch9wavefront6targetE1EEEvSM_,"axG",@progbits,_ZN7rocprim17ROCPRIM_400000_NS6detail17trampoline_kernelINS0_14default_configENS1_22reduce_config_selectorIN6thrust23THRUST_200600_302600_NS5tupleIilNS6_9null_typeES8_S8_S8_S8_S8_S8_S8_EEEEZNS1_11reduce_implILb0ES3_PS9_SC_S9_NS6_11hip_rocprim9__extrema9arg_max_fIilNS6_4lessIiEEEEEE10hipError_tPvRmT1_T2_T3_mT4_P12ihipStream_tbEUlT_E0_NS1_11comp_targetILNS1_3genE3ELNS1_11target_archE908ELNS1_3gpuE7ELNS1_3repE0EEENS1_30default_config_static_selectorELNS0_4arch9wavefront6targetE1EEEvSM_,comdat
	.protected	_ZN7rocprim17ROCPRIM_400000_NS6detail17trampoline_kernelINS0_14default_configENS1_22reduce_config_selectorIN6thrust23THRUST_200600_302600_NS5tupleIilNS6_9null_typeES8_S8_S8_S8_S8_S8_S8_EEEEZNS1_11reduce_implILb0ES3_PS9_SC_S9_NS6_11hip_rocprim9__extrema9arg_max_fIilNS6_4lessIiEEEEEE10hipError_tPvRmT1_T2_T3_mT4_P12ihipStream_tbEUlT_E0_NS1_11comp_targetILNS1_3genE3ELNS1_11target_archE908ELNS1_3gpuE7ELNS1_3repE0EEENS1_30default_config_static_selectorELNS0_4arch9wavefront6targetE1EEEvSM_ ; -- Begin function _ZN7rocprim17ROCPRIM_400000_NS6detail17trampoline_kernelINS0_14default_configENS1_22reduce_config_selectorIN6thrust23THRUST_200600_302600_NS5tupleIilNS6_9null_typeES8_S8_S8_S8_S8_S8_S8_EEEEZNS1_11reduce_implILb0ES3_PS9_SC_S9_NS6_11hip_rocprim9__extrema9arg_max_fIilNS6_4lessIiEEEEEE10hipError_tPvRmT1_T2_T3_mT4_P12ihipStream_tbEUlT_E0_NS1_11comp_targetILNS1_3genE3ELNS1_11target_archE908ELNS1_3gpuE7ELNS1_3repE0EEENS1_30default_config_static_selectorELNS0_4arch9wavefront6targetE1EEEvSM_
	.globl	_ZN7rocprim17ROCPRIM_400000_NS6detail17trampoline_kernelINS0_14default_configENS1_22reduce_config_selectorIN6thrust23THRUST_200600_302600_NS5tupleIilNS6_9null_typeES8_S8_S8_S8_S8_S8_S8_EEEEZNS1_11reduce_implILb0ES3_PS9_SC_S9_NS6_11hip_rocprim9__extrema9arg_max_fIilNS6_4lessIiEEEEEE10hipError_tPvRmT1_T2_T3_mT4_P12ihipStream_tbEUlT_E0_NS1_11comp_targetILNS1_3genE3ELNS1_11target_archE908ELNS1_3gpuE7ELNS1_3repE0EEENS1_30default_config_static_selectorELNS0_4arch9wavefront6targetE1EEEvSM_
	.p2align	8
	.type	_ZN7rocprim17ROCPRIM_400000_NS6detail17trampoline_kernelINS0_14default_configENS1_22reduce_config_selectorIN6thrust23THRUST_200600_302600_NS5tupleIilNS6_9null_typeES8_S8_S8_S8_S8_S8_S8_EEEEZNS1_11reduce_implILb0ES3_PS9_SC_S9_NS6_11hip_rocprim9__extrema9arg_max_fIilNS6_4lessIiEEEEEE10hipError_tPvRmT1_T2_T3_mT4_P12ihipStream_tbEUlT_E0_NS1_11comp_targetILNS1_3genE3ELNS1_11target_archE908ELNS1_3gpuE7ELNS1_3repE0EEENS1_30default_config_static_selectorELNS0_4arch9wavefront6targetE1EEEvSM_,@function
_ZN7rocprim17ROCPRIM_400000_NS6detail17trampoline_kernelINS0_14default_configENS1_22reduce_config_selectorIN6thrust23THRUST_200600_302600_NS5tupleIilNS6_9null_typeES8_S8_S8_S8_S8_S8_S8_EEEEZNS1_11reduce_implILb0ES3_PS9_SC_S9_NS6_11hip_rocprim9__extrema9arg_max_fIilNS6_4lessIiEEEEEE10hipError_tPvRmT1_T2_T3_mT4_P12ihipStream_tbEUlT_E0_NS1_11comp_targetILNS1_3genE3ELNS1_11target_archE908ELNS1_3gpuE7ELNS1_3repE0EEENS1_30default_config_static_selectorELNS0_4arch9wavefront6targetE1EEEvSM_: ; @_ZN7rocprim17ROCPRIM_400000_NS6detail17trampoline_kernelINS0_14default_configENS1_22reduce_config_selectorIN6thrust23THRUST_200600_302600_NS5tupleIilNS6_9null_typeES8_S8_S8_S8_S8_S8_S8_EEEEZNS1_11reduce_implILb0ES3_PS9_SC_S9_NS6_11hip_rocprim9__extrema9arg_max_fIilNS6_4lessIiEEEEEE10hipError_tPvRmT1_T2_T3_mT4_P12ihipStream_tbEUlT_E0_NS1_11comp_targetILNS1_3genE3ELNS1_11target_archE908ELNS1_3gpuE7ELNS1_3repE0EEENS1_30default_config_static_selectorELNS0_4arch9wavefront6targetE1EEEvSM_
; %bb.0:
	.section	.rodata,"a",@progbits
	.p2align	6, 0x0
	.amdhsa_kernel _ZN7rocprim17ROCPRIM_400000_NS6detail17trampoline_kernelINS0_14default_configENS1_22reduce_config_selectorIN6thrust23THRUST_200600_302600_NS5tupleIilNS6_9null_typeES8_S8_S8_S8_S8_S8_S8_EEEEZNS1_11reduce_implILb0ES3_PS9_SC_S9_NS6_11hip_rocprim9__extrema9arg_max_fIilNS6_4lessIiEEEEEE10hipError_tPvRmT1_T2_T3_mT4_P12ihipStream_tbEUlT_E0_NS1_11comp_targetILNS1_3genE3ELNS1_11target_archE908ELNS1_3gpuE7ELNS1_3repE0EEENS1_30default_config_static_selectorELNS0_4arch9wavefront6targetE1EEEvSM_
		.amdhsa_group_segment_fixed_size 0
		.amdhsa_private_segment_fixed_size 0
		.amdhsa_kernarg_size 72
		.amdhsa_user_sgpr_count 6
		.amdhsa_user_sgpr_private_segment_buffer 1
		.amdhsa_user_sgpr_dispatch_ptr 0
		.amdhsa_user_sgpr_queue_ptr 0
		.amdhsa_user_sgpr_kernarg_segment_ptr 1
		.amdhsa_user_sgpr_dispatch_id 0
		.amdhsa_user_sgpr_flat_scratch_init 0
		.amdhsa_user_sgpr_kernarg_preload_length 0
		.amdhsa_user_sgpr_kernarg_preload_offset 0
		.amdhsa_user_sgpr_private_segment_size 0
		.amdhsa_uses_dynamic_stack 0
		.amdhsa_system_sgpr_private_segment_wavefront_offset 0
		.amdhsa_system_sgpr_workgroup_id_x 1
		.amdhsa_system_sgpr_workgroup_id_y 0
		.amdhsa_system_sgpr_workgroup_id_z 0
		.amdhsa_system_sgpr_workgroup_info 0
		.amdhsa_system_vgpr_workitem_id 0
		.amdhsa_next_free_vgpr 1
		.amdhsa_next_free_sgpr 0
		.amdhsa_accum_offset 4
		.amdhsa_reserve_vcc 0
		.amdhsa_reserve_flat_scratch 0
		.amdhsa_float_round_mode_32 0
		.amdhsa_float_round_mode_16_64 0
		.amdhsa_float_denorm_mode_32 3
		.amdhsa_float_denorm_mode_16_64 3
		.amdhsa_dx10_clamp 1
		.amdhsa_ieee_mode 1
		.amdhsa_fp16_overflow 0
		.amdhsa_tg_split 0
		.amdhsa_exception_fp_ieee_invalid_op 0
		.amdhsa_exception_fp_denorm_src 0
		.amdhsa_exception_fp_ieee_div_zero 0
		.amdhsa_exception_fp_ieee_overflow 0
		.amdhsa_exception_fp_ieee_underflow 0
		.amdhsa_exception_fp_ieee_inexact 0
		.amdhsa_exception_int_div_zero 0
	.end_amdhsa_kernel
	.section	.text._ZN7rocprim17ROCPRIM_400000_NS6detail17trampoline_kernelINS0_14default_configENS1_22reduce_config_selectorIN6thrust23THRUST_200600_302600_NS5tupleIilNS6_9null_typeES8_S8_S8_S8_S8_S8_S8_EEEEZNS1_11reduce_implILb0ES3_PS9_SC_S9_NS6_11hip_rocprim9__extrema9arg_max_fIilNS6_4lessIiEEEEEE10hipError_tPvRmT1_T2_T3_mT4_P12ihipStream_tbEUlT_E0_NS1_11comp_targetILNS1_3genE3ELNS1_11target_archE908ELNS1_3gpuE7ELNS1_3repE0EEENS1_30default_config_static_selectorELNS0_4arch9wavefront6targetE1EEEvSM_,"axG",@progbits,_ZN7rocprim17ROCPRIM_400000_NS6detail17trampoline_kernelINS0_14default_configENS1_22reduce_config_selectorIN6thrust23THRUST_200600_302600_NS5tupleIilNS6_9null_typeES8_S8_S8_S8_S8_S8_S8_EEEEZNS1_11reduce_implILb0ES3_PS9_SC_S9_NS6_11hip_rocprim9__extrema9arg_max_fIilNS6_4lessIiEEEEEE10hipError_tPvRmT1_T2_T3_mT4_P12ihipStream_tbEUlT_E0_NS1_11comp_targetILNS1_3genE3ELNS1_11target_archE908ELNS1_3gpuE7ELNS1_3repE0EEENS1_30default_config_static_selectorELNS0_4arch9wavefront6targetE1EEEvSM_,comdat
.Lfunc_end183:
	.size	_ZN7rocprim17ROCPRIM_400000_NS6detail17trampoline_kernelINS0_14default_configENS1_22reduce_config_selectorIN6thrust23THRUST_200600_302600_NS5tupleIilNS6_9null_typeES8_S8_S8_S8_S8_S8_S8_EEEEZNS1_11reduce_implILb0ES3_PS9_SC_S9_NS6_11hip_rocprim9__extrema9arg_max_fIilNS6_4lessIiEEEEEE10hipError_tPvRmT1_T2_T3_mT4_P12ihipStream_tbEUlT_E0_NS1_11comp_targetILNS1_3genE3ELNS1_11target_archE908ELNS1_3gpuE7ELNS1_3repE0EEENS1_30default_config_static_selectorELNS0_4arch9wavefront6targetE1EEEvSM_, .Lfunc_end183-_ZN7rocprim17ROCPRIM_400000_NS6detail17trampoline_kernelINS0_14default_configENS1_22reduce_config_selectorIN6thrust23THRUST_200600_302600_NS5tupleIilNS6_9null_typeES8_S8_S8_S8_S8_S8_S8_EEEEZNS1_11reduce_implILb0ES3_PS9_SC_S9_NS6_11hip_rocprim9__extrema9arg_max_fIilNS6_4lessIiEEEEEE10hipError_tPvRmT1_T2_T3_mT4_P12ihipStream_tbEUlT_E0_NS1_11comp_targetILNS1_3genE3ELNS1_11target_archE908ELNS1_3gpuE7ELNS1_3repE0EEENS1_30default_config_static_selectorELNS0_4arch9wavefront6targetE1EEEvSM_
                                        ; -- End function
	.section	.AMDGPU.csdata,"",@progbits
; Kernel info:
; codeLenInByte = 0
; NumSgprs: 4
; NumVgprs: 0
; NumAgprs: 0
; TotalNumVgprs: 0
; ScratchSize: 0
; MemoryBound: 0
; FloatMode: 240
; IeeeMode: 1
; LDSByteSize: 0 bytes/workgroup (compile time only)
; SGPRBlocks: 0
; VGPRBlocks: 0
; NumSGPRsForWavesPerEU: 4
; NumVGPRsForWavesPerEU: 1
; AccumOffset: 4
; Occupancy: 8
; WaveLimiterHint : 0
; COMPUTE_PGM_RSRC2:SCRATCH_EN: 0
; COMPUTE_PGM_RSRC2:USER_SGPR: 6
; COMPUTE_PGM_RSRC2:TRAP_HANDLER: 0
; COMPUTE_PGM_RSRC2:TGID_X_EN: 1
; COMPUTE_PGM_RSRC2:TGID_Y_EN: 0
; COMPUTE_PGM_RSRC2:TGID_Z_EN: 0
; COMPUTE_PGM_RSRC2:TIDIG_COMP_CNT: 0
; COMPUTE_PGM_RSRC3_GFX90A:ACCUM_OFFSET: 0
; COMPUTE_PGM_RSRC3_GFX90A:TG_SPLIT: 0
	.section	.text._ZN7rocprim17ROCPRIM_400000_NS6detail17trampoline_kernelINS0_14default_configENS1_22reduce_config_selectorIN6thrust23THRUST_200600_302600_NS5tupleIilNS6_9null_typeES8_S8_S8_S8_S8_S8_S8_EEEEZNS1_11reduce_implILb0ES3_PS9_SC_S9_NS6_11hip_rocprim9__extrema9arg_max_fIilNS6_4lessIiEEEEEE10hipError_tPvRmT1_T2_T3_mT4_P12ihipStream_tbEUlT_E0_NS1_11comp_targetILNS1_3genE2ELNS1_11target_archE906ELNS1_3gpuE6ELNS1_3repE0EEENS1_30default_config_static_selectorELNS0_4arch9wavefront6targetE1EEEvSM_,"axG",@progbits,_ZN7rocprim17ROCPRIM_400000_NS6detail17trampoline_kernelINS0_14default_configENS1_22reduce_config_selectorIN6thrust23THRUST_200600_302600_NS5tupleIilNS6_9null_typeES8_S8_S8_S8_S8_S8_S8_EEEEZNS1_11reduce_implILb0ES3_PS9_SC_S9_NS6_11hip_rocprim9__extrema9arg_max_fIilNS6_4lessIiEEEEEE10hipError_tPvRmT1_T2_T3_mT4_P12ihipStream_tbEUlT_E0_NS1_11comp_targetILNS1_3genE2ELNS1_11target_archE906ELNS1_3gpuE6ELNS1_3repE0EEENS1_30default_config_static_selectorELNS0_4arch9wavefront6targetE1EEEvSM_,comdat
	.protected	_ZN7rocprim17ROCPRIM_400000_NS6detail17trampoline_kernelINS0_14default_configENS1_22reduce_config_selectorIN6thrust23THRUST_200600_302600_NS5tupleIilNS6_9null_typeES8_S8_S8_S8_S8_S8_S8_EEEEZNS1_11reduce_implILb0ES3_PS9_SC_S9_NS6_11hip_rocprim9__extrema9arg_max_fIilNS6_4lessIiEEEEEE10hipError_tPvRmT1_T2_T3_mT4_P12ihipStream_tbEUlT_E0_NS1_11comp_targetILNS1_3genE2ELNS1_11target_archE906ELNS1_3gpuE6ELNS1_3repE0EEENS1_30default_config_static_selectorELNS0_4arch9wavefront6targetE1EEEvSM_ ; -- Begin function _ZN7rocprim17ROCPRIM_400000_NS6detail17trampoline_kernelINS0_14default_configENS1_22reduce_config_selectorIN6thrust23THRUST_200600_302600_NS5tupleIilNS6_9null_typeES8_S8_S8_S8_S8_S8_S8_EEEEZNS1_11reduce_implILb0ES3_PS9_SC_S9_NS6_11hip_rocprim9__extrema9arg_max_fIilNS6_4lessIiEEEEEE10hipError_tPvRmT1_T2_T3_mT4_P12ihipStream_tbEUlT_E0_NS1_11comp_targetILNS1_3genE2ELNS1_11target_archE906ELNS1_3gpuE6ELNS1_3repE0EEENS1_30default_config_static_selectorELNS0_4arch9wavefront6targetE1EEEvSM_
	.globl	_ZN7rocprim17ROCPRIM_400000_NS6detail17trampoline_kernelINS0_14default_configENS1_22reduce_config_selectorIN6thrust23THRUST_200600_302600_NS5tupleIilNS6_9null_typeES8_S8_S8_S8_S8_S8_S8_EEEEZNS1_11reduce_implILb0ES3_PS9_SC_S9_NS6_11hip_rocprim9__extrema9arg_max_fIilNS6_4lessIiEEEEEE10hipError_tPvRmT1_T2_T3_mT4_P12ihipStream_tbEUlT_E0_NS1_11comp_targetILNS1_3genE2ELNS1_11target_archE906ELNS1_3gpuE6ELNS1_3repE0EEENS1_30default_config_static_selectorELNS0_4arch9wavefront6targetE1EEEvSM_
	.p2align	8
	.type	_ZN7rocprim17ROCPRIM_400000_NS6detail17trampoline_kernelINS0_14default_configENS1_22reduce_config_selectorIN6thrust23THRUST_200600_302600_NS5tupleIilNS6_9null_typeES8_S8_S8_S8_S8_S8_S8_EEEEZNS1_11reduce_implILb0ES3_PS9_SC_S9_NS6_11hip_rocprim9__extrema9arg_max_fIilNS6_4lessIiEEEEEE10hipError_tPvRmT1_T2_T3_mT4_P12ihipStream_tbEUlT_E0_NS1_11comp_targetILNS1_3genE2ELNS1_11target_archE906ELNS1_3gpuE6ELNS1_3repE0EEENS1_30default_config_static_selectorELNS0_4arch9wavefront6targetE1EEEvSM_,@function
_ZN7rocprim17ROCPRIM_400000_NS6detail17trampoline_kernelINS0_14default_configENS1_22reduce_config_selectorIN6thrust23THRUST_200600_302600_NS5tupleIilNS6_9null_typeES8_S8_S8_S8_S8_S8_S8_EEEEZNS1_11reduce_implILb0ES3_PS9_SC_S9_NS6_11hip_rocprim9__extrema9arg_max_fIilNS6_4lessIiEEEEEE10hipError_tPvRmT1_T2_T3_mT4_P12ihipStream_tbEUlT_E0_NS1_11comp_targetILNS1_3genE2ELNS1_11target_archE906ELNS1_3gpuE6ELNS1_3repE0EEENS1_30default_config_static_selectorELNS0_4arch9wavefront6targetE1EEEvSM_: ; @_ZN7rocprim17ROCPRIM_400000_NS6detail17trampoline_kernelINS0_14default_configENS1_22reduce_config_selectorIN6thrust23THRUST_200600_302600_NS5tupleIilNS6_9null_typeES8_S8_S8_S8_S8_S8_S8_EEEEZNS1_11reduce_implILb0ES3_PS9_SC_S9_NS6_11hip_rocprim9__extrema9arg_max_fIilNS6_4lessIiEEEEEE10hipError_tPvRmT1_T2_T3_mT4_P12ihipStream_tbEUlT_E0_NS1_11comp_targetILNS1_3genE2ELNS1_11target_archE906ELNS1_3gpuE6ELNS1_3repE0EEENS1_30default_config_static_selectorELNS0_4arch9wavefront6targetE1EEEvSM_
; %bb.0:
	.section	.rodata,"a",@progbits
	.p2align	6, 0x0
	.amdhsa_kernel _ZN7rocprim17ROCPRIM_400000_NS6detail17trampoline_kernelINS0_14default_configENS1_22reduce_config_selectorIN6thrust23THRUST_200600_302600_NS5tupleIilNS6_9null_typeES8_S8_S8_S8_S8_S8_S8_EEEEZNS1_11reduce_implILb0ES3_PS9_SC_S9_NS6_11hip_rocprim9__extrema9arg_max_fIilNS6_4lessIiEEEEEE10hipError_tPvRmT1_T2_T3_mT4_P12ihipStream_tbEUlT_E0_NS1_11comp_targetILNS1_3genE2ELNS1_11target_archE906ELNS1_3gpuE6ELNS1_3repE0EEENS1_30default_config_static_selectorELNS0_4arch9wavefront6targetE1EEEvSM_
		.amdhsa_group_segment_fixed_size 0
		.amdhsa_private_segment_fixed_size 0
		.amdhsa_kernarg_size 72
		.amdhsa_user_sgpr_count 6
		.amdhsa_user_sgpr_private_segment_buffer 1
		.amdhsa_user_sgpr_dispatch_ptr 0
		.amdhsa_user_sgpr_queue_ptr 0
		.amdhsa_user_sgpr_kernarg_segment_ptr 1
		.amdhsa_user_sgpr_dispatch_id 0
		.amdhsa_user_sgpr_flat_scratch_init 0
		.amdhsa_user_sgpr_kernarg_preload_length 0
		.amdhsa_user_sgpr_kernarg_preload_offset 0
		.amdhsa_user_sgpr_private_segment_size 0
		.amdhsa_uses_dynamic_stack 0
		.amdhsa_system_sgpr_private_segment_wavefront_offset 0
		.amdhsa_system_sgpr_workgroup_id_x 1
		.amdhsa_system_sgpr_workgroup_id_y 0
		.amdhsa_system_sgpr_workgroup_id_z 0
		.amdhsa_system_sgpr_workgroup_info 0
		.amdhsa_system_vgpr_workitem_id 0
		.amdhsa_next_free_vgpr 1
		.amdhsa_next_free_sgpr 0
		.amdhsa_accum_offset 4
		.amdhsa_reserve_vcc 0
		.amdhsa_reserve_flat_scratch 0
		.amdhsa_float_round_mode_32 0
		.amdhsa_float_round_mode_16_64 0
		.amdhsa_float_denorm_mode_32 3
		.amdhsa_float_denorm_mode_16_64 3
		.amdhsa_dx10_clamp 1
		.amdhsa_ieee_mode 1
		.amdhsa_fp16_overflow 0
		.amdhsa_tg_split 0
		.amdhsa_exception_fp_ieee_invalid_op 0
		.amdhsa_exception_fp_denorm_src 0
		.amdhsa_exception_fp_ieee_div_zero 0
		.amdhsa_exception_fp_ieee_overflow 0
		.amdhsa_exception_fp_ieee_underflow 0
		.amdhsa_exception_fp_ieee_inexact 0
		.amdhsa_exception_int_div_zero 0
	.end_amdhsa_kernel
	.section	.text._ZN7rocprim17ROCPRIM_400000_NS6detail17trampoline_kernelINS0_14default_configENS1_22reduce_config_selectorIN6thrust23THRUST_200600_302600_NS5tupleIilNS6_9null_typeES8_S8_S8_S8_S8_S8_S8_EEEEZNS1_11reduce_implILb0ES3_PS9_SC_S9_NS6_11hip_rocprim9__extrema9arg_max_fIilNS6_4lessIiEEEEEE10hipError_tPvRmT1_T2_T3_mT4_P12ihipStream_tbEUlT_E0_NS1_11comp_targetILNS1_3genE2ELNS1_11target_archE906ELNS1_3gpuE6ELNS1_3repE0EEENS1_30default_config_static_selectorELNS0_4arch9wavefront6targetE1EEEvSM_,"axG",@progbits,_ZN7rocprim17ROCPRIM_400000_NS6detail17trampoline_kernelINS0_14default_configENS1_22reduce_config_selectorIN6thrust23THRUST_200600_302600_NS5tupleIilNS6_9null_typeES8_S8_S8_S8_S8_S8_S8_EEEEZNS1_11reduce_implILb0ES3_PS9_SC_S9_NS6_11hip_rocprim9__extrema9arg_max_fIilNS6_4lessIiEEEEEE10hipError_tPvRmT1_T2_T3_mT4_P12ihipStream_tbEUlT_E0_NS1_11comp_targetILNS1_3genE2ELNS1_11target_archE906ELNS1_3gpuE6ELNS1_3repE0EEENS1_30default_config_static_selectorELNS0_4arch9wavefront6targetE1EEEvSM_,comdat
.Lfunc_end184:
	.size	_ZN7rocprim17ROCPRIM_400000_NS6detail17trampoline_kernelINS0_14default_configENS1_22reduce_config_selectorIN6thrust23THRUST_200600_302600_NS5tupleIilNS6_9null_typeES8_S8_S8_S8_S8_S8_S8_EEEEZNS1_11reduce_implILb0ES3_PS9_SC_S9_NS6_11hip_rocprim9__extrema9arg_max_fIilNS6_4lessIiEEEEEE10hipError_tPvRmT1_T2_T3_mT4_P12ihipStream_tbEUlT_E0_NS1_11comp_targetILNS1_3genE2ELNS1_11target_archE906ELNS1_3gpuE6ELNS1_3repE0EEENS1_30default_config_static_selectorELNS0_4arch9wavefront6targetE1EEEvSM_, .Lfunc_end184-_ZN7rocprim17ROCPRIM_400000_NS6detail17trampoline_kernelINS0_14default_configENS1_22reduce_config_selectorIN6thrust23THRUST_200600_302600_NS5tupleIilNS6_9null_typeES8_S8_S8_S8_S8_S8_S8_EEEEZNS1_11reduce_implILb0ES3_PS9_SC_S9_NS6_11hip_rocprim9__extrema9arg_max_fIilNS6_4lessIiEEEEEE10hipError_tPvRmT1_T2_T3_mT4_P12ihipStream_tbEUlT_E0_NS1_11comp_targetILNS1_3genE2ELNS1_11target_archE906ELNS1_3gpuE6ELNS1_3repE0EEENS1_30default_config_static_selectorELNS0_4arch9wavefront6targetE1EEEvSM_
                                        ; -- End function
	.section	.AMDGPU.csdata,"",@progbits
; Kernel info:
; codeLenInByte = 0
; NumSgprs: 4
; NumVgprs: 0
; NumAgprs: 0
; TotalNumVgprs: 0
; ScratchSize: 0
; MemoryBound: 0
; FloatMode: 240
; IeeeMode: 1
; LDSByteSize: 0 bytes/workgroup (compile time only)
; SGPRBlocks: 0
; VGPRBlocks: 0
; NumSGPRsForWavesPerEU: 4
; NumVGPRsForWavesPerEU: 1
; AccumOffset: 4
; Occupancy: 8
; WaveLimiterHint : 0
; COMPUTE_PGM_RSRC2:SCRATCH_EN: 0
; COMPUTE_PGM_RSRC2:USER_SGPR: 6
; COMPUTE_PGM_RSRC2:TRAP_HANDLER: 0
; COMPUTE_PGM_RSRC2:TGID_X_EN: 1
; COMPUTE_PGM_RSRC2:TGID_Y_EN: 0
; COMPUTE_PGM_RSRC2:TGID_Z_EN: 0
; COMPUTE_PGM_RSRC2:TIDIG_COMP_CNT: 0
; COMPUTE_PGM_RSRC3_GFX90A:ACCUM_OFFSET: 0
; COMPUTE_PGM_RSRC3_GFX90A:TG_SPLIT: 0
	.section	.text._ZN7rocprim17ROCPRIM_400000_NS6detail17trampoline_kernelINS0_14default_configENS1_22reduce_config_selectorIN6thrust23THRUST_200600_302600_NS5tupleIilNS6_9null_typeES8_S8_S8_S8_S8_S8_S8_EEEEZNS1_11reduce_implILb0ES3_PS9_SC_S9_NS6_11hip_rocprim9__extrema9arg_max_fIilNS6_4lessIiEEEEEE10hipError_tPvRmT1_T2_T3_mT4_P12ihipStream_tbEUlT_E0_NS1_11comp_targetILNS1_3genE10ELNS1_11target_archE1201ELNS1_3gpuE5ELNS1_3repE0EEENS1_30default_config_static_selectorELNS0_4arch9wavefront6targetE1EEEvSM_,"axG",@progbits,_ZN7rocprim17ROCPRIM_400000_NS6detail17trampoline_kernelINS0_14default_configENS1_22reduce_config_selectorIN6thrust23THRUST_200600_302600_NS5tupleIilNS6_9null_typeES8_S8_S8_S8_S8_S8_S8_EEEEZNS1_11reduce_implILb0ES3_PS9_SC_S9_NS6_11hip_rocprim9__extrema9arg_max_fIilNS6_4lessIiEEEEEE10hipError_tPvRmT1_T2_T3_mT4_P12ihipStream_tbEUlT_E0_NS1_11comp_targetILNS1_3genE10ELNS1_11target_archE1201ELNS1_3gpuE5ELNS1_3repE0EEENS1_30default_config_static_selectorELNS0_4arch9wavefront6targetE1EEEvSM_,comdat
	.protected	_ZN7rocprim17ROCPRIM_400000_NS6detail17trampoline_kernelINS0_14default_configENS1_22reduce_config_selectorIN6thrust23THRUST_200600_302600_NS5tupleIilNS6_9null_typeES8_S8_S8_S8_S8_S8_S8_EEEEZNS1_11reduce_implILb0ES3_PS9_SC_S9_NS6_11hip_rocprim9__extrema9arg_max_fIilNS6_4lessIiEEEEEE10hipError_tPvRmT1_T2_T3_mT4_P12ihipStream_tbEUlT_E0_NS1_11comp_targetILNS1_3genE10ELNS1_11target_archE1201ELNS1_3gpuE5ELNS1_3repE0EEENS1_30default_config_static_selectorELNS0_4arch9wavefront6targetE1EEEvSM_ ; -- Begin function _ZN7rocprim17ROCPRIM_400000_NS6detail17trampoline_kernelINS0_14default_configENS1_22reduce_config_selectorIN6thrust23THRUST_200600_302600_NS5tupleIilNS6_9null_typeES8_S8_S8_S8_S8_S8_S8_EEEEZNS1_11reduce_implILb0ES3_PS9_SC_S9_NS6_11hip_rocprim9__extrema9arg_max_fIilNS6_4lessIiEEEEEE10hipError_tPvRmT1_T2_T3_mT4_P12ihipStream_tbEUlT_E0_NS1_11comp_targetILNS1_3genE10ELNS1_11target_archE1201ELNS1_3gpuE5ELNS1_3repE0EEENS1_30default_config_static_selectorELNS0_4arch9wavefront6targetE1EEEvSM_
	.globl	_ZN7rocprim17ROCPRIM_400000_NS6detail17trampoline_kernelINS0_14default_configENS1_22reduce_config_selectorIN6thrust23THRUST_200600_302600_NS5tupleIilNS6_9null_typeES8_S8_S8_S8_S8_S8_S8_EEEEZNS1_11reduce_implILb0ES3_PS9_SC_S9_NS6_11hip_rocprim9__extrema9arg_max_fIilNS6_4lessIiEEEEEE10hipError_tPvRmT1_T2_T3_mT4_P12ihipStream_tbEUlT_E0_NS1_11comp_targetILNS1_3genE10ELNS1_11target_archE1201ELNS1_3gpuE5ELNS1_3repE0EEENS1_30default_config_static_selectorELNS0_4arch9wavefront6targetE1EEEvSM_
	.p2align	8
	.type	_ZN7rocprim17ROCPRIM_400000_NS6detail17trampoline_kernelINS0_14default_configENS1_22reduce_config_selectorIN6thrust23THRUST_200600_302600_NS5tupleIilNS6_9null_typeES8_S8_S8_S8_S8_S8_S8_EEEEZNS1_11reduce_implILb0ES3_PS9_SC_S9_NS6_11hip_rocprim9__extrema9arg_max_fIilNS6_4lessIiEEEEEE10hipError_tPvRmT1_T2_T3_mT4_P12ihipStream_tbEUlT_E0_NS1_11comp_targetILNS1_3genE10ELNS1_11target_archE1201ELNS1_3gpuE5ELNS1_3repE0EEENS1_30default_config_static_selectorELNS0_4arch9wavefront6targetE1EEEvSM_,@function
_ZN7rocprim17ROCPRIM_400000_NS6detail17trampoline_kernelINS0_14default_configENS1_22reduce_config_selectorIN6thrust23THRUST_200600_302600_NS5tupleIilNS6_9null_typeES8_S8_S8_S8_S8_S8_S8_EEEEZNS1_11reduce_implILb0ES3_PS9_SC_S9_NS6_11hip_rocprim9__extrema9arg_max_fIilNS6_4lessIiEEEEEE10hipError_tPvRmT1_T2_T3_mT4_P12ihipStream_tbEUlT_E0_NS1_11comp_targetILNS1_3genE10ELNS1_11target_archE1201ELNS1_3gpuE5ELNS1_3repE0EEENS1_30default_config_static_selectorELNS0_4arch9wavefront6targetE1EEEvSM_: ; @_ZN7rocprim17ROCPRIM_400000_NS6detail17trampoline_kernelINS0_14default_configENS1_22reduce_config_selectorIN6thrust23THRUST_200600_302600_NS5tupleIilNS6_9null_typeES8_S8_S8_S8_S8_S8_S8_EEEEZNS1_11reduce_implILb0ES3_PS9_SC_S9_NS6_11hip_rocprim9__extrema9arg_max_fIilNS6_4lessIiEEEEEE10hipError_tPvRmT1_T2_T3_mT4_P12ihipStream_tbEUlT_E0_NS1_11comp_targetILNS1_3genE10ELNS1_11target_archE1201ELNS1_3gpuE5ELNS1_3repE0EEENS1_30default_config_static_selectorELNS0_4arch9wavefront6targetE1EEEvSM_
; %bb.0:
	.section	.rodata,"a",@progbits
	.p2align	6, 0x0
	.amdhsa_kernel _ZN7rocprim17ROCPRIM_400000_NS6detail17trampoline_kernelINS0_14default_configENS1_22reduce_config_selectorIN6thrust23THRUST_200600_302600_NS5tupleIilNS6_9null_typeES8_S8_S8_S8_S8_S8_S8_EEEEZNS1_11reduce_implILb0ES3_PS9_SC_S9_NS6_11hip_rocprim9__extrema9arg_max_fIilNS6_4lessIiEEEEEE10hipError_tPvRmT1_T2_T3_mT4_P12ihipStream_tbEUlT_E0_NS1_11comp_targetILNS1_3genE10ELNS1_11target_archE1201ELNS1_3gpuE5ELNS1_3repE0EEENS1_30default_config_static_selectorELNS0_4arch9wavefront6targetE1EEEvSM_
		.amdhsa_group_segment_fixed_size 0
		.amdhsa_private_segment_fixed_size 0
		.amdhsa_kernarg_size 72
		.amdhsa_user_sgpr_count 6
		.amdhsa_user_sgpr_private_segment_buffer 1
		.amdhsa_user_sgpr_dispatch_ptr 0
		.amdhsa_user_sgpr_queue_ptr 0
		.amdhsa_user_sgpr_kernarg_segment_ptr 1
		.amdhsa_user_sgpr_dispatch_id 0
		.amdhsa_user_sgpr_flat_scratch_init 0
		.amdhsa_user_sgpr_kernarg_preload_length 0
		.amdhsa_user_sgpr_kernarg_preload_offset 0
		.amdhsa_user_sgpr_private_segment_size 0
		.amdhsa_uses_dynamic_stack 0
		.amdhsa_system_sgpr_private_segment_wavefront_offset 0
		.amdhsa_system_sgpr_workgroup_id_x 1
		.amdhsa_system_sgpr_workgroup_id_y 0
		.amdhsa_system_sgpr_workgroup_id_z 0
		.amdhsa_system_sgpr_workgroup_info 0
		.amdhsa_system_vgpr_workitem_id 0
		.amdhsa_next_free_vgpr 1
		.amdhsa_next_free_sgpr 0
		.amdhsa_accum_offset 4
		.amdhsa_reserve_vcc 0
		.amdhsa_reserve_flat_scratch 0
		.amdhsa_float_round_mode_32 0
		.amdhsa_float_round_mode_16_64 0
		.amdhsa_float_denorm_mode_32 3
		.amdhsa_float_denorm_mode_16_64 3
		.amdhsa_dx10_clamp 1
		.amdhsa_ieee_mode 1
		.amdhsa_fp16_overflow 0
		.amdhsa_tg_split 0
		.amdhsa_exception_fp_ieee_invalid_op 0
		.amdhsa_exception_fp_denorm_src 0
		.amdhsa_exception_fp_ieee_div_zero 0
		.amdhsa_exception_fp_ieee_overflow 0
		.amdhsa_exception_fp_ieee_underflow 0
		.amdhsa_exception_fp_ieee_inexact 0
		.amdhsa_exception_int_div_zero 0
	.end_amdhsa_kernel
	.section	.text._ZN7rocprim17ROCPRIM_400000_NS6detail17trampoline_kernelINS0_14default_configENS1_22reduce_config_selectorIN6thrust23THRUST_200600_302600_NS5tupleIilNS6_9null_typeES8_S8_S8_S8_S8_S8_S8_EEEEZNS1_11reduce_implILb0ES3_PS9_SC_S9_NS6_11hip_rocprim9__extrema9arg_max_fIilNS6_4lessIiEEEEEE10hipError_tPvRmT1_T2_T3_mT4_P12ihipStream_tbEUlT_E0_NS1_11comp_targetILNS1_3genE10ELNS1_11target_archE1201ELNS1_3gpuE5ELNS1_3repE0EEENS1_30default_config_static_selectorELNS0_4arch9wavefront6targetE1EEEvSM_,"axG",@progbits,_ZN7rocprim17ROCPRIM_400000_NS6detail17trampoline_kernelINS0_14default_configENS1_22reduce_config_selectorIN6thrust23THRUST_200600_302600_NS5tupleIilNS6_9null_typeES8_S8_S8_S8_S8_S8_S8_EEEEZNS1_11reduce_implILb0ES3_PS9_SC_S9_NS6_11hip_rocprim9__extrema9arg_max_fIilNS6_4lessIiEEEEEE10hipError_tPvRmT1_T2_T3_mT4_P12ihipStream_tbEUlT_E0_NS1_11comp_targetILNS1_3genE10ELNS1_11target_archE1201ELNS1_3gpuE5ELNS1_3repE0EEENS1_30default_config_static_selectorELNS0_4arch9wavefront6targetE1EEEvSM_,comdat
.Lfunc_end185:
	.size	_ZN7rocprim17ROCPRIM_400000_NS6detail17trampoline_kernelINS0_14default_configENS1_22reduce_config_selectorIN6thrust23THRUST_200600_302600_NS5tupleIilNS6_9null_typeES8_S8_S8_S8_S8_S8_S8_EEEEZNS1_11reduce_implILb0ES3_PS9_SC_S9_NS6_11hip_rocprim9__extrema9arg_max_fIilNS6_4lessIiEEEEEE10hipError_tPvRmT1_T2_T3_mT4_P12ihipStream_tbEUlT_E0_NS1_11comp_targetILNS1_3genE10ELNS1_11target_archE1201ELNS1_3gpuE5ELNS1_3repE0EEENS1_30default_config_static_selectorELNS0_4arch9wavefront6targetE1EEEvSM_, .Lfunc_end185-_ZN7rocprim17ROCPRIM_400000_NS6detail17trampoline_kernelINS0_14default_configENS1_22reduce_config_selectorIN6thrust23THRUST_200600_302600_NS5tupleIilNS6_9null_typeES8_S8_S8_S8_S8_S8_S8_EEEEZNS1_11reduce_implILb0ES3_PS9_SC_S9_NS6_11hip_rocprim9__extrema9arg_max_fIilNS6_4lessIiEEEEEE10hipError_tPvRmT1_T2_T3_mT4_P12ihipStream_tbEUlT_E0_NS1_11comp_targetILNS1_3genE10ELNS1_11target_archE1201ELNS1_3gpuE5ELNS1_3repE0EEENS1_30default_config_static_selectorELNS0_4arch9wavefront6targetE1EEEvSM_
                                        ; -- End function
	.section	.AMDGPU.csdata,"",@progbits
; Kernel info:
; codeLenInByte = 0
; NumSgprs: 4
; NumVgprs: 0
; NumAgprs: 0
; TotalNumVgprs: 0
; ScratchSize: 0
; MemoryBound: 0
; FloatMode: 240
; IeeeMode: 1
; LDSByteSize: 0 bytes/workgroup (compile time only)
; SGPRBlocks: 0
; VGPRBlocks: 0
; NumSGPRsForWavesPerEU: 4
; NumVGPRsForWavesPerEU: 1
; AccumOffset: 4
; Occupancy: 8
; WaveLimiterHint : 0
; COMPUTE_PGM_RSRC2:SCRATCH_EN: 0
; COMPUTE_PGM_RSRC2:USER_SGPR: 6
; COMPUTE_PGM_RSRC2:TRAP_HANDLER: 0
; COMPUTE_PGM_RSRC2:TGID_X_EN: 1
; COMPUTE_PGM_RSRC2:TGID_Y_EN: 0
; COMPUTE_PGM_RSRC2:TGID_Z_EN: 0
; COMPUTE_PGM_RSRC2:TIDIG_COMP_CNT: 0
; COMPUTE_PGM_RSRC3_GFX90A:ACCUM_OFFSET: 0
; COMPUTE_PGM_RSRC3_GFX90A:TG_SPLIT: 0
	.section	.text._ZN7rocprim17ROCPRIM_400000_NS6detail17trampoline_kernelINS0_14default_configENS1_22reduce_config_selectorIN6thrust23THRUST_200600_302600_NS5tupleIilNS6_9null_typeES8_S8_S8_S8_S8_S8_S8_EEEEZNS1_11reduce_implILb0ES3_PS9_SC_S9_NS6_11hip_rocprim9__extrema9arg_max_fIilNS6_4lessIiEEEEEE10hipError_tPvRmT1_T2_T3_mT4_P12ihipStream_tbEUlT_E0_NS1_11comp_targetILNS1_3genE10ELNS1_11target_archE1200ELNS1_3gpuE4ELNS1_3repE0EEENS1_30default_config_static_selectorELNS0_4arch9wavefront6targetE1EEEvSM_,"axG",@progbits,_ZN7rocprim17ROCPRIM_400000_NS6detail17trampoline_kernelINS0_14default_configENS1_22reduce_config_selectorIN6thrust23THRUST_200600_302600_NS5tupleIilNS6_9null_typeES8_S8_S8_S8_S8_S8_S8_EEEEZNS1_11reduce_implILb0ES3_PS9_SC_S9_NS6_11hip_rocprim9__extrema9arg_max_fIilNS6_4lessIiEEEEEE10hipError_tPvRmT1_T2_T3_mT4_P12ihipStream_tbEUlT_E0_NS1_11comp_targetILNS1_3genE10ELNS1_11target_archE1200ELNS1_3gpuE4ELNS1_3repE0EEENS1_30default_config_static_selectorELNS0_4arch9wavefront6targetE1EEEvSM_,comdat
	.protected	_ZN7rocprim17ROCPRIM_400000_NS6detail17trampoline_kernelINS0_14default_configENS1_22reduce_config_selectorIN6thrust23THRUST_200600_302600_NS5tupleIilNS6_9null_typeES8_S8_S8_S8_S8_S8_S8_EEEEZNS1_11reduce_implILb0ES3_PS9_SC_S9_NS6_11hip_rocprim9__extrema9arg_max_fIilNS6_4lessIiEEEEEE10hipError_tPvRmT1_T2_T3_mT4_P12ihipStream_tbEUlT_E0_NS1_11comp_targetILNS1_3genE10ELNS1_11target_archE1200ELNS1_3gpuE4ELNS1_3repE0EEENS1_30default_config_static_selectorELNS0_4arch9wavefront6targetE1EEEvSM_ ; -- Begin function _ZN7rocprim17ROCPRIM_400000_NS6detail17trampoline_kernelINS0_14default_configENS1_22reduce_config_selectorIN6thrust23THRUST_200600_302600_NS5tupleIilNS6_9null_typeES8_S8_S8_S8_S8_S8_S8_EEEEZNS1_11reduce_implILb0ES3_PS9_SC_S9_NS6_11hip_rocprim9__extrema9arg_max_fIilNS6_4lessIiEEEEEE10hipError_tPvRmT1_T2_T3_mT4_P12ihipStream_tbEUlT_E0_NS1_11comp_targetILNS1_3genE10ELNS1_11target_archE1200ELNS1_3gpuE4ELNS1_3repE0EEENS1_30default_config_static_selectorELNS0_4arch9wavefront6targetE1EEEvSM_
	.globl	_ZN7rocprim17ROCPRIM_400000_NS6detail17trampoline_kernelINS0_14default_configENS1_22reduce_config_selectorIN6thrust23THRUST_200600_302600_NS5tupleIilNS6_9null_typeES8_S8_S8_S8_S8_S8_S8_EEEEZNS1_11reduce_implILb0ES3_PS9_SC_S9_NS6_11hip_rocprim9__extrema9arg_max_fIilNS6_4lessIiEEEEEE10hipError_tPvRmT1_T2_T3_mT4_P12ihipStream_tbEUlT_E0_NS1_11comp_targetILNS1_3genE10ELNS1_11target_archE1200ELNS1_3gpuE4ELNS1_3repE0EEENS1_30default_config_static_selectorELNS0_4arch9wavefront6targetE1EEEvSM_
	.p2align	8
	.type	_ZN7rocprim17ROCPRIM_400000_NS6detail17trampoline_kernelINS0_14default_configENS1_22reduce_config_selectorIN6thrust23THRUST_200600_302600_NS5tupleIilNS6_9null_typeES8_S8_S8_S8_S8_S8_S8_EEEEZNS1_11reduce_implILb0ES3_PS9_SC_S9_NS6_11hip_rocprim9__extrema9arg_max_fIilNS6_4lessIiEEEEEE10hipError_tPvRmT1_T2_T3_mT4_P12ihipStream_tbEUlT_E0_NS1_11comp_targetILNS1_3genE10ELNS1_11target_archE1200ELNS1_3gpuE4ELNS1_3repE0EEENS1_30default_config_static_selectorELNS0_4arch9wavefront6targetE1EEEvSM_,@function
_ZN7rocprim17ROCPRIM_400000_NS6detail17trampoline_kernelINS0_14default_configENS1_22reduce_config_selectorIN6thrust23THRUST_200600_302600_NS5tupleIilNS6_9null_typeES8_S8_S8_S8_S8_S8_S8_EEEEZNS1_11reduce_implILb0ES3_PS9_SC_S9_NS6_11hip_rocprim9__extrema9arg_max_fIilNS6_4lessIiEEEEEE10hipError_tPvRmT1_T2_T3_mT4_P12ihipStream_tbEUlT_E0_NS1_11comp_targetILNS1_3genE10ELNS1_11target_archE1200ELNS1_3gpuE4ELNS1_3repE0EEENS1_30default_config_static_selectorELNS0_4arch9wavefront6targetE1EEEvSM_: ; @_ZN7rocprim17ROCPRIM_400000_NS6detail17trampoline_kernelINS0_14default_configENS1_22reduce_config_selectorIN6thrust23THRUST_200600_302600_NS5tupleIilNS6_9null_typeES8_S8_S8_S8_S8_S8_S8_EEEEZNS1_11reduce_implILb0ES3_PS9_SC_S9_NS6_11hip_rocprim9__extrema9arg_max_fIilNS6_4lessIiEEEEEE10hipError_tPvRmT1_T2_T3_mT4_P12ihipStream_tbEUlT_E0_NS1_11comp_targetILNS1_3genE10ELNS1_11target_archE1200ELNS1_3gpuE4ELNS1_3repE0EEENS1_30default_config_static_selectorELNS0_4arch9wavefront6targetE1EEEvSM_
; %bb.0:
	.section	.rodata,"a",@progbits
	.p2align	6, 0x0
	.amdhsa_kernel _ZN7rocprim17ROCPRIM_400000_NS6detail17trampoline_kernelINS0_14default_configENS1_22reduce_config_selectorIN6thrust23THRUST_200600_302600_NS5tupleIilNS6_9null_typeES8_S8_S8_S8_S8_S8_S8_EEEEZNS1_11reduce_implILb0ES3_PS9_SC_S9_NS6_11hip_rocprim9__extrema9arg_max_fIilNS6_4lessIiEEEEEE10hipError_tPvRmT1_T2_T3_mT4_P12ihipStream_tbEUlT_E0_NS1_11comp_targetILNS1_3genE10ELNS1_11target_archE1200ELNS1_3gpuE4ELNS1_3repE0EEENS1_30default_config_static_selectorELNS0_4arch9wavefront6targetE1EEEvSM_
		.amdhsa_group_segment_fixed_size 0
		.amdhsa_private_segment_fixed_size 0
		.amdhsa_kernarg_size 72
		.amdhsa_user_sgpr_count 6
		.amdhsa_user_sgpr_private_segment_buffer 1
		.amdhsa_user_sgpr_dispatch_ptr 0
		.amdhsa_user_sgpr_queue_ptr 0
		.amdhsa_user_sgpr_kernarg_segment_ptr 1
		.amdhsa_user_sgpr_dispatch_id 0
		.amdhsa_user_sgpr_flat_scratch_init 0
		.amdhsa_user_sgpr_kernarg_preload_length 0
		.amdhsa_user_sgpr_kernarg_preload_offset 0
		.amdhsa_user_sgpr_private_segment_size 0
		.amdhsa_uses_dynamic_stack 0
		.amdhsa_system_sgpr_private_segment_wavefront_offset 0
		.amdhsa_system_sgpr_workgroup_id_x 1
		.amdhsa_system_sgpr_workgroup_id_y 0
		.amdhsa_system_sgpr_workgroup_id_z 0
		.amdhsa_system_sgpr_workgroup_info 0
		.amdhsa_system_vgpr_workitem_id 0
		.amdhsa_next_free_vgpr 1
		.amdhsa_next_free_sgpr 0
		.amdhsa_accum_offset 4
		.amdhsa_reserve_vcc 0
		.amdhsa_reserve_flat_scratch 0
		.amdhsa_float_round_mode_32 0
		.amdhsa_float_round_mode_16_64 0
		.amdhsa_float_denorm_mode_32 3
		.amdhsa_float_denorm_mode_16_64 3
		.amdhsa_dx10_clamp 1
		.amdhsa_ieee_mode 1
		.amdhsa_fp16_overflow 0
		.amdhsa_tg_split 0
		.amdhsa_exception_fp_ieee_invalid_op 0
		.amdhsa_exception_fp_denorm_src 0
		.amdhsa_exception_fp_ieee_div_zero 0
		.amdhsa_exception_fp_ieee_overflow 0
		.amdhsa_exception_fp_ieee_underflow 0
		.amdhsa_exception_fp_ieee_inexact 0
		.amdhsa_exception_int_div_zero 0
	.end_amdhsa_kernel
	.section	.text._ZN7rocprim17ROCPRIM_400000_NS6detail17trampoline_kernelINS0_14default_configENS1_22reduce_config_selectorIN6thrust23THRUST_200600_302600_NS5tupleIilNS6_9null_typeES8_S8_S8_S8_S8_S8_S8_EEEEZNS1_11reduce_implILb0ES3_PS9_SC_S9_NS6_11hip_rocprim9__extrema9arg_max_fIilNS6_4lessIiEEEEEE10hipError_tPvRmT1_T2_T3_mT4_P12ihipStream_tbEUlT_E0_NS1_11comp_targetILNS1_3genE10ELNS1_11target_archE1200ELNS1_3gpuE4ELNS1_3repE0EEENS1_30default_config_static_selectorELNS0_4arch9wavefront6targetE1EEEvSM_,"axG",@progbits,_ZN7rocprim17ROCPRIM_400000_NS6detail17trampoline_kernelINS0_14default_configENS1_22reduce_config_selectorIN6thrust23THRUST_200600_302600_NS5tupleIilNS6_9null_typeES8_S8_S8_S8_S8_S8_S8_EEEEZNS1_11reduce_implILb0ES3_PS9_SC_S9_NS6_11hip_rocprim9__extrema9arg_max_fIilNS6_4lessIiEEEEEE10hipError_tPvRmT1_T2_T3_mT4_P12ihipStream_tbEUlT_E0_NS1_11comp_targetILNS1_3genE10ELNS1_11target_archE1200ELNS1_3gpuE4ELNS1_3repE0EEENS1_30default_config_static_selectorELNS0_4arch9wavefront6targetE1EEEvSM_,comdat
.Lfunc_end186:
	.size	_ZN7rocprim17ROCPRIM_400000_NS6detail17trampoline_kernelINS0_14default_configENS1_22reduce_config_selectorIN6thrust23THRUST_200600_302600_NS5tupleIilNS6_9null_typeES8_S8_S8_S8_S8_S8_S8_EEEEZNS1_11reduce_implILb0ES3_PS9_SC_S9_NS6_11hip_rocprim9__extrema9arg_max_fIilNS6_4lessIiEEEEEE10hipError_tPvRmT1_T2_T3_mT4_P12ihipStream_tbEUlT_E0_NS1_11comp_targetILNS1_3genE10ELNS1_11target_archE1200ELNS1_3gpuE4ELNS1_3repE0EEENS1_30default_config_static_selectorELNS0_4arch9wavefront6targetE1EEEvSM_, .Lfunc_end186-_ZN7rocprim17ROCPRIM_400000_NS6detail17trampoline_kernelINS0_14default_configENS1_22reduce_config_selectorIN6thrust23THRUST_200600_302600_NS5tupleIilNS6_9null_typeES8_S8_S8_S8_S8_S8_S8_EEEEZNS1_11reduce_implILb0ES3_PS9_SC_S9_NS6_11hip_rocprim9__extrema9arg_max_fIilNS6_4lessIiEEEEEE10hipError_tPvRmT1_T2_T3_mT4_P12ihipStream_tbEUlT_E0_NS1_11comp_targetILNS1_3genE10ELNS1_11target_archE1200ELNS1_3gpuE4ELNS1_3repE0EEENS1_30default_config_static_selectorELNS0_4arch9wavefront6targetE1EEEvSM_
                                        ; -- End function
	.section	.AMDGPU.csdata,"",@progbits
; Kernel info:
; codeLenInByte = 0
; NumSgprs: 4
; NumVgprs: 0
; NumAgprs: 0
; TotalNumVgprs: 0
; ScratchSize: 0
; MemoryBound: 0
; FloatMode: 240
; IeeeMode: 1
; LDSByteSize: 0 bytes/workgroup (compile time only)
; SGPRBlocks: 0
; VGPRBlocks: 0
; NumSGPRsForWavesPerEU: 4
; NumVGPRsForWavesPerEU: 1
; AccumOffset: 4
; Occupancy: 8
; WaveLimiterHint : 0
; COMPUTE_PGM_RSRC2:SCRATCH_EN: 0
; COMPUTE_PGM_RSRC2:USER_SGPR: 6
; COMPUTE_PGM_RSRC2:TRAP_HANDLER: 0
; COMPUTE_PGM_RSRC2:TGID_X_EN: 1
; COMPUTE_PGM_RSRC2:TGID_Y_EN: 0
; COMPUTE_PGM_RSRC2:TGID_Z_EN: 0
; COMPUTE_PGM_RSRC2:TIDIG_COMP_CNT: 0
; COMPUTE_PGM_RSRC3_GFX90A:ACCUM_OFFSET: 0
; COMPUTE_PGM_RSRC3_GFX90A:TG_SPLIT: 0
	.section	.text._ZN7rocprim17ROCPRIM_400000_NS6detail17trampoline_kernelINS0_14default_configENS1_22reduce_config_selectorIN6thrust23THRUST_200600_302600_NS5tupleIilNS6_9null_typeES8_S8_S8_S8_S8_S8_S8_EEEEZNS1_11reduce_implILb0ES3_PS9_SC_S9_NS6_11hip_rocprim9__extrema9arg_max_fIilNS6_4lessIiEEEEEE10hipError_tPvRmT1_T2_T3_mT4_P12ihipStream_tbEUlT_E0_NS1_11comp_targetILNS1_3genE9ELNS1_11target_archE1100ELNS1_3gpuE3ELNS1_3repE0EEENS1_30default_config_static_selectorELNS0_4arch9wavefront6targetE1EEEvSM_,"axG",@progbits,_ZN7rocprim17ROCPRIM_400000_NS6detail17trampoline_kernelINS0_14default_configENS1_22reduce_config_selectorIN6thrust23THRUST_200600_302600_NS5tupleIilNS6_9null_typeES8_S8_S8_S8_S8_S8_S8_EEEEZNS1_11reduce_implILb0ES3_PS9_SC_S9_NS6_11hip_rocprim9__extrema9arg_max_fIilNS6_4lessIiEEEEEE10hipError_tPvRmT1_T2_T3_mT4_P12ihipStream_tbEUlT_E0_NS1_11comp_targetILNS1_3genE9ELNS1_11target_archE1100ELNS1_3gpuE3ELNS1_3repE0EEENS1_30default_config_static_selectorELNS0_4arch9wavefront6targetE1EEEvSM_,comdat
	.protected	_ZN7rocprim17ROCPRIM_400000_NS6detail17trampoline_kernelINS0_14default_configENS1_22reduce_config_selectorIN6thrust23THRUST_200600_302600_NS5tupleIilNS6_9null_typeES8_S8_S8_S8_S8_S8_S8_EEEEZNS1_11reduce_implILb0ES3_PS9_SC_S9_NS6_11hip_rocprim9__extrema9arg_max_fIilNS6_4lessIiEEEEEE10hipError_tPvRmT1_T2_T3_mT4_P12ihipStream_tbEUlT_E0_NS1_11comp_targetILNS1_3genE9ELNS1_11target_archE1100ELNS1_3gpuE3ELNS1_3repE0EEENS1_30default_config_static_selectorELNS0_4arch9wavefront6targetE1EEEvSM_ ; -- Begin function _ZN7rocprim17ROCPRIM_400000_NS6detail17trampoline_kernelINS0_14default_configENS1_22reduce_config_selectorIN6thrust23THRUST_200600_302600_NS5tupleIilNS6_9null_typeES8_S8_S8_S8_S8_S8_S8_EEEEZNS1_11reduce_implILb0ES3_PS9_SC_S9_NS6_11hip_rocprim9__extrema9arg_max_fIilNS6_4lessIiEEEEEE10hipError_tPvRmT1_T2_T3_mT4_P12ihipStream_tbEUlT_E0_NS1_11comp_targetILNS1_3genE9ELNS1_11target_archE1100ELNS1_3gpuE3ELNS1_3repE0EEENS1_30default_config_static_selectorELNS0_4arch9wavefront6targetE1EEEvSM_
	.globl	_ZN7rocprim17ROCPRIM_400000_NS6detail17trampoline_kernelINS0_14default_configENS1_22reduce_config_selectorIN6thrust23THRUST_200600_302600_NS5tupleIilNS6_9null_typeES8_S8_S8_S8_S8_S8_S8_EEEEZNS1_11reduce_implILb0ES3_PS9_SC_S9_NS6_11hip_rocprim9__extrema9arg_max_fIilNS6_4lessIiEEEEEE10hipError_tPvRmT1_T2_T3_mT4_P12ihipStream_tbEUlT_E0_NS1_11comp_targetILNS1_3genE9ELNS1_11target_archE1100ELNS1_3gpuE3ELNS1_3repE0EEENS1_30default_config_static_selectorELNS0_4arch9wavefront6targetE1EEEvSM_
	.p2align	8
	.type	_ZN7rocprim17ROCPRIM_400000_NS6detail17trampoline_kernelINS0_14default_configENS1_22reduce_config_selectorIN6thrust23THRUST_200600_302600_NS5tupleIilNS6_9null_typeES8_S8_S8_S8_S8_S8_S8_EEEEZNS1_11reduce_implILb0ES3_PS9_SC_S9_NS6_11hip_rocprim9__extrema9arg_max_fIilNS6_4lessIiEEEEEE10hipError_tPvRmT1_T2_T3_mT4_P12ihipStream_tbEUlT_E0_NS1_11comp_targetILNS1_3genE9ELNS1_11target_archE1100ELNS1_3gpuE3ELNS1_3repE0EEENS1_30default_config_static_selectorELNS0_4arch9wavefront6targetE1EEEvSM_,@function
_ZN7rocprim17ROCPRIM_400000_NS6detail17trampoline_kernelINS0_14default_configENS1_22reduce_config_selectorIN6thrust23THRUST_200600_302600_NS5tupleIilNS6_9null_typeES8_S8_S8_S8_S8_S8_S8_EEEEZNS1_11reduce_implILb0ES3_PS9_SC_S9_NS6_11hip_rocprim9__extrema9arg_max_fIilNS6_4lessIiEEEEEE10hipError_tPvRmT1_T2_T3_mT4_P12ihipStream_tbEUlT_E0_NS1_11comp_targetILNS1_3genE9ELNS1_11target_archE1100ELNS1_3gpuE3ELNS1_3repE0EEENS1_30default_config_static_selectorELNS0_4arch9wavefront6targetE1EEEvSM_: ; @_ZN7rocprim17ROCPRIM_400000_NS6detail17trampoline_kernelINS0_14default_configENS1_22reduce_config_selectorIN6thrust23THRUST_200600_302600_NS5tupleIilNS6_9null_typeES8_S8_S8_S8_S8_S8_S8_EEEEZNS1_11reduce_implILb0ES3_PS9_SC_S9_NS6_11hip_rocprim9__extrema9arg_max_fIilNS6_4lessIiEEEEEE10hipError_tPvRmT1_T2_T3_mT4_P12ihipStream_tbEUlT_E0_NS1_11comp_targetILNS1_3genE9ELNS1_11target_archE1100ELNS1_3gpuE3ELNS1_3repE0EEENS1_30default_config_static_selectorELNS0_4arch9wavefront6targetE1EEEvSM_
; %bb.0:
	.section	.rodata,"a",@progbits
	.p2align	6, 0x0
	.amdhsa_kernel _ZN7rocprim17ROCPRIM_400000_NS6detail17trampoline_kernelINS0_14default_configENS1_22reduce_config_selectorIN6thrust23THRUST_200600_302600_NS5tupleIilNS6_9null_typeES8_S8_S8_S8_S8_S8_S8_EEEEZNS1_11reduce_implILb0ES3_PS9_SC_S9_NS6_11hip_rocprim9__extrema9arg_max_fIilNS6_4lessIiEEEEEE10hipError_tPvRmT1_T2_T3_mT4_P12ihipStream_tbEUlT_E0_NS1_11comp_targetILNS1_3genE9ELNS1_11target_archE1100ELNS1_3gpuE3ELNS1_3repE0EEENS1_30default_config_static_selectorELNS0_4arch9wavefront6targetE1EEEvSM_
		.amdhsa_group_segment_fixed_size 0
		.amdhsa_private_segment_fixed_size 0
		.amdhsa_kernarg_size 72
		.amdhsa_user_sgpr_count 6
		.amdhsa_user_sgpr_private_segment_buffer 1
		.amdhsa_user_sgpr_dispatch_ptr 0
		.amdhsa_user_sgpr_queue_ptr 0
		.amdhsa_user_sgpr_kernarg_segment_ptr 1
		.amdhsa_user_sgpr_dispatch_id 0
		.amdhsa_user_sgpr_flat_scratch_init 0
		.amdhsa_user_sgpr_kernarg_preload_length 0
		.amdhsa_user_sgpr_kernarg_preload_offset 0
		.amdhsa_user_sgpr_private_segment_size 0
		.amdhsa_uses_dynamic_stack 0
		.amdhsa_system_sgpr_private_segment_wavefront_offset 0
		.amdhsa_system_sgpr_workgroup_id_x 1
		.amdhsa_system_sgpr_workgroup_id_y 0
		.amdhsa_system_sgpr_workgroup_id_z 0
		.amdhsa_system_sgpr_workgroup_info 0
		.amdhsa_system_vgpr_workitem_id 0
		.amdhsa_next_free_vgpr 1
		.amdhsa_next_free_sgpr 0
		.amdhsa_accum_offset 4
		.amdhsa_reserve_vcc 0
		.amdhsa_reserve_flat_scratch 0
		.amdhsa_float_round_mode_32 0
		.amdhsa_float_round_mode_16_64 0
		.amdhsa_float_denorm_mode_32 3
		.amdhsa_float_denorm_mode_16_64 3
		.amdhsa_dx10_clamp 1
		.amdhsa_ieee_mode 1
		.amdhsa_fp16_overflow 0
		.amdhsa_tg_split 0
		.amdhsa_exception_fp_ieee_invalid_op 0
		.amdhsa_exception_fp_denorm_src 0
		.amdhsa_exception_fp_ieee_div_zero 0
		.amdhsa_exception_fp_ieee_overflow 0
		.amdhsa_exception_fp_ieee_underflow 0
		.amdhsa_exception_fp_ieee_inexact 0
		.amdhsa_exception_int_div_zero 0
	.end_amdhsa_kernel
	.section	.text._ZN7rocprim17ROCPRIM_400000_NS6detail17trampoline_kernelINS0_14default_configENS1_22reduce_config_selectorIN6thrust23THRUST_200600_302600_NS5tupleIilNS6_9null_typeES8_S8_S8_S8_S8_S8_S8_EEEEZNS1_11reduce_implILb0ES3_PS9_SC_S9_NS6_11hip_rocprim9__extrema9arg_max_fIilNS6_4lessIiEEEEEE10hipError_tPvRmT1_T2_T3_mT4_P12ihipStream_tbEUlT_E0_NS1_11comp_targetILNS1_3genE9ELNS1_11target_archE1100ELNS1_3gpuE3ELNS1_3repE0EEENS1_30default_config_static_selectorELNS0_4arch9wavefront6targetE1EEEvSM_,"axG",@progbits,_ZN7rocprim17ROCPRIM_400000_NS6detail17trampoline_kernelINS0_14default_configENS1_22reduce_config_selectorIN6thrust23THRUST_200600_302600_NS5tupleIilNS6_9null_typeES8_S8_S8_S8_S8_S8_S8_EEEEZNS1_11reduce_implILb0ES3_PS9_SC_S9_NS6_11hip_rocprim9__extrema9arg_max_fIilNS6_4lessIiEEEEEE10hipError_tPvRmT1_T2_T3_mT4_P12ihipStream_tbEUlT_E0_NS1_11comp_targetILNS1_3genE9ELNS1_11target_archE1100ELNS1_3gpuE3ELNS1_3repE0EEENS1_30default_config_static_selectorELNS0_4arch9wavefront6targetE1EEEvSM_,comdat
.Lfunc_end187:
	.size	_ZN7rocprim17ROCPRIM_400000_NS6detail17trampoline_kernelINS0_14default_configENS1_22reduce_config_selectorIN6thrust23THRUST_200600_302600_NS5tupleIilNS6_9null_typeES8_S8_S8_S8_S8_S8_S8_EEEEZNS1_11reduce_implILb0ES3_PS9_SC_S9_NS6_11hip_rocprim9__extrema9arg_max_fIilNS6_4lessIiEEEEEE10hipError_tPvRmT1_T2_T3_mT4_P12ihipStream_tbEUlT_E0_NS1_11comp_targetILNS1_3genE9ELNS1_11target_archE1100ELNS1_3gpuE3ELNS1_3repE0EEENS1_30default_config_static_selectorELNS0_4arch9wavefront6targetE1EEEvSM_, .Lfunc_end187-_ZN7rocprim17ROCPRIM_400000_NS6detail17trampoline_kernelINS0_14default_configENS1_22reduce_config_selectorIN6thrust23THRUST_200600_302600_NS5tupleIilNS6_9null_typeES8_S8_S8_S8_S8_S8_S8_EEEEZNS1_11reduce_implILb0ES3_PS9_SC_S9_NS6_11hip_rocprim9__extrema9arg_max_fIilNS6_4lessIiEEEEEE10hipError_tPvRmT1_T2_T3_mT4_P12ihipStream_tbEUlT_E0_NS1_11comp_targetILNS1_3genE9ELNS1_11target_archE1100ELNS1_3gpuE3ELNS1_3repE0EEENS1_30default_config_static_selectorELNS0_4arch9wavefront6targetE1EEEvSM_
                                        ; -- End function
	.section	.AMDGPU.csdata,"",@progbits
; Kernel info:
; codeLenInByte = 0
; NumSgprs: 4
; NumVgprs: 0
; NumAgprs: 0
; TotalNumVgprs: 0
; ScratchSize: 0
; MemoryBound: 0
; FloatMode: 240
; IeeeMode: 1
; LDSByteSize: 0 bytes/workgroup (compile time only)
; SGPRBlocks: 0
; VGPRBlocks: 0
; NumSGPRsForWavesPerEU: 4
; NumVGPRsForWavesPerEU: 1
; AccumOffset: 4
; Occupancy: 8
; WaveLimiterHint : 0
; COMPUTE_PGM_RSRC2:SCRATCH_EN: 0
; COMPUTE_PGM_RSRC2:USER_SGPR: 6
; COMPUTE_PGM_RSRC2:TRAP_HANDLER: 0
; COMPUTE_PGM_RSRC2:TGID_X_EN: 1
; COMPUTE_PGM_RSRC2:TGID_Y_EN: 0
; COMPUTE_PGM_RSRC2:TGID_Z_EN: 0
; COMPUTE_PGM_RSRC2:TIDIG_COMP_CNT: 0
; COMPUTE_PGM_RSRC3_GFX90A:ACCUM_OFFSET: 0
; COMPUTE_PGM_RSRC3_GFX90A:TG_SPLIT: 0
	.section	.text._ZN7rocprim17ROCPRIM_400000_NS6detail17trampoline_kernelINS0_14default_configENS1_22reduce_config_selectorIN6thrust23THRUST_200600_302600_NS5tupleIilNS6_9null_typeES8_S8_S8_S8_S8_S8_S8_EEEEZNS1_11reduce_implILb0ES3_PS9_SC_S9_NS6_11hip_rocprim9__extrema9arg_max_fIilNS6_4lessIiEEEEEE10hipError_tPvRmT1_T2_T3_mT4_P12ihipStream_tbEUlT_E0_NS1_11comp_targetILNS1_3genE8ELNS1_11target_archE1030ELNS1_3gpuE2ELNS1_3repE0EEENS1_30default_config_static_selectorELNS0_4arch9wavefront6targetE1EEEvSM_,"axG",@progbits,_ZN7rocprim17ROCPRIM_400000_NS6detail17trampoline_kernelINS0_14default_configENS1_22reduce_config_selectorIN6thrust23THRUST_200600_302600_NS5tupleIilNS6_9null_typeES8_S8_S8_S8_S8_S8_S8_EEEEZNS1_11reduce_implILb0ES3_PS9_SC_S9_NS6_11hip_rocprim9__extrema9arg_max_fIilNS6_4lessIiEEEEEE10hipError_tPvRmT1_T2_T3_mT4_P12ihipStream_tbEUlT_E0_NS1_11comp_targetILNS1_3genE8ELNS1_11target_archE1030ELNS1_3gpuE2ELNS1_3repE0EEENS1_30default_config_static_selectorELNS0_4arch9wavefront6targetE1EEEvSM_,comdat
	.protected	_ZN7rocprim17ROCPRIM_400000_NS6detail17trampoline_kernelINS0_14default_configENS1_22reduce_config_selectorIN6thrust23THRUST_200600_302600_NS5tupleIilNS6_9null_typeES8_S8_S8_S8_S8_S8_S8_EEEEZNS1_11reduce_implILb0ES3_PS9_SC_S9_NS6_11hip_rocprim9__extrema9arg_max_fIilNS6_4lessIiEEEEEE10hipError_tPvRmT1_T2_T3_mT4_P12ihipStream_tbEUlT_E0_NS1_11comp_targetILNS1_3genE8ELNS1_11target_archE1030ELNS1_3gpuE2ELNS1_3repE0EEENS1_30default_config_static_selectorELNS0_4arch9wavefront6targetE1EEEvSM_ ; -- Begin function _ZN7rocprim17ROCPRIM_400000_NS6detail17trampoline_kernelINS0_14default_configENS1_22reduce_config_selectorIN6thrust23THRUST_200600_302600_NS5tupleIilNS6_9null_typeES8_S8_S8_S8_S8_S8_S8_EEEEZNS1_11reduce_implILb0ES3_PS9_SC_S9_NS6_11hip_rocprim9__extrema9arg_max_fIilNS6_4lessIiEEEEEE10hipError_tPvRmT1_T2_T3_mT4_P12ihipStream_tbEUlT_E0_NS1_11comp_targetILNS1_3genE8ELNS1_11target_archE1030ELNS1_3gpuE2ELNS1_3repE0EEENS1_30default_config_static_selectorELNS0_4arch9wavefront6targetE1EEEvSM_
	.globl	_ZN7rocprim17ROCPRIM_400000_NS6detail17trampoline_kernelINS0_14default_configENS1_22reduce_config_selectorIN6thrust23THRUST_200600_302600_NS5tupleIilNS6_9null_typeES8_S8_S8_S8_S8_S8_S8_EEEEZNS1_11reduce_implILb0ES3_PS9_SC_S9_NS6_11hip_rocprim9__extrema9arg_max_fIilNS6_4lessIiEEEEEE10hipError_tPvRmT1_T2_T3_mT4_P12ihipStream_tbEUlT_E0_NS1_11comp_targetILNS1_3genE8ELNS1_11target_archE1030ELNS1_3gpuE2ELNS1_3repE0EEENS1_30default_config_static_selectorELNS0_4arch9wavefront6targetE1EEEvSM_
	.p2align	8
	.type	_ZN7rocprim17ROCPRIM_400000_NS6detail17trampoline_kernelINS0_14default_configENS1_22reduce_config_selectorIN6thrust23THRUST_200600_302600_NS5tupleIilNS6_9null_typeES8_S8_S8_S8_S8_S8_S8_EEEEZNS1_11reduce_implILb0ES3_PS9_SC_S9_NS6_11hip_rocprim9__extrema9arg_max_fIilNS6_4lessIiEEEEEE10hipError_tPvRmT1_T2_T3_mT4_P12ihipStream_tbEUlT_E0_NS1_11comp_targetILNS1_3genE8ELNS1_11target_archE1030ELNS1_3gpuE2ELNS1_3repE0EEENS1_30default_config_static_selectorELNS0_4arch9wavefront6targetE1EEEvSM_,@function
_ZN7rocprim17ROCPRIM_400000_NS6detail17trampoline_kernelINS0_14default_configENS1_22reduce_config_selectorIN6thrust23THRUST_200600_302600_NS5tupleIilNS6_9null_typeES8_S8_S8_S8_S8_S8_S8_EEEEZNS1_11reduce_implILb0ES3_PS9_SC_S9_NS6_11hip_rocprim9__extrema9arg_max_fIilNS6_4lessIiEEEEEE10hipError_tPvRmT1_T2_T3_mT4_P12ihipStream_tbEUlT_E0_NS1_11comp_targetILNS1_3genE8ELNS1_11target_archE1030ELNS1_3gpuE2ELNS1_3repE0EEENS1_30default_config_static_selectorELNS0_4arch9wavefront6targetE1EEEvSM_: ; @_ZN7rocprim17ROCPRIM_400000_NS6detail17trampoline_kernelINS0_14default_configENS1_22reduce_config_selectorIN6thrust23THRUST_200600_302600_NS5tupleIilNS6_9null_typeES8_S8_S8_S8_S8_S8_S8_EEEEZNS1_11reduce_implILb0ES3_PS9_SC_S9_NS6_11hip_rocprim9__extrema9arg_max_fIilNS6_4lessIiEEEEEE10hipError_tPvRmT1_T2_T3_mT4_P12ihipStream_tbEUlT_E0_NS1_11comp_targetILNS1_3genE8ELNS1_11target_archE1030ELNS1_3gpuE2ELNS1_3repE0EEENS1_30default_config_static_selectorELNS0_4arch9wavefront6targetE1EEEvSM_
; %bb.0:
	.section	.rodata,"a",@progbits
	.p2align	6, 0x0
	.amdhsa_kernel _ZN7rocprim17ROCPRIM_400000_NS6detail17trampoline_kernelINS0_14default_configENS1_22reduce_config_selectorIN6thrust23THRUST_200600_302600_NS5tupleIilNS6_9null_typeES8_S8_S8_S8_S8_S8_S8_EEEEZNS1_11reduce_implILb0ES3_PS9_SC_S9_NS6_11hip_rocprim9__extrema9arg_max_fIilNS6_4lessIiEEEEEE10hipError_tPvRmT1_T2_T3_mT4_P12ihipStream_tbEUlT_E0_NS1_11comp_targetILNS1_3genE8ELNS1_11target_archE1030ELNS1_3gpuE2ELNS1_3repE0EEENS1_30default_config_static_selectorELNS0_4arch9wavefront6targetE1EEEvSM_
		.amdhsa_group_segment_fixed_size 0
		.amdhsa_private_segment_fixed_size 0
		.amdhsa_kernarg_size 72
		.amdhsa_user_sgpr_count 6
		.amdhsa_user_sgpr_private_segment_buffer 1
		.amdhsa_user_sgpr_dispatch_ptr 0
		.amdhsa_user_sgpr_queue_ptr 0
		.amdhsa_user_sgpr_kernarg_segment_ptr 1
		.amdhsa_user_sgpr_dispatch_id 0
		.amdhsa_user_sgpr_flat_scratch_init 0
		.amdhsa_user_sgpr_kernarg_preload_length 0
		.amdhsa_user_sgpr_kernarg_preload_offset 0
		.amdhsa_user_sgpr_private_segment_size 0
		.amdhsa_uses_dynamic_stack 0
		.amdhsa_system_sgpr_private_segment_wavefront_offset 0
		.amdhsa_system_sgpr_workgroup_id_x 1
		.amdhsa_system_sgpr_workgroup_id_y 0
		.amdhsa_system_sgpr_workgroup_id_z 0
		.amdhsa_system_sgpr_workgroup_info 0
		.amdhsa_system_vgpr_workitem_id 0
		.amdhsa_next_free_vgpr 1
		.amdhsa_next_free_sgpr 0
		.amdhsa_accum_offset 4
		.amdhsa_reserve_vcc 0
		.amdhsa_reserve_flat_scratch 0
		.amdhsa_float_round_mode_32 0
		.amdhsa_float_round_mode_16_64 0
		.amdhsa_float_denorm_mode_32 3
		.amdhsa_float_denorm_mode_16_64 3
		.amdhsa_dx10_clamp 1
		.amdhsa_ieee_mode 1
		.amdhsa_fp16_overflow 0
		.amdhsa_tg_split 0
		.amdhsa_exception_fp_ieee_invalid_op 0
		.amdhsa_exception_fp_denorm_src 0
		.amdhsa_exception_fp_ieee_div_zero 0
		.amdhsa_exception_fp_ieee_overflow 0
		.amdhsa_exception_fp_ieee_underflow 0
		.amdhsa_exception_fp_ieee_inexact 0
		.amdhsa_exception_int_div_zero 0
	.end_amdhsa_kernel
	.section	.text._ZN7rocprim17ROCPRIM_400000_NS6detail17trampoline_kernelINS0_14default_configENS1_22reduce_config_selectorIN6thrust23THRUST_200600_302600_NS5tupleIilNS6_9null_typeES8_S8_S8_S8_S8_S8_S8_EEEEZNS1_11reduce_implILb0ES3_PS9_SC_S9_NS6_11hip_rocprim9__extrema9arg_max_fIilNS6_4lessIiEEEEEE10hipError_tPvRmT1_T2_T3_mT4_P12ihipStream_tbEUlT_E0_NS1_11comp_targetILNS1_3genE8ELNS1_11target_archE1030ELNS1_3gpuE2ELNS1_3repE0EEENS1_30default_config_static_selectorELNS0_4arch9wavefront6targetE1EEEvSM_,"axG",@progbits,_ZN7rocprim17ROCPRIM_400000_NS6detail17trampoline_kernelINS0_14default_configENS1_22reduce_config_selectorIN6thrust23THRUST_200600_302600_NS5tupleIilNS6_9null_typeES8_S8_S8_S8_S8_S8_S8_EEEEZNS1_11reduce_implILb0ES3_PS9_SC_S9_NS6_11hip_rocprim9__extrema9arg_max_fIilNS6_4lessIiEEEEEE10hipError_tPvRmT1_T2_T3_mT4_P12ihipStream_tbEUlT_E0_NS1_11comp_targetILNS1_3genE8ELNS1_11target_archE1030ELNS1_3gpuE2ELNS1_3repE0EEENS1_30default_config_static_selectorELNS0_4arch9wavefront6targetE1EEEvSM_,comdat
.Lfunc_end188:
	.size	_ZN7rocprim17ROCPRIM_400000_NS6detail17trampoline_kernelINS0_14default_configENS1_22reduce_config_selectorIN6thrust23THRUST_200600_302600_NS5tupleIilNS6_9null_typeES8_S8_S8_S8_S8_S8_S8_EEEEZNS1_11reduce_implILb0ES3_PS9_SC_S9_NS6_11hip_rocprim9__extrema9arg_max_fIilNS6_4lessIiEEEEEE10hipError_tPvRmT1_T2_T3_mT4_P12ihipStream_tbEUlT_E0_NS1_11comp_targetILNS1_3genE8ELNS1_11target_archE1030ELNS1_3gpuE2ELNS1_3repE0EEENS1_30default_config_static_selectorELNS0_4arch9wavefront6targetE1EEEvSM_, .Lfunc_end188-_ZN7rocprim17ROCPRIM_400000_NS6detail17trampoline_kernelINS0_14default_configENS1_22reduce_config_selectorIN6thrust23THRUST_200600_302600_NS5tupleIilNS6_9null_typeES8_S8_S8_S8_S8_S8_S8_EEEEZNS1_11reduce_implILb0ES3_PS9_SC_S9_NS6_11hip_rocprim9__extrema9arg_max_fIilNS6_4lessIiEEEEEE10hipError_tPvRmT1_T2_T3_mT4_P12ihipStream_tbEUlT_E0_NS1_11comp_targetILNS1_3genE8ELNS1_11target_archE1030ELNS1_3gpuE2ELNS1_3repE0EEENS1_30default_config_static_selectorELNS0_4arch9wavefront6targetE1EEEvSM_
                                        ; -- End function
	.section	.AMDGPU.csdata,"",@progbits
; Kernel info:
; codeLenInByte = 0
; NumSgprs: 4
; NumVgprs: 0
; NumAgprs: 0
; TotalNumVgprs: 0
; ScratchSize: 0
; MemoryBound: 0
; FloatMode: 240
; IeeeMode: 1
; LDSByteSize: 0 bytes/workgroup (compile time only)
; SGPRBlocks: 0
; VGPRBlocks: 0
; NumSGPRsForWavesPerEU: 4
; NumVGPRsForWavesPerEU: 1
; AccumOffset: 4
; Occupancy: 8
; WaveLimiterHint : 0
; COMPUTE_PGM_RSRC2:SCRATCH_EN: 0
; COMPUTE_PGM_RSRC2:USER_SGPR: 6
; COMPUTE_PGM_RSRC2:TRAP_HANDLER: 0
; COMPUTE_PGM_RSRC2:TGID_X_EN: 1
; COMPUTE_PGM_RSRC2:TGID_Y_EN: 0
; COMPUTE_PGM_RSRC2:TGID_Z_EN: 0
; COMPUTE_PGM_RSRC2:TIDIG_COMP_CNT: 0
; COMPUTE_PGM_RSRC3_GFX90A:ACCUM_OFFSET: 0
; COMPUTE_PGM_RSRC3_GFX90A:TG_SPLIT: 0
	.section	.text._ZN7rocprim17ROCPRIM_400000_NS6detail17trampoline_kernelINS0_14default_configENS1_22reduce_config_selectorIN6thrust23THRUST_200600_302600_NS5tupleIilNS6_9null_typeES8_S8_S8_S8_S8_S8_S8_EEEEZNS1_11reduce_implILb0ES3_PS9_SC_S9_NS6_11hip_rocprim9__extrema9arg_max_fIilNS6_4lessIiEEEEEE10hipError_tPvRmT1_T2_T3_mT4_P12ihipStream_tbEUlT_E1_NS1_11comp_targetILNS1_3genE0ELNS1_11target_archE4294967295ELNS1_3gpuE0ELNS1_3repE0EEENS1_30default_config_static_selectorELNS0_4arch9wavefront6targetE1EEEvSM_,"axG",@progbits,_ZN7rocprim17ROCPRIM_400000_NS6detail17trampoline_kernelINS0_14default_configENS1_22reduce_config_selectorIN6thrust23THRUST_200600_302600_NS5tupleIilNS6_9null_typeES8_S8_S8_S8_S8_S8_S8_EEEEZNS1_11reduce_implILb0ES3_PS9_SC_S9_NS6_11hip_rocprim9__extrema9arg_max_fIilNS6_4lessIiEEEEEE10hipError_tPvRmT1_T2_T3_mT4_P12ihipStream_tbEUlT_E1_NS1_11comp_targetILNS1_3genE0ELNS1_11target_archE4294967295ELNS1_3gpuE0ELNS1_3repE0EEENS1_30default_config_static_selectorELNS0_4arch9wavefront6targetE1EEEvSM_,comdat
	.protected	_ZN7rocprim17ROCPRIM_400000_NS6detail17trampoline_kernelINS0_14default_configENS1_22reduce_config_selectorIN6thrust23THRUST_200600_302600_NS5tupleIilNS6_9null_typeES8_S8_S8_S8_S8_S8_S8_EEEEZNS1_11reduce_implILb0ES3_PS9_SC_S9_NS6_11hip_rocprim9__extrema9arg_max_fIilNS6_4lessIiEEEEEE10hipError_tPvRmT1_T2_T3_mT4_P12ihipStream_tbEUlT_E1_NS1_11comp_targetILNS1_3genE0ELNS1_11target_archE4294967295ELNS1_3gpuE0ELNS1_3repE0EEENS1_30default_config_static_selectorELNS0_4arch9wavefront6targetE1EEEvSM_ ; -- Begin function _ZN7rocprim17ROCPRIM_400000_NS6detail17trampoline_kernelINS0_14default_configENS1_22reduce_config_selectorIN6thrust23THRUST_200600_302600_NS5tupleIilNS6_9null_typeES8_S8_S8_S8_S8_S8_S8_EEEEZNS1_11reduce_implILb0ES3_PS9_SC_S9_NS6_11hip_rocprim9__extrema9arg_max_fIilNS6_4lessIiEEEEEE10hipError_tPvRmT1_T2_T3_mT4_P12ihipStream_tbEUlT_E1_NS1_11comp_targetILNS1_3genE0ELNS1_11target_archE4294967295ELNS1_3gpuE0ELNS1_3repE0EEENS1_30default_config_static_selectorELNS0_4arch9wavefront6targetE1EEEvSM_
	.globl	_ZN7rocprim17ROCPRIM_400000_NS6detail17trampoline_kernelINS0_14default_configENS1_22reduce_config_selectorIN6thrust23THRUST_200600_302600_NS5tupleIilNS6_9null_typeES8_S8_S8_S8_S8_S8_S8_EEEEZNS1_11reduce_implILb0ES3_PS9_SC_S9_NS6_11hip_rocprim9__extrema9arg_max_fIilNS6_4lessIiEEEEEE10hipError_tPvRmT1_T2_T3_mT4_P12ihipStream_tbEUlT_E1_NS1_11comp_targetILNS1_3genE0ELNS1_11target_archE4294967295ELNS1_3gpuE0ELNS1_3repE0EEENS1_30default_config_static_selectorELNS0_4arch9wavefront6targetE1EEEvSM_
	.p2align	8
	.type	_ZN7rocprim17ROCPRIM_400000_NS6detail17trampoline_kernelINS0_14default_configENS1_22reduce_config_selectorIN6thrust23THRUST_200600_302600_NS5tupleIilNS6_9null_typeES8_S8_S8_S8_S8_S8_S8_EEEEZNS1_11reduce_implILb0ES3_PS9_SC_S9_NS6_11hip_rocprim9__extrema9arg_max_fIilNS6_4lessIiEEEEEE10hipError_tPvRmT1_T2_T3_mT4_P12ihipStream_tbEUlT_E1_NS1_11comp_targetILNS1_3genE0ELNS1_11target_archE4294967295ELNS1_3gpuE0ELNS1_3repE0EEENS1_30default_config_static_selectorELNS0_4arch9wavefront6targetE1EEEvSM_,@function
_ZN7rocprim17ROCPRIM_400000_NS6detail17trampoline_kernelINS0_14default_configENS1_22reduce_config_selectorIN6thrust23THRUST_200600_302600_NS5tupleIilNS6_9null_typeES8_S8_S8_S8_S8_S8_S8_EEEEZNS1_11reduce_implILb0ES3_PS9_SC_S9_NS6_11hip_rocprim9__extrema9arg_max_fIilNS6_4lessIiEEEEEE10hipError_tPvRmT1_T2_T3_mT4_P12ihipStream_tbEUlT_E1_NS1_11comp_targetILNS1_3genE0ELNS1_11target_archE4294967295ELNS1_3gpuE0ELNS1_3repE0EEENS1_30default_config_static_selectorELNS0_4arch9wavefront6targetE1EEEvSM_: ; @_ZN7rocprim17ROCPRIM_400000_NS6detail17trampoline_kernelINS0_14default_configENS1_22reduce_config_selectorIN6thrust23THRUST_200600_302600_NS5tupleIilNS6_9null_typeES8_S8_S8_S8_S8_S8_S8_EEEEZNS1_11reduce_implILb0ES3_PS9_SC_S9_NS6_11hip_rocprim9__extrema9arg_max_fIilNS6_4lessIiEEEEEE10hipError_tPvRmT1_T2_T3_mT4_P12ihipStream_tbEUlT_E1_NS1_11comp_targetILNS1_3genE0ELNS1_11target_archE4294967295ELNS1_3gpuE0ELNS1_3repE0EEENS1_30default_config_static_selectorELNS0_4arch9wavefront6targetE1EEEvSM_
; %bb.0:
	.section	.rodata,"a",@progbits
	.p2align	6, 0x0
	.amdhsa_kernel _ZN7rocprim17ROCPRIM_400000_NS6detail17trampoline_kernelINS0_14default_configENS1_22reduce_config_selectorIN6thrust23THRUST_200600_302600_NS5tupleIilNS6_9null_typeES8_S8_S8_S8_S8_S8_S8_EEEEZNS1_11reduce_implILb0ES3_PS9_SC_S9_NS6_11hip_rocprim9__extrema9arg_max_fIilNS6_4lessIiEEEEEE10hipError_tPvRmT1_T2_T3_mT4_P12ihipStream_tbEUlT_E1_NS1_11comp_targetILNS1_3genE0ELNS1_11target_archE4294967295ELNS1_3gpuE0ELNS1_3repE0EEENS1_30default_config_static_selectorELNS0_4arch9wavefront6targetE1EEEvSM_
		.amdhsa_group_segment_fixed_size 0
		.amdhsa_private_segment_fixed_size 0
		.amdhsa_kernarg_size 56
		.amdhsa_user_sgpr_count 6
		.amdhsa_user_sgpr_private_segment_buffer 1
		.amdhsa_user_sgpr_dispatch_ptr 0
		.amdhsa_user_sgpr_queue_ptr 0
		.amdhsa_user_sgpr_kernarg_segment_ptr 1
		.amdhsa_user_sgpr_dispatch_id 0
		.amdhsa_user_sgpr_flat_scratch_init 0
		.amdhsa_user_sgpr_kernarg_preload_length 0
		.amdhsa_user_sgpr_kernarg_preload_offset 0
		.amdhsa_user_sgpr_private_segment_size 0
		.amdhsa_uses_dynamic_stack 0
		.amdhsa_system_sgpr_private_segment_wavefront_offset 0
		.amdhsa_system_sgpr_workgroup_id_x 1
		.amdhsa_system_sgpr_workgroup_id_y 0
		.amdhsa_system_sgpr_workgroup_id_z 0
		.amdhsa_system_sgpr_workgroup_info 0
		.amdhsa_system_vgpr_workitem_id 0
		.amdhsa_next_free_vgpr 1
		.amdhsa_next_free_sgpr 0
		.amdhsa_accum_offset 4
		.amdhsa_reserve_vcc 0
		.amdhsa_reserve_flat_scratch 0
		.amdhsa_float_round_mode_32 0
		.amdhsa_float_round_mode_16_64 0
		.amdhsa_float_denorm_mode_32 3
		.amdhsa_float_denorm_mode_16_64 3
		.amdhsa_dx10_clamp 1
		.amdhsa_ieee_mode 1
		.amdhsa_fp16_overflow 0
		.amdhsa_tg_split 0
		.amdhsa_exception_fp_ieee_invalid_op 0
		.amdhsa_exception_fp_denorm_src 0
		.amdhsa_exception_fp_ieee_div_zero 0
		.amdhsa_exception_fp_ieee_overflow 0
		.amdhsa_exception_fp_ieee_underflow 0
		.amdhsa_exception_fp_ieee_inexact 0
		.amdhsa_exception_int_div_zero 0
	.end_amdhsa_kernel
	.section	.text._ZN7rocprim17ROCPRIM_400000_NS6detail17trampoline_kernelINS0_14default_configENS1_22reduce_config_selectorIN6thrust23THRUST_200600_302600_NS5tupleIilNS6_9null_typeES8_S8_S8_S8_S8_S8_S8_EEEEZNS1_11reduce_implILb0ES3_PS9_SC_S9_NS6_11hip_rocprim9__extrema9arg_max_fIilNS6_4lessIiEEEEEE10hipError_tPvRmT1_T2_T3_mT4_P12ihipStream_tbEUlT_E1_NS1_11comp_targetILNS1_3genE0ELNS1_11target_archE4294967295ELNS1_3gpuE0ELNS1_3repE0EEENS1_30default_config_static_selectorELNS0_4arch9wavefront6targetE1EEEvSM_,"axG",@progbits,_ZN7rocprim17ROCPRIM_400000_NS6detail17trampoline_kernelINS0_14default_configENS1_22reduce_config_selectorIN6thrust23THRUST_200600_302600_NS5tupleIilNS6_9null_typeES8_S8_S8_S8_S8_S8_S8_EEEEZNS1_11reduce_implILb0ES3_PS9_SC_S9_NS6_11hip_rocprim9__extrema9arg_max_fIilNS6_4lessIiEEEEEE10hipError_tPvRmT1_T2_T3_mT4_P12ihipStream_tbEUlT_E1_NS1_11comp_targetILNS1_3genE0ELNS1_11target_archE4294967295ELNS1_3gpuE0ELNS1_3repE0EEENS1_30default_config_static_selectorELNS0_4arch9wavefront6targetE1EEEvSM_,comdat
.Lfunc_end189:
	.size	_ZN7rocprim17ROCPRIM_400000_NS6detail17trampoline_kernelINS0_14default_configENS1_22reduce_config_selectorIN6thrust23THRUST_200600_302600_NS5tupleIilNS6_9null_typeES8_S8_S8_S8_S8_S8_S8_EEEEZNS1_11reduce_implILb0ES3_PS9_SC_S9_NS6_11hip_rocprim9__extrema9arg_max_fIilNS6_4lessIiEEEEEE10hipError_tPvRmT1_T2_T3_mT4_P12ihipStream_tbEUlT_E1_NS1_11comp_targetILNS1_3genE0ELNS1_11target_archE4294967295ELNS1_3gpuE0ELNS1_3repE0EEENS1_30default_config_static_selectorELNS0_4arch9wavefront6targetE1EEEvSM_, .Lfunc_end189-_ZN7rocprim17ROCPRIM_400000_NS6detail17trampoline_kernelINS0_14default_configENS1_22reduce_config_selectorIN6thrust23THRUST_200600_302600_NS5tupleIilNS6_9null_typeES8_S8_S8_S8_S8_S8_S8_EEEEZNS1_11reduce_implILb0ES3_PS9_SC_S9_NS6_11hip_rocprim9__extrema9arg_max_fIilNS6_4lessIiEEEEEE10hipError_tPvRmT1_T2_T3_mT4_P12ihipStream_tbEUlT_E1_NS1_11comp_targetILNS1_3genE0ELNS1_11target_archE4294967295ELNS1_3gpuE0ELNS1_3repE0EEENS1_30default_config_static_selectorELNS0_4arch9wavefront6targetE1EEEvSM_
                                        ; -- End function
	.section	.AMDGPU.csdata,"",@progbits
; Kernel info:
; codeLenInByte = 0
; NumSgprs: 4
; NumVgprs: 0
; NumAgprs: 0
; TotalNumVgprs: 0
; ScratchSize: 0
; MemoryBound: 0
; FloatMode: 240
; IeeeMode: 1
; LDSByteSize: 0 bytes/workgroup (compile time only)
; SGPRBlocks: 0
; VGPRBlocks: 0
; NumSGPRsForWavesPerEU: 4
; NumVGPRsForWavesPerEU: 1
; AccumOffset: 4
; Occupancy: 8
; WaveLimiterHint : 0
; COMPUTE_PGM_RSRC2:SCRATCH_EN: 0
; COMPUTE_PGM_RSRC2:USER_SGPR: 6
; COMPUTE_PGM_RSRC2:TRAP_HANDLER: 0
; COMPUTE_PGM_RSRC2:TGID_X_EN: 1
; COMPUTE_PGM_RSRC2:TGID_Y_EN: 0
; COMPUTE_PGM_RSRC2:TGID_Z_EN: 0
; COMPUTE_PGM_RSRC2:TIDIG_COMP_CNT: 0
; COMPUTE_PGM_RSRC3_GFX90A:ACCUM_OFFSET: 0
; COMPUTE_PGM_RSRC3_GFX90A:TG_SPLIT: 0
	.section	.text._ZN7rocprim17ROCPRIM_400000_NS6detail17trampoline_kernelINS0_14default_configENS1_22reduce_config_selectorIN6thrust23THRUST_200600_302600_NS5tupleIilNS6_9null_typeES8_S8_S8_S8_S8_S8_S8_EEEEZNS1_11reduce_implILb0ES3_PS9_SC_S9_NS6_11hip_rocprim9__extrema9arg_max_fIilNS6_4lessIiEEEEEE10hipError_tPvRmT1_T2_T3_mT4_P12ihipStream_tbEUlT_E1_NS1_11comp_targetILNS1_3genE5ELNS1_11target_archE942ELNS1_3gpuE9ELNS1_3repE0EEENS1_30default_config_static_selectorELNS0_4arch9wavefront6targetE1EEEvSM_,"axG",@progbits,_ZN7rocprim17ROCPRIM_400000_NS6detail17trampoline_kernelINS0_14default_configENS1_22reduce_config_selectorIN6thrust23THRUST_200600_302600_NS5tupleIilNS6_9null_typeES8_S8_S8_S8_S8_S8_S8_EEEEZNS1_11reduce_implILb0ES3_PS9_SC_S9_NS6_11hip_rocprim9__extrema9arg_max_fIilNS6_4lessIiEEEEEE10hipError_tPvRmT1_T2_T3_mT4_P12ihipStream_tbEUlT_E1_NS1_11comp_targetILNS1_3genE5ELNS1_11target_archE942ELNS1_3gpuE9ELNS1_3repE0EEENS1_30default_config_static_selectorELNS0_4arch9wavefront6targetE1EEEvSM_,comdat
	.protected	_ZN7rocprim17ROCPRIM_400000_NS6detail17trampoline_kernelINS0_14default_configENS1_22reduce_config_selectorIN6thrust23THRUST_200600_302600_NS5tupleIilNS6_9null_typeES8_S8_S8_S8_S8_S8_S8_EEEEZNS1_11reduce_implILb0ES3_PS9_SC_S9_NS6_11hip_rocprim9__extrema9arg_max_fIilNS6_4lessIiEEEEEE10hipError_tPvRmT1_T2_T3_mT4_P12ihipStream_tbEUlT_E1_NS1_11comp_targetILNS1_3genE5ELNS1_11target_archE942ELNS1_3gpuE9ELNS1_3repE0EEENS1_30default_config_static_selectorELNS0_4arch9wavefront6targetE1EEEvSM_ ; -- Begin function _ZN7rocprim17ROCPRIM_400000_NS6detail17trampoline_kernelINS0_14default_configENS1_22reduce_config_selectorIN6thrust23THRUST_200600_302600_NS5tupleIilNS6_9null_typeES8_S8_S8_S8_S8_S8_S8_EEEEZNS1_11reduce_implILb0ES3_PS9_SC_S9_NS6_11hip_rocprim9__extrema9arg_max_fIilNS6_4lessIiEEEEEE10hipError_tPvRmT1_T2_T3_mT4_P12ihipStream_tbEUlT_E1_NS1_11comp_targetILNS1_3genE5ELNS1_11target_archE942ELNS1_3gpuE9ELNS1_3repE0EEENS1_30default_config_static_selectorELNS0_4arch9wavefront6targetE1EEEvSM_
	.globl	_ZN7rocprim17ROCPRIM_400000_NS6detail17trampoline_kernelINS0_14default_configENS1_22reduce_config_selectorIN6thrust23THRUST_200600_302600_NS5tupleIilNS6_9null_typeES8_S8_S8_S8_S8_S8_S8_EEEEZNS1_11reduce_implILb0ES3_PS9_SC_S9_NS6_11hip_rocprim9__extrema9arg_max_fIilNS6_4lessIiEEEEEE10hipError_tPvRmT1_T2_T3_mT4_P12ihipStream_tbEUlT_E1_NS1_11comp_targetILNS1_3genE5ELNS1_11target_archE942ELNS1_3gpuE9ELNS1_3repE0EEENS1_30default_config_static_selectorELNS0_4arch9wavefront6targetE1EEEvSM_
	.p2align	8
	.type	_ZN7rocprim17ROCPRIM_400000_NS6detail17trampoline_kernelINS0_14default_configENS1_22reduce_config_selectorIN6thrust23THRUST_200600_302600_NS5tupleIilNS6_9null_typeES8_S8_S8_S8_S8_S8_S8_EEEEZNS1_11reduce_implILb0ES3_PS9_SC_S9_NS6_11hip_rocprim9__extrema9arg_max_fIilNS6_4lessIiEEEEEE10hipError_tPvRmT1_T2_T3_mT4_P12ihipStream_tbEUlT_E1_NS1_11comp_targetILNS1_3genE5ELNS1_11target_archE942ELNS1_3gpuE9ELNS1_3repE0EEENS1_30default_config_static_selectorELNS0_4arch9wavefront6targetE1EEEvSM_,@function
_ZN7rocprim17ROCPRIM_400000_NS6detail17trampoline_kernelINS0_14default_configENS1_22reduce_config_selectorIN6thrust23THRUST_200600_302600_NS5tupleIilNS6_9null_typeES8_S8_S8_S8_S8_S8_S8_EEEEZNS1_11reduce_implILb0ES3_PS9_SC_S9_NS6_11hip_rocprim9__extrema9arg_max_fIilNS6_4lessIiEEEEEE10hipError_tPvRmT1_T2_T3_mT4_P12ihipStream_tbEUlT_E1_NS1_11comp_targetILNS1_3genE5ELNS1_11target_archE942ELNS1_3gpuE9ELNS1_3repE0EEENS1_30default_config_static_selectorELNS0_4arch9wavefront6targetE1EEEvSM_: ; @_ZN7rocprim17ROCPRIM_400000_NS6detail17trampoline_kernelINS0_14default_configENS1_22reduce_config_selectorIN6thrust23THRUST_200600_302600_NS5tupleIilNS6_9null_typeES8_S8_S8_S8_S8_S8_S8_EEEEZNS1_11reduce_implILb0ES3_PS9_SC_S9_NS6_11hip_rocprim9__extrema9arg_max_fIilNS6_4lessIiEEEEEE10hipError_tPvRmT1_T2_T3_mT4_P12ihipStream_tbEUlT_E1_NS1_11comp_targetILNS1_3genE5ELNS1_11target_archE942ELNS1_3gpuE9ELNS1_3repE0EEENS1_30default_config_static_selectorELNS0_4arch9wavefront6targetE1EEEvSM_
; %bb.0:
	.section	.rodata,"a",@progbits
	.p2align	6, 0x0
	.amdhsa_kernel _ZN7rocprim17ROCPRIM_400000_NS6detail17trampoline_kernelINS0_14default_configENS1_22reduce_config_selectorIN6thrust23THRUST_200600_302600_NS5tupleIilNS6_9null_typeES8_S8_S8_S8_S8_S8_S8_EEEEZNS1_11reduce_implILb0ES3_PS9_SC_S9_NS6_11hip_rocprim9__extrema9arg_max_fIilNS6_4lessIiEEEEEE10hipError_tPvRmT1_T2_T3_mT4_P12ihipStream_tbEUlT_E1_NS1_11comp_targetILNS1_3genE5ELNS1_11target_archE942ELNS1_3gpuE9ELNS1_3repE0EEENS1_30default_config_static_selectorELNS0_4arch9wavefront6targetE1EEEvSM_
		.amdhsa_group_segment_fixed_size 0
		.amdhsa_private_segment_fixed_size 0
		.amdhsa_kernarg_size 56
		.amdhsa_user_sgpr_count 6
		.amdhsa_user_sgpr_private_segment_buffer 1
		.amdhsa_user_sgpr_dispatch_ptr 0
		.amdhsa_user_sgpr_queue_ptr 0
		.amdhsa_user_sgpr_kernarg_segment_ptr 1
		.amdhsa_user_sgpr_dispatch_id 0
		.amdhsa_user_sgpr_flat_scratch_init 0
		.amdhsa_user_sgpr_kernarg_preload_length 0
		.amdhsa_user_sgpr_kernarg_preload_offset 0
		.amdhsa_user_sgpr_private_segment_size 0
		.amdhsa_uses_dynamic_stack 0
		.amdhsa_system_sgpr_private_segment_wavefront_offset 0
		.amdhsa_system_sgpr_workgroup_id_x 1
		.amdhsa_system_sgpr_workgroup_id_y 0
		.amdhsa_system_sgpr_workgroup_id_z 0
		.amdhsa_system_sgpr_workgroup_info 0
		.amdhsa_system_vgpr_workitem_id 0
		.amdhsa_next_free_vgpr 1
		.amdhsa_next_free_sgpr 0
		.amdhsa_accum_offset 4
		.amdhsa_reserve_vcc 0
		.amdhsa_reserve_flat_scratch 0
		.amdhsa_float_round_mode_32 0
		.amdhsa_float_round_mode_16_64 0
		.amdhsa_float_denorm_mode_32 3
		.amdhsa_float_denorm_mode_16_64 3
		.amdhsa_dx10_clamp 1
		.amdhsa_ieee_mode 1
		.amdhsa_fp16_overflow 0
		.amdhsa_tg_split 0
		.amdhsa_exception_fp_ieee_invalid_op 0
		.amdhsa_exception_fp_denorm_src 0
		.amdhsa_exception_fp_ieee_div_zero 0
		.amdhsa_exception_fp_ieee_overflow 0
		.amdhsa_exception_fp_ieee_underflow 0
		.amdhsa_exception_fp_ieee_inexact 0
		.amdhsa_exception_int_div_zero 0
	.end_amdhsa_kernel
	.section	.text._ZN7rocprim17ROCPRIM_400000_NS6detail17trampoline_kernelINS0_14default_configENS1_22reduce_config_selectorIN6thrust23THRUST_200600_302600_NS5tupleIilNS6_9null_typeES8_S8_S8_S8_S8_S8_S8_EEEEZNS1_11reduce_implILb0ES3_PS9_SC_S9_NS6_11hip_rocprim9__extrema9arg_max_fIilNS6_4lessIiEEEEEE10hipError_tPvRmT1_T2_T3_mT4_P12ihipStream_tbEUlT_E1_NS1_11comp_targetILNS1_3genE5ELNS1_11target_archE942ELNS1_3gpuE9ELNS1_3repE0EEENS1_30default_config_static_selectorELNS0_4arch9wavefront6targetE1EEEvSM_,"axG",@progbits,_ZN7rocprim17ROCPRIM_400000_NS6detail17trampoline_kernelINS0_14default_configENS1_22reduce_config_selectorIN6thrust23THRUST_200600_302600_NS5tupleIilNS6_9null_typeES8_S8_S8_S8_S8_S8_S8_EEEEZNS1_11reduce_implILb0ES3_PS9_SC_S9_NS6_11hip_rocprim9__extrema9arg_max_fIilNS6_4lessIiEEEEEE10hipError_tPvRmT1_T2_T3_mT4_P12ihipStream_tbEUlT_E1_NS1_11comp_targetILNS1_3genE5ELNS1_11target_archE942ELNS1_3gpuE9ELNS1_3repE0EEENS1_30default_config_static_selectorELNS0_4arch9wavefront6targetE1EEEvSM_,comdat
.Lfunc_end190:
	.size	_ZN7rocprim17ROCPRIM_400000_NS6detail17trampoline_kernelINS0_14default_configENS1_22reduce_config_selectorIN6thrust23THRUST_200600_302600_NS5tupleIilNS6_9null_typeES8_S8_S8_S8_S8_S8_S8_EEEEZNS1_11reduce_implILb0ES3_PS9_SC_S9_NS6_11hip_rocprim9__extrema9arg_max_fIilNS6_4lessIiEEEEEE10hipError_tPvRmT1_T2_T3_mT4_P12ihipStream_tbEUlT_E1_NS1_11comp_targetILNS1_3genE5ELNS1_11target_archE942ELNS1_3gpuE9ELNS1_3repE0EEENS1_30default_config_static_selectorELNS0_4arch9wavefront6targetE1EEEvSM_, .Lfunc_end190-_ZN7rocprim17ROCPRIM_400000_NS6detail17trampoline_kernelINS0_14default_configENS1_22reduce_config_selectorIN6thrust23THRUST_200600_302600_NS5tupleIilNS6_9null_typeES8_S8_S8_S8_S8_S8_S8_EEEEZNS1_11reduce_implILb0ES3_PS9_SC_S9_NS6_11hip_rocprim9__extrema9arg_max_fIilNS6_4lessIiEEEEEE10hipError_tPvRmT1_T2_T3_mT4_P12ihipStream_tbEUlT_E1_NS1_11comp_targetILNS1_3genE5ELNS1_11target_archE942ELNS1_3gpuE9ELNS1_3repE0EEENS1_30default_config_static_selectorELNS0_4arch9wavefront6targetE1EEEvSM_
                                        ; -- End function
	.section	.AMDGPU.csdata,"",@progbits
; Kernel info:
; codeLenInByte = 0
; NumSgprs: 4
; NumVgprs: 0
; NumAgprs: 0
; TotalNumVgprs: 0
; ScratchSize: 0
; MemoryBound: 0
; FloatMode: 240
; IeeeMode: 1
; LDSByteSize: 0 bytes/workgroup (compile time only)
; SGPRBlocks: 0
; VGPRBlocks: 0
; NumSGPRsForWavesPerEU: 4
; NumVGPRsForWavesPerEU: 1
; AccumOffset: 4
; Occupancy: 8
; WaveLimiterHint : 0
; COMPUTE_PGM_RSRC2:SCRATCH_EN: 0
; COMPUTE_PGM_RSRC2:USER_SGPR: 6
; COMPUTE_PGM_RSRC2:TRAP_HANDLER: 0
; COMPUTE_PGM_RSRC2:TGID_X_EN: 1
; COMPUTE_PGM_RSRC2:TGID_Y_EN: 0
; COMPUTE_PGM_RSRC2:TGID_Z_EN: 0
; COMPUTE_PGM_RSRC2:TIDIG_COMP_CNT: 0
; COMPUTE_PGM_RSRC3_GFX90A:ACCUM_OFFSET: 0
; COMPUTE_PGM_RSRC3_GFX90A:TG_SPLIT: 0
	.section	.text._ZN7rocprim17ROCPRIM_400000_NS6detail17trampoline_kernelINS0_14default_configENS1_22reduce_config_selectorIN6thrust23THRUST_200600_302600_NS5tupleIilNS6_9null_typeES8_S8_S8_S8_S8_S8_S8_EEEEZNS1_11reduce_implILb0ES3_PS9_SC_S9_NS6_11hip_rocprim9__extrema9arg_max_fIilNS6_4lessIiEEEEEE10hipError_tPvRmT1_T2_T3_mT4_P12ihipStream_tbEUlT_E1_NS1_11comp_targetILNS1_3genE4ELNS1_11target_archE910ELNS1_3gpuE8ELNS1_3repE0EEENS1_30default_config_static_selectorELNS0_4arch9wavefront6targetE1EEEvSM_,"axG",@progbits,_ZN7rocprim17ROCPRIM_400000_NS6detail17trampoline_kernelINS0_14default_configENS1_22reduce_config_selectorIN6thrust23THRUST_200600_302600_NS5tupleIilNS6_9null_typeES8_S8_S8_S8_S8_S8_S8_EEEEZNS1_11reduce_implILb0ES3_PS9_SC_S9_NS6_11hip_rocprim9__extrema9arg_max_fIilNS6_4lessIiEEEEEE10hipError_tPvRmT1_T2_T3_mT4_P12ihipStream_tbEUlT_E1_NS1_11comp_targetILNS1_3genE4ELNS1_11target_archE910ELNS1_3gpuE8ELNS1_3repE0EEENS1_30default_config_static_selectorELNS0_4arch9wavefront6targetE1EEEvSM_,comdat
	.protected	_ZN7rocprim17ROCPRIM_400000_NS6detail17trampoline_kernelINS0_14default_configENS1_22reduce_config_selectorIN6thrust23THRUST_200600_302600_NS5tupleIilNS6_9null_typeES8_S8_S8_S8_S8_S8_S8_EEEEZNS1_11reduce_implILb0ES3_PS9_SC_S9_NS6_11hip_rocprim9__extrema9arg_max_fIilNS6_4lessIiEEEEEE10hipError_tPvRmT1_T2_T3_mT4_P12ihipStream_tbEUlT_E1_NS1_11comp_targetILNS1_3genE4ELNS1_11target_archE910ELNS1_3gpuE8ELNS1_3repE0EEENS1_30default_config_static_selectorELNS0_4arch9wavefront6targetE1EEEvSM_ ; -- Begin function _ZN7rocprim17ROCPRIM_400000_NS6detail17trampoline_kernelINS0_14default_configENS1_22reduce_config_selectorIN6thrust23THRUST_200600_302600_NS5tupleIilNS6_9null_typeES8_S8_S8_S8_S8_S8_S8_EEEEZNS1_11reduce_implILb0ES3_PS9_SC_S9_NS6_11hip_rocprim9__extrema9arg_max_fIilNS6_4lessIiEEEEEE10hipError_tPvRmT1_T2_T3_mT4_P12ihipStream_tbEUlT_E1_NS1_11comp_targetILNS1_3genE4ELNS1_11target_archE910ELNS1_3gpuE8ELNS1_3repE0EEENS1_30default_config_static_selectorELNS0_4arch9wavefront6targetE1EEEvSM_
	.globl	_ZN7rocprim17ROCPRIM_400000_NS6detail17trampoline_kernelINS0_14default_configENS1_22reduce_config_selectorIN6thrust23THRUST_200600_302600_NS5tupleIilNS6_9null_typeES8_S8_S8_S8_S8_S8_S8_EEEEZNS1_11reduce_implILb0ES3_PS9_SC_S9_NS6_11hip_rocprim9__extrema9arg_max_fIilNS6_4lessIiEEEEEE10hipError_tPvRmT1_T2_T3_mT4_P12ihipStream_tbEUlT_E1_NS1_11comp_targetILNS1_3genE4ELNS1_11target_archE910ELNS1_3gpuE8ELNS1_3repE0EEENS1_30default_config_static_selectorELNS0_4arch9wavefront6targetE1EEEvSM_
	.p2align	8
	.type	_ZN7rocprim17ROCPRIM_400000_NS6detail17trampoline_kernelINS0_14default_configENS1_22reduce_config_selectorIN6thrust23THRUST_200600_302600_NS5tupleIilNS6_9null_typeES8_S8_S8_S8_S8_S8_S8_EEEEZNS1_11reduce_implILb0ES3_PS9_SC_S9_NS6_11hip_rocprim9__extrema9arg_max_fIilNS6_4lessIiEEEEEE10hipError_tPvRmT1_T2_T3_mT4_P12ihipStream_tbEUlT_E1_NS1_11comp_targetILNS1_3genE4ELNS1_11target_archE910ELNS1_3gpuE8ELNS1_3repE0EEENS1_30default_config_static_selectorELNS0_4arch9wavefront6targetE1EEEvSM_,@function
_ZN7rocprim17ROCPRIM_400000_NS6detail17trampoline_kernelINS0_14default_configENS1_22reduce_config_selectorIN6thrust23THRUST_200600_302600_NS5tupleIilNS6_9null_typeES8_S8_S8_S8_S8_S8_S8_EEEEZNS1_11reduce_implILb0ES3_PS9_SC_S9_NS6_11hip_rocprim9__extrema9arg_max_fIilNS6_4lessIiEEEEEE10hipError_tPvRmT1_T2_T3_mT4_P12ihipStream_tbEUlT_E1_NS1_11comp_targetILNS1_3genE4ELNS1_11target_archE910ELNS1_3gpuE8ELNS1_3repE0EEENS1_30default_config_static_selectorELNS0_4arch9wavefront6targetE1EEEvSM_: ; @_ZN7rocprim17ROCPRIM_400000_NS6detail17trampoline_kernelINS0_14default_configENS1_22reduce_config_selectorIN6thrust23THRUST_200600_302600_NS5tupleIilNS6_9null_typeES8_S8_S8_S8_S8_S8_S8_EEEEZNS1_11reduce_implILb0ES3_PS9_SC_S9_NS6_11hip_rocprim9__extrema9arg_max_fIilNS6_4lessIiEEEEEE10hipError_tPvRmT1_T2_T3_mT4_P12ihipStream_tbEUlT_E1_NS1_11comp_targetILNS1_3genE4ELNS1_11target_archE910ELNS1_3gpuE8ELNS1_3repE0EEENS1_30default_config_static_selectorELNS0_4arch9wavefront6targetE1EEEvSM_
; %bb.0:
	s_load_dword s26, s[4:5], 0x4
	s_load_dwordx4 s[20:23], s[4:5], 0x8
	s_waitcnt lgkmcnt(0)
	s_cmp_lt_i32 s26, 4
	s_cbranch_scc1 .LBB191_20
; %bb.1:
	s_cmp_gt_i32 s26, 7
	s_cbranch_scc0 .LBB191_21
; %bb.2:
	s_cmp_eq_u32 s26, 8
	s_mov_b64 s[18:19], 0
	s_cbranch_scc0 .LBB191_22
; %bb.3:
	s_mov_b32 s7, 0
	s_lshl_b32 s2, s6, 11
	s_mov_b32 s3, s7
	s_lshr_b64 s[0:1], s[22:23], 11
	s_lshl_b64 s[8:9], s[2:3], 4
	s_add_u32 s16, s20, s8
	s_addc_u32 s17, s21, s9
	s_cmp_lg_u64 s[0:1], s[6:7]
	s_cbranch_scc0 .LBB191_41
; %bb.4:
	v_lshlrev_b32_e32 v1, 4, v0
	v_mov_b32_e32 v2, s17
	v_add_co_u32_e32 v18, vcc, s16, v1
	v_addc_co_u32_e32 v19, vcc, 0, v2, vcc
	v_add_co_u32_e32 v2, vcc, 0x1000, v18
	v_addc_co_u32_e32 v3, vcc, 0, v19, vcc
	global_load_dword v20, v1, s[16:17]
	global_load_dwordx2 v[4:5], v1, s[16:17] offset:8
	global_load_dword v21, v[2:3], off
	global_load_dwordx2 v[6:7], v[2:3], off offset:8
	v_add_co_u32_e32 v2, vcc, 0x2000, v18
	v_addc_co_u32_e32 v3, vcc, 0, v19, vcc
	global_load_dword v1, v[2:3], off
	global_load_dwordx2 v[8:9], v[2:3], off offset:8
	v_add_co_u32_e32 v2, vcc, 0x3000, v18
	v_addc_co_u32_e32 v3, vcc, 0, v19, vcc
	;; [unrolled: 4-line block ×6, first 2 shown]
	global_load_dword v26, v[2:3], off
	global_load_dwordx2 v[18:19], v[2:3], off offset:8
	s_waitcnt vmcnt(13)
	v_cmp_lt_i32_e32 vcc, v21, v20
	s_waitcnt vmcnt(12)
	v_cmp_lt_i64_e64 s[0:1], v[4:5], v[6:7]
	s_or_b64 vcc, vcc, s[0:1]
	v_cndmask_b32_e32 v27, v21, v20, vcc
	v_cndmask_b32_e32 v2, v6, v4, vcc
	v_cndmask_b32_e32 v3, v7, v5, vcc
	v_cmp_lt_i32_e32 vcc, v20, v21
	v_cndmask_b32_e32 v3, v3, v7, vcc
	v_cndmask_b32_e32 v2, v2, v6, vcc
	v_cndmask_b32_e32 v4, v27, v21, vcc
	s_waitcnt vmcnt(11)
	v_cmp_lt_i32_e32 vcc, v1, v4
	s_waitcnt vmcnt(10)
	v_cmp_lt_i64_e64 s[0:1], v[2:3], v[8:9]
	s_or_b64 vcc, vcc, s[0:1]
	v_cndmask_b32_e32 v5, v1, v4, vcc
	v_cndmask_b32_e32 v2, v8, v2, vcc
	v_cndmask_b32_e32 v3, v9, v3, vcc
	v_cmp_lt_i32_e32 vcc, v4, v1
	v_cndmask_b32_e32 v3, v3, v9, vcc
	v_cndmask_b32_e32 v2, v2, v8, vcc
	v_cndmask_b32_e32 v1, v5, v1, vcc
	;; [unrolled: 12-line block ×7, first 2 shown]
	v_mov_b32_dpp v7, v1 quad_perm:[1,0,3,2] row_mask:0xf bank_mask:0xf bound_ctrl:1
	v_mov_b32_dpp v6, v3 quad_perm:[1,0,3,2] row_mask:0xf bank_mask:0xf bound_ctrl:1
	;; [unrolled: 1-line block ×3, first 2 shown]
	v_cmp_ge_i32_e32 vcc, v7, v1
	s_and_saveexec_b64 s[8:9], vcc
; %bb.5:
	v_mov_b32_e32 v5, v6
	v_cmp_gt_i32_e32 vcc, v7, v1
	v_cmp_lt_i64_e64 s[0:1], v[4:5], v[2:3]
	s_or_b64 vcc, vcc, s[0:1]
	v_cndmask_b32_e32 v3, v3, v6, vcc
	v_cndmask_b32_e32 v2, v2, v4, vcc
	;; [unrolled: 1-line block ×3, first 2 shown]
; %bb.6:
	s_or_b64 exec, exec, s[8:9]
	s_nop 0
	v_mov_b32_dpp v7, v1 quad_perm:[2,3,0,1] row_mask:0xf bank_mask:0xf bound_ctrl:1
	v_mov_b32_dpp v4, v2 quad_perm:[2,3,0,1] row_mask:0xf bank_mask:0xf bound_ctrl:1
	;; [unrolled: 1-line block ×3, first 2 shown]
	v_cmp_ge_i32_e32 vcc, v7, v1
	s_and_saveexec_b64 s[8:9], vcc
; %bb.7:
	v_mov_b32_e32 v5, v6
	v_cmp_lt_i32_e32 vcc, v1, v7
	v_cmp_lt_i64_e64 s[0:1], v[4:5], v[2:3]
	s_or_b64 vcc, vcc, s[0:1]
	v_cndmask_b32_e32 v3, v3, v6, vcc
	v_cndmask_b32_e32 v2, v2, v4, vcc
	;; [unrolled: 1-line block ×3, first 2 shown]
; %bb.8:
	s_or_b64 exec, exec, s[8:9]
	s_nop 0
	v_mov_b32_dpp v7, v1 row_ror:4 row_mask:0xf bank_mask:0xf bound_ctrl:1
	v_mov_b32_dpp v4, v2 row_ror:4 row_mask:0xf bank_mask:0xf bound_ctrl:1
	;; [unrolled: 1-line block ×3, first 2 shown]
	v_cmp_ge_i32_e32 vcc, v7, v1
	s_and_saveexec_b64 s[8:9], vcc
; %bb.9:
	v_mov_b32_e32 v5, v6
	v_cmp_lt_i32_e32 vcc, v1, v7
	v_cmp_lt_i64_e64 s[0:1], v[4:5], v[2:3]
	s_or_b64 vcc, vcc, s[0:1]
	v_cndmask_b32_e32 v3, v3, v6, vcc
	v_cndmask_b32_e32 v2, v2, v4, vcc
	;; [unrolled: 1-line block ×3, first 2 shown]
; %bb.10:
	s_or_b64 exec, exec, s[8:9]
	s_nop 0
	v_mov_b32_dpp v7, v1 row_ror:8 row_mask:0xf bank_mask:0xf bound_ctrl:1
	v_mov_b32_dpp v4, v2 row_ror:8 row_mask:0xf bank_mask:0xf bound_ctrl:1
	;; [unrolled: 1-line block ×3, first 2 shown]
	v_cmp_ge_i32_e32 vcc, v7, v1
	s_and_saveexec_b64 s[8:9], vcc
; %bb.11:
	v_mov_b32_e32 v5, v6
	v_cmp_lt_i32_e32 vcc, v1, v7
	v_cmp_lt_i64_e64 s[0:1], v[4:5], v[2:3]
	s_or_b64 vcc, vcc, s[0:1]
	v_cndmask_b32_e32 v3, v3, v6, vcc
	v_cndmask_b32_e32 v2, v2, v4, vcc
	;; [unrolled: 1-line block ×3, first 2 shown]
; %bb.12:
	s_or_b64 exec, exec, s[8:9]
	s_nop 0
	v_mov_b32_dpp v7, v1 row_bcast:15 row_mask:0xf bank_mask:0xf bound_ctrl:1
	v_mov_b32_dpp v4, v2 row_bcast:15 row_mask:0xf bank_mask:0xf bound_ctrl:1
	;; [unrolled: 1-line block ×3, first 2 shown]
	v_cmp_ge_i32_e32 vcc, v7, v1
	s_and_saveexec_b64 s[8:9], vcc
; %bb.13:
	v_mov_b32_e32 v5, v6
	v_cmp_lt_i32_e32 vcc, v1, v7
	v_cmp_lt_i64_e64 s[0:1], v[4:5], v[2:3]
	s_or_b64 vcc, vcc, s[0:1]
	v_cndmask_b32_e32 v3, v3, v6, vcc
	v_cndmask_b32_e32 v2, v2, v4, vcc
	;; [unrolled: 1-line block ×3, first 2 shown]
; %bb.14:
	s_or_b64 exec, exec, s[8:9]
	s_nop 0
	v_mov_b32_dpp v5, v1 row_bcast:31 row_mask:0xf bank_mask:0xf bound_ctrl:1
	v_mov_b32_dpp v6, v2 row_bcast:31 row_mask:0xf bank_mask:0xf bound_ctrl:1
	;; [unrolled: 1-line block ×3, first 2 shown]
	v_cmp_lt_i32_e32 vcc, v1, v5
	v_cmp_lt_i64_e64 s[0:1], v[6:7], v[2:3]
	v_mbcnt_lo_u32_b32 v4, -1, 0
	s_or_b64 vcc, vcc, s[0:1]
	v_mbcnt_hi_u32_b32 v4, -1, v4
	v_cndmask_b32_e32 v8, v1, v5, vcc
	v_cndmask_b32_e32 v6, v2, v6, vcc
	;; [unrolled: 1-line block ×3, first 2 shown]
	v_cmp_lt_i32_e32 vcc, v5, v1
	v_bfrev_b32_e32 v5, 0.5
	v_cndmask_b32_e32 v3, v7, v3, vcc
	v_cndmask_b32_e32 v2, v6, v2, vcc
	;; [unrolled: 1-line block ×3, first 2 shown]
	v_lshl_or_b32 v5, v4, 2, v5
	ds_bpermute_b32 v1, v5, v1
	ds_bpermute_b32 v2, v5, v2
	;; [unrolled: 1-line block ×3, first 2 shown]
	v_cmp_eq_u32_e32 vcc, 0, v4
	s_and_saveexec_b64 s[0:1], vcc
	s_cbranch_execz .LBB191_16
; %bb.15:
	v_lshrrev_b32_e32 v5, 2, v0
	v_and_b32_e32 v5, 48, v5
	s_waitcnt lgkmcnt(2)
	ds_write_b32 v5, v1 offset:192
	s_waitcnt lgkmcnt(1)
	ds_write_b64 v5, v[2:3] offset:200
.LBB191_16:
	s_or_b64 exec, exec, s[0:1]
	v_cmp_gt_u32_e32 vcc, 64, v0
	s_waitcnt lgkmcnt(0)
	s_barrier
	s_and_saveexec_b64 s[8:9], vcc
	s_cbranch_execz .LBB191_18
; %bb.17:
	v_and_b32_e32 v1, 3, v4
	v_lshlrev_b32_e32 v2, 4, v1
	ds_read_b32 v5, v2 offset:192
	ds_read_b64 v[2:3], v2 offset:200
	v_cmp_ne_u32_e32 vcc, 3, v1
	v_addc_co_u32_e32 v6, vcc, 0, v4, vcc
	v_lshlrev_b32_e32 v7, 2, v6
	s_waitcnt lgkmcnt(0)
	ds_bpermute_b32 v6, v7, v3
	ds_bpermute_b32 v10, v7, v5
	;; [unrolled: 1-line block ×3, first 2 shown]
	s_waitcnt lgkmcnt(2)
	v_mov_b32_e32 v9, v6
	s_waitcnt lgkmcnt(1)
	v_cmp_lt_i32_e32 vcc, v10, v5
	s_waitcnt lgkmcnt(0)
	v_cmp_gt_i64_e64 s[0:1], v[8:9], v[2:3]
	s_or_b64 vcc, vcc, s[0:1]
	v_cndmask_b32_e32 v7, v10, v5, vcc
	v_cndmask_b32_e32 v2, v8, v2, vcc
	;; [unrolled: 1-line block ×3, first 2 shown]
	v_cmp_gt_i32_e32 vcc, v10, v5
	v_cndmask_b32_e32 v3, v3, v6, vcc
	v_cndmask_b32_e32 v2, v2, v8, vcc
	;; [unrolled: 1-line block ×3, first 2 shown]
	v_cmp_gt_u32_e32 vcc, 2, v1
	v_cndmask_b32_e64 v1, 0, 1, vcc
	v_lshlrev_b32_e32 v1, 1, v1
	v_add_lshl_u32 v1, v1, v4, 2
	ds_bpermute_b32 v4, v1, v3
	ds_bpermute_b32 v8, v1, v5
	;; [unrolled: 1-line block ×3, first 2 shown]
	s_waitcnt lgkmcnt(2)
	v_mov_b32_e32 v7, v4
	s_waitcnt lgkmcnt(1)
	v_cmp_lt_i32_e32 vcc, v8, v5
	s_waitcnt lgkmcnt(0)
	v_cmp_lt_i64_e64 s[0:1], v[2:3], v[6:7]
	s_or_b64 vcc, vcc, s[0:1]
	v_cndmask_b32_e32 v1, v8, v5, vcc
	v_cndmask_b32_e32 v2, v6, v2, vcc
	;; [unrolled: 1-line block ×3, first 2 shown]
	v_cmp_lt_i32_e32 vcc, v5, v8
	v_cndmask_b32_e32 v3, v3, v4, vcc
	v_cndmask_b32_e32 v2, v2, v6, vcc
	v_cndmask_b32_e32 v1, v1, v8, vcc
.LBB191_18:
	s_or_b64 exec, exec, s[8:9]
.LBB191_19:
	v_cmp_eq_u32_e64 s[0:1], 0, v0
	s_and_b64 vcc, exec, s[18:19]
	s_cbranch_vccnz .LBB191_23
	s_branch .LBB191_86
.LBB191_20:
	s_mov_b64 s[0:1], 0
                                        ; implicit-def: $vgpr2_vgpr3
                                        ; implicit-def: $vgpr1
	s_cbranch_execnz .LBB191_121
	s_branch .LBB191_189
.LBB191_21:
	s_mov_b64 s[18:19], -1
.LBB191_22:
	s_mov_b64 s[0:1], 0
                                        ; implicit-def: $vgpr2_vgpr3
                                        ; implicit-def: $vgpr1
	s_and_b64 vcc, exec, s[18:19]
	s_cbranch_vccz .LBB191_86
.LBB191_23:
	s_cmp_eq_u32 s26, 4
	s_cbranch_scc0 .LBB191_40
; %bb.24:
	s_mov_b32 s7, 0
	s_lshl_b32 s2, s6, 10
	s_mov_b32 s3, s7
	s_lshr_b64 s[0:1], s[22:23], 10
	s_lshl_b64 s[8:9], s[2:3], 4
	s_add_u32 s8, s20, s8
	s_addc_u32 s9, s21, s9
	s_cmp_lg_u64 s[0:1], s[6:7]
	s_cbranch_scc0 .LBB191_87
; %bb.25:
	v_lshlrev_b32_e32 v1, 4, v0
	v_mov_b32_e32 v2, s9
	v_add_co_u32_e32 v10, vcc, s8, v1
	v_addc_co_u32_e32 v11, vcc, 0, v2, vcc
	v_add_co_u32_e32 v2, vcc, 0x1000, v10
	v_addc_co_u32_e32 v3, vcc, 0, v11, vcc
	global_load_dword v12, v1, s[8:9]
	s_waitcnt lgkmcnt(0)
	global_load_dwordx2 v[4:5], v1, s[8:9] offset:8
	global_load_dword v13, v[2:3], off
	global_load_dwordx2 v[6:7], v[2:3], off offset:8
	v_add_co_u32_e32 v2, vcc, 0x2000, v10
	v_addc_co_u32_e32 v3, vcc, 0, v11, vcc
	global_load_dword v1, v[2:3], off
	global_load_dwordx2 v[8:9], v[2:3], off offset:8
	v_add_co_u32_e32 v2, vcc, 0x3000, v10
	v_addc_co_u32_e32 v3, vcc, 0, v11, vcc
	global_load_dword v14, v[2:3], off
	global_load_dwordx2 v[10:11], v[2:3], off offset:8
	s_waitcnt vmcnt(5)
	v_cmp_lt_i32_e32 vcc, v13, v12
	s_waitcnt vmcnt(4)
	v_cmp_lt_i64_e64 s[0:1], v[4:5], v[6:7]
	s_or_b64 vcc, vcc, s[0:1]
	v_cndmask_b32_e32 v15, v13, v12, vcc
	v_cndmask_b32_e32 v2, v6, v4, vcc
	v_cndmask_b32_e32 v3, v7, v5, vcc
	v_cmp_lt_i32_e32 vcc, v12, v13
	v_cndmask_b32_e32 v3, v3, v7, vcc
	v_cndmask_b32_e32 v2, v2, v6, vcc
	v_cndmask_b32_e32 v4, v15, v13, vcc
	s_waitcnt vmcnt(3)
	v_cmp_lt_i32_e32 vcc, v1, v4
	s_waitcnt vmcnt(2)
	v_cmp_lt_i64_e64 s[0:1], v[2:3], v[8:9]
	s_or_b64 vcc, vcc, s[0:1]
	v_cndmask_b32_e32 v5, v1, v4, vcc
	v_cndmask_b32_e32 v2, v8, v2, vcc
	v_cndmask_b32_e32 v3, v9, v3, vcc
	v_cmp_lt_i32_e32 vcc, v4, v1
	v_cndmask_b32_e32 v3, v3, v9, vcc
	v_cndmask_b32_e32 v2, v2, v8, vcc
	v_cndmask_b32_e32 v1, v5, v1, vcc
	s_waitcnt vmcnt(1)
	v_cmp_lt_i32_e32 vcc, v14, v1
	s_waitcnt vmcnt(0)
	v_cmp_lt_i64_e64 s[0:1], v[2:3], v[10:11]
	s_or_b64 vcc, vcc, s[0:1]
	v_cndmask_b32_e32 v4, v14, v1, vcc
	v_cndmask_b32_e32 v2, v10, v2, vcc
	v_cndmask_b32_e32 v3, v11, v3, vcc
	v_cmp_lt_i32_e32 vcc, v1, v14
	v_cndmask_b32_e32 v1, v4, v14, vcc
	v_cndmask_b32_e32 v3, v3, v11, vcc
	v_cndmask_b32_e32 v2, v2, v10, vcc
	v_mov_b32_dpp v7, v1 quad_perm:[1,0,3,2] row_mask:0xf bank_mask:0xf bound_ctrl:1
	v_mov_b32_dpp v6, v3 quad_perm:[1,0,3,2] row_mask:0xf bank_mask:0xf bound_ctrl:1
	;; [unrolled: 1-line block ×3, first 2 shown]
	v_cmp_ge_i32_e32 vcc, v7, v1
	s_and_saveexec_b64 s[10:11], vcc
; %bb.26:
	v_mov_b32_e32 v5, v6
	v_cmp_gt_i32_e32 vcc, v7, v1
	v_cmp_lt_i64_e64 s[0:1], v[4:5], v[2:3]
	s_or_b64 vcc, vcc, s[0:1]
	v_cndmask_b32_e32 v3, v3, v6, vcc
	v_cndmask_b32_e32 v2, v2, v4, vcc
	;; [unrolled: 1-line block ×3, first 2 shown]
; %bb.27:
	s_or_b64 exec, exec, s[10:11]
	s_nop 0
	v_mov_b32_dpp v7, v1 quad_perm:[2,3,0,1] row_mask:0xf bank_mask:0xf bound_ctrl:1
	v_mov_b32_dpp v4, v2 quad_perm:[2,3,0,1] row_mask:0xf bank_mask:0xf bound_ctrl:1
	;; [unrolled: 1-line block ×3, first 2 shown]
	v_cmp_ge_i32_e32 vcc, v7, v1
	s_and_saveexec_b64 s[10:11], vcc
; %bb.28:
	v_mov_b32_e32 v5, v6
	v_cmp_lt_i32_e32 vcc, v1, v7
	v_cmp_lt_i64_e64 s[0:1], v[4:5], v[2:3]
	s_or_b64 vcc, vcc, s[0:1]
	v_cndmask_b32_e32 v3, v3, v6, vcc
	v_cndmask_b32_e32 v2, v2, v4, vcc
	;; [unrolled: 1-line block ×3, first 2 shown]
; %bb.29:
	s_or_b64 exec, exec, s[10:11]
	s_nop 0
	v_mov_b32_dpp v7, v1 row_ror:4 row_mask:0xf bank_mask:0xf bound_ctrl:1
	v_mov_b32_dpp v4, v2 row_ror:4 row_mask:0xf bank_mask:0xf bound_ctrl:1
	;; [unrolled: 1-line block ×3, first 2 shown]
	v_cmp_ge_i32_e32 vcc, v7, v1
	s_and_saveexec_b64 s[10:11], vcc
; %bb.30:
	v_mov_b32_e32 v5, v6
	v_cmp_lt_i32_e32 vcc, v1, v7
	v_cmp_lt_i64_e64 s[0:1], v[4:5], v[2:3]
	s_or_b64 vcc, vcc, s[0:1]
	v_cndmask_b32_e32 v3, v3, v6, vcc
	v_cndmask_b32_e32 v2, v2, v4, vcc
	;; [unrolled: 1-line block ×3, first 2 shown]
; %bb.31:
	s_or_b64 exec, exec, s[10:11]
	s_nop 0
	v_mov_b32_dpp v7, v1 row_ror:8 row_mask:0xf bank_mask:0xf bound_ctrl:1
	v_mov_b32_dpp v4, v2 row_ror:8 row_mask:0xf bank_mask:0xf bound_ctrl:1
	;; [unrolled: 1-line block ×3, first 2 shown]
	v_cmp_ge_i32_e32 vcc, v7, v1
	s_and_saveexec_b64 s[10:11], vcc
; %bb.32:
	v_mov_b32_e32 v5, v6
	v_cmp_lt_i32_e32 vcc, v1, v7
	v_cmp_lt_i64_e64 s[0:1], v[4:5], v[2:3]
	s_or_b64 vcc, vcc, s[0:1]
	v_cndmask_b32_e32 v3, v3, v6, vcc
	v_cndmask_b32_e32 v2, v2, v4, vcc
	;; [unrolled: 1-line block ×3, first 2 shown]
; %bb.33:
	s_or_b64 exec, exec, s[10:11]
	s_nop 0
	v_mov_b32_dpp v7, v1 row_bcast:15 row_mask:0xf bank_mask:0xf bound_ctrl:1
	v_mov_b32_dpp v4, v2 row_bcast:15 row_mask:0xf bank_mask:0xf bound_ctrl:1
	;; [unrolled: 1-line block ×3, first 2 shown]
	v_cmp_ge_i32_e32 vcc, v7, v1
	s_and_saveexec_b64 s[10:11], vcc
; %bb.34:
	v_mov_b32_e32 v5, v6
	v_cmp_lt_i32_e32 vcc, v1, v7
	v_cmp_lt_i64_e64 s[0:1], v[4:5], v[2:3]
	s_or_b64 vcc, vcc, s[0:1]
	v_cndmask_b32_e32 v3, v3, v6, vcc
	v_cndmask_b32_e32 v2, v2, v4, vcc
	;; [unrolled: 1-line block ×3, first 2 shown]
; %bb.35:
	s_or_b64 exec, exec, s[10:11]
	s_nop 0
	v_mov_b32_dpp v5, v1 row_bcast:31 row_mask:0xf bank_mask:0xf bound_ctrl:1
	v_mov_b32_dpp v6, v2 row_bcast:31 row_mask:0xf bank_mask:0xf bound_ctrl:1
	;; [unrolled: 1-line block ×3, first 2 shown]
	v_cmp_lt_i32_e32 vcc, v1, v5
	v_cmp_lt_i64_e64 s[0:1], v[6:7], v[2:3]
	v_mbcnt_lo_u32_b32 v4, -1, 0
	s_or_b64 vcc, vcc, s[0:1]
	v_mbcnt_hi_u32_b32 v4, -1, v4
	v_cndmask_b32_e32 v8, v1, v5, vcc
	v_cndmask_b32_e32 v6, v2, v6, vcc
	;; [unrolled: 1-line block ×3, first 2 shown]
	v_cmp_lt_i32_e32 vcc, v5, v1
	v_bfrev_b32_e32 v5, 0.5
	v_cndmask_b32_e32 v3, v7, v3, vcc
	v_cndmask_b32_e32 v2, v6, v2, vcc
	v_cndmask_b32_e32 v1, v8, v1, vcc
	v_lshl_or_b32 v5, v4, 2, v5
	ds_bpermute_b32 v1, v5, v1
	ds_bpermute_b32 v2, v5, v2
	;; [unrolled: 1-line block ×3, first 2 shown]
	v_cmp_eq_u32_e32 vcc, 0, v4
	s_and_saveexec_b64 s[0:1], vcc
	s_cbranch_execz .LBB191_37
; %bb.36:
	v_lshrrev_b32_e32 v5, 2, v0
	v_and_b32_e32 v5, 48, v5
	s_waitcnt lgkmcnt(2)
	ds_write_b32 v5, v1 offset:128
	s_waitcnt lgkmcnt(1)
	ds_write_b64 v5, v[2:3] offset:136
.LBB191_37:
	s_or_b64 exec, exec, s[0:1]
	v_cmp_gt_u32_e32 vcc, 64, v0
	s_waitcnt lgkmcnt(0)
	s_barrier
	s_and_saveexec_b64 s[10:11], vcc
	s_cbranch_execz .LBB191_39
; %bb.38:
	v_and_b32_e32 v1, 3, v4
	v_lshlrev_b32_e32 v2, 4, v1
	ds_read_b32 v5, v2 offset:128
	ds_read_b64 v[2:3], v2 offset:136
	v_cmp_ne_u32_e32 vcc, 3, v1
	v_addc_co_u32_e32 v6, vcc, 0, v4, vcc
	v_lshlrev_b32_e32 v7, 2, v6
	s_waitcnt lgkmcnt(0)
	ds_bpermute_b32 v6, v7, v3
	ds_bpermute_b32 v10, v7, v5
	;; [unrolled: 1-line block ×3, first 2 shown]
	s_waitcnt lgkmcnt(2)
	v_mov_b32_e32 v9, v6
	s_waitcnt lgkmcnt(1)
	v_cmp_lt_i32_e32 vcc, v10, v5
	s_waitcnt lgkmcnt(0)
	v_cmp_gt_i64_e64 s[0:1], v[8:9], v[2:3]
	s_or_b64 vcc, vcc, s[0:1]
	v_cndmask_b32_e32 v7, v10, v5, vcc
	v_cndmask_b32_e32 v2, v8, v2, vcc
	;; [unrolled: 1-line block ×3, first 2 shown]
	v_cmp_gt_i32_e32 vcc, v10, v5
	v_cndmask_b32_e32 v3, v3, v6, vcc
	v_cndmask_b32_e32 v2, v2, v8, vcc
	;; [unrolled: 1-line block ×3, first 2 shown]
	v_cmp_gt_u32_e32 vcc, 2, v1
	v_cndmask_b32_e64 v1, 0, 1, vcc
	v_lshlrev_b32_e32 v1, 1, v1
	v_add_lshl_u32 v1, v1, v4, 2
	ds_bpermute_b32 v4, v1, v3
	ds_bpermute_b32 v8, v1, v5
	ds_bpermute_b32 v6, v1, v2
	s_waitcnt lgkmcnt(2)
	v_mov_b32_e32 v7, v4
	s_waitcnt lgkmcnt(1)
	v_cmp_lt_i32_e32 vcc, v8, v5
	s_waitcnt lgkmcnt(0)
	v_cmp_lt_i64_e64 s[0:1], v[2:3], v[6:7]
	s_or_b64 vcc, vcc, s[0:1]
	v_cndmask_b32_e32 v1, v8, v5, vcc
	v_cndmask_b32_e32 v2, v6, v2, vcc
	;; [unrolled: 1-line block ×3, first 2 shown]
	v_cmp_lt_i32_e32 vcc, v5, v8
	v_cndmask_b32_e32 v3, v3, v4, vcc
	v_cndmask_b32_e32 v2, v2, v6, vcc
	;; [unrolled: 1-line block ×3, first 2 shown]
.LBB191_39:
	s_or_b64 exec, exec, s[10:11]
	s_branch .LBB191_120
.LBB191_40:
                                        ; implicit-def: $vgpr2_vgpr3
                                        ; implicit-def: $vgpr1
	s_branch .LBB191_189
.LBB191_41:
                                        ; implicit-def: $vgpr1
                                        ; implicit-def: $vgpr2_vgpr3
	s_cbranch_execz .LBB191_19
; %bb.42:
	s_sub_i32 s27, s22, s2
	v_pk_mov_b32 v[12:13], 0, 0
	v_cmp_gt_u32_e32 vcc, s27, v0
	v_mov_b32_e32 v22, 0
	v_pk_mov_b32 v[2:3], v[12:13], v[12:13] op_sel:[0,1]
	v_mov_b32_e32 v1, 0
	s_and_saveexec_b64 s[0:1], vcc
	s_cbranch_execz .LBB191_44
; %bb.43:
	v_lshlrev_b32_e32 v4, 4, v0
	global_load_dword v1, v4, s[16:17]
	global_load_dwordx2 v[2:3], v4, s[16:17] offset:8
.LBB191_44:
	s_or_b64 exec, exec, s[0:1]
	v_or_b32_e32 v4, 0x100, v0
	v_cmp_gt_u32_e64 s[14:15], s27, v4
	s_and_saveexec_b64 s[0:1], s[14:15]
	s_cbranch_execz .LBB191_46
; %bb.45:
	v_lshlrev_b32_e32 v4, 4, v4
	global_load_dword v22, v4, s[16:17]
	global_load_dwordx2 v[12:13], v4, s[16:17] offset:8
.LBB191_46:
	s_or_b64 exec, exec, s[0:1]
	v_or_b32_e32 v4, 0x200, v0
	v_pk_mov_b32 v[8:9], 0, 0
	v_cmp_gt_u32_e64 s[12:13], s27, v4
	v_mov_b32_e32 v20, 0
	v_pk_mov_b32 v[16:17], v[8:9], v[8:9] op_sel:[0,1]
	v_mov_b32_e32 v24, 0
	s_and_saveexec_b64 s[0:1], s[12:13]
	s_cbranch_execz .LBB191_48
; %bb.47:
	v_lshlrev_b32_e32 v4, 4, v4
	global_load_dword v24, v4, s[16:17]
	global_load_dwordx2 v[16:17], v4, s[16:17] offset:8
.LBB191_48:
	s_or_b64 exec, exec, s[0:1]
	v_or_b32_e32 v4, 0x300, v0
	v_cmp_gt_u32_e64 s[10:11], s27, v4
	s_and_saveexec_b64 s[0:1], s[10:11]
	s_cbranch_execz .LBB191_50
; %bb.49:
	v_lshlrev_b32_e32 v4, 4, v4
	global_load_dword v20, v4, s[16:17]
	global_load_dwordx2 v[8:9], v4, s[16:17] offset:8
.LBB191_50:
	s_or_b64 exec, exec, s[0:1]
	v_or_b32_e32 v4, 0x400, v0
	v_pk_mov_b32 v[6:7], 0, 0
	v_cmp_gt_u32_e64 s[8:9], s27, v4
	v_mov_b32_e32 v19, 0
	v_pk_mov_b32 v[14:15], v[6:7], v[6:7] op_sel:[0,1]
	v_mov_b32_e32 v23, 0
	s_and_saveexec_b64 s[0:1], s[8:9]
	;; [unrolled: 24-line block ×3, first 2 shown]
	s_cbranch_execz .LBB191_56
; %bb.55:
	v_lshlrev_b32_e32 v25, 4, v25
	global_load_dword v21, v25, s[16:17]
	global_load_dwordx2 v[10:11], v25, s[16:17] offset:8
.LBB191_56:
	s_or_b64 exec, exec, s[24:25]
	v_or_b32_e32 v25, 0x700, v0
	v_cmp_gt_u32_e32 vcc, s27, v25
	s_and_saveexec_b64 s[24:25], vcc
	s_cbranch_execnz .LBB191_216
; %bb.57:
	s_or_b64 exec, exec, s[24:25]
	s_and_saveexec_b64 s[24:25], s[14:15]
	s_cbranch_execnz .LBB191_217
.LBB191_58:
	s_or_b64 exec, exec, s[24:25]
	s_and_saveexec_b64 s[16:17], s[12:13]
	s_cbranch_execnz .LBB191_218
.LBB191_59:
	s_or_b64 exec, exec, s[16:17]
	s_and_saveexec_b64 s[14:15], s[10:11]
	s_cbranch_execnz .LBB191_219
.LBB191_60:
	s_or_b64 exec, exec, s[14:15]
	s_and_saveexec_b64 s[12:13], s[8:9]
	s_cbranch_execnz .LBB191_220
.LBB191_61:
	s_or_b64 exec, exec, s[12:13]
	s_and_saveexec_b64 s[10:11], s[2:3]
	s_cbranch_execnz .LBB191_221
.LBB191_62:
	s_or_b64 exec, exec, s[10:11]
	s_and_saveexec_b64 s[8:9], s[0:1]
	s_cbranch_execnz .LBB191_222
.LBB191_63:
	s_or_b64 exec, exec, s[8:9]
	s_and_saveexec_b64 s[2:3], vcc
	s_cbranch_execz .LBB191_65
.LBB191_64:
	s_waitcnt vmcnt(1)
	v_cmp_lt_i32_e32 vcc, v18, v1
	s_waitcnt vmcnt(0)
	v_cmp_lt_i64_e64 s[0:1], v[2:3], v[4:5]
	s_or_b64 vcc, vcc, s[0:1]
	v_cndmask_b32_e32 v6, v18, v1, vcc
	v_cndmask_b32_e32 v2, v4, v2, vcc
	;; [unrolled: 1-line block ×3, first 2 shown]
	v_cmp_lt_i32_e32 vcc, v1, v18
	v_cndmask_b32_e32 v3, v3, v5, vcc
	v_cndmask_b32_e32 v2, v2, v4, vcc
	;; [unrolled: 1-line block ×3, first 2 shown]
.LBB191_65:
	s_or_b64 exec, exec, s[2:3]
	s_waitcnt vmcnt(0)
	v_mbcnt_lo_u32_b32 v4, -1, 0
	v_mbcnt_hi_u32_b32 v7, -1, v4
	v_and_b32_e32 v8, 63, v7
	v_cmp_ne_u32_e32 vcc, 63, v8
	v_addc_co_u32_e32 v4, vcc, 0, v7, vcc
	v_lshlrev_b32_e32 v5, 2, v4
	ds_bpermute_b32 v10, v5, v1
	ds_bpermute_b32 v4, v5, v2
	;; [unrolled: 1-line block ×3, first 2 shown]
	s_min_u32 s8, s27, 0x100
	v_and_b32_e32 v5, 0xc0, v0
	v_sub_u32_e64 v9, s8, v5 clamp
	v_add_u32_e32 v5, 1, v8
	v_cmp_lt_u32_e32 vcc, v5, v9
	s_and_saveexec_b64 s[0:1], vcc
	s_xor_b64 s[2:3], exec, s[0:1]
	s_cbranch_execz .LBB191_67
; %bb.66:
	s_waitcnt lgkmcnt(0)
	v_mov_b32_e32 v5, v6
	v_cmp_lt_i32_e32 vcc, v10, v1
	v_cmp_lt_i64_e64 s[0:1], v[2:3], v[4:5]
	s_or_b64 vcc, vcc, s[0:1]
	v_cndmask_b32_e32 v5, v10, v1, vcc
	v_cndmask_b32_e32 v2, v4, v2, vcc
	v_cndmask_b32_e32 v3, v6, v3, vcc
	v_cmp_lt_i32_e32 vcc, v1, v10
	v_cndmask_b32_e32 v3, v3, v6, vcc
	v_cndmask_b32_e32 v2, v2, v4, vcc
	v_cndmask_b32_e32 v1, v5, v10, vcc
.LBB191_67:
	s_or_b64 exec, exec, s[2:3]
	v_cmp_gt_u32_e32 vcc, 62, v8
	s_waitcnt lgkmcnt(1)
	v_cndmask_b32_e64 v4, 0, 1, vcc
	v_lshlrev_b32_e32 v4, 1, v4
	v_add_lshl_u32 v5, v4, v7, 2
	ds_bpermute_b32 v10, v5, v1
	ds_bpermute_b32 v4, v5, v2
	s_waitcnt lgkmcnt(2)
	ds_bpermute_b32 v6, v5, v3
	v_add_u32_e32 v5, 2, v8
	v_cmp_lt_u32_e32 vcc, v5, v9
	s_and_saveexec_b64 s[2:3], vcc
	s_cbranch_execz .LBB191_69
; %bb.68:
	s_waitcnt lgkmcnt(0)
	v_mov_b32_e32 v5, v6
	v_cmp_lt_i32_e32 vcc, v10, v1
	v_cmp_lt_i64_e64 s[0:1], v[2:3], v[4:5]
	s_or_b64 vcc, vcc, s[0:1]
	v_cndmask_b32_e32 v5, v10, v1, vcc
	v_cndmask_b32_e32 v2, v4, v2, vcc
	v_cndmask_b32_e32 v3, v6, v3, vcc
	v_cmp_lt_i32_e32 vcc, v1, v10
	v_cndmask_b32_e32 v3, v3, v6, vcc
	v_cndmask_b32_e32 v2, v2, v4, vcc
	v_cndmask_b32_e32 v1, v5, v10, vcc
.LBB191_69:
	s_or_b64 exec, exec, s[2:3]
	v_cmp_gt_u32_e32 vcc, 60, v8
	s_waitcnt lgkmcnt(1)
	v_cndmask_b32_e64 v4, 0, 1, vcc
	v_lshlrev_b32_e32 v4, 2, v4
	v_add_lshl_u32 v5, v4, v7, 2
	ds_bpermute_b32 v10, v5, v1
	ds_bpermute_b32 v4, v5, v2
	s_waitcnt lgkmcnt(2)
	ds_bpermute_b32 v6, v5, v3
	v_add_u32_e32 v5, 4, v8
	v_cmp_lt_u32_e32 vcc, v5, v9
	s_and_saveexec_b64 s[2:3], vcc
	;; [unrolled: 28-line block ×4, first 2 shown]
	s_cbranch_execz .LBB191_75
; %bb.74:
	s_waitcnt lgkmcnt(0)
	v_mov_b32_e32 v5, v6
	v_cmp_lt_i32_e32 vcc, v10, v1
	v_cmp_lt_i64_e64 s[0:1], v[2:3], v[4:5]
	s_or_b64 vcc, vcc, s[0:1]
	v_cndmask_b32_e32 v5, v10, v1, vcc
	v_cndmask_b32_e32 v2, v4, v2, vcc
	;; [unrolled: 1-line block ×3, first 2 shown]
	v_cmp_lt_i32_e32 vcc, v1, v10
	v_cndmask_b32_e32 v3, v3, v6, vcc
	v_cndmask_b32_e32 v2, v2, v4, vcc
	;; [unrolled: 1-line block ×3, first 2 shown]
.LBB191_75:
	s_or_b64 exec, exec, s[2:3]
	v_cmp_gt_u32_e32 vcc, 32, v8
	s_waitcnt lgkmcnt(1)
	v_cndmask_b32_e64 v4, 0, 1, vcc
	v_lshlrev_b32_e32 v4, 5, v4
	v_add_lshl_u32 v5, v4, v7, 2
	s_waitcnt lgkmcnt(0)
	ds_bpermute_b32 v6, v5, v1
	ds_bpermute_b32 v4, v5, v2
	;; [unrolled: 1-line block ×3, first 2 shown]
	v_add_u32_e32 v8, 32, v8
	v_cmp_lt_u32_e32 vcc, v8, v9
	s_and_saveexec_b64 s[2:3], vcc
	s_cbranch_execz .LBB191_77
; %bb.76:
	s_waitcnt lgkmcnt(2)
	v_cmp_lt_i32_e32 vcc, v6, v1
	s_waitcnt lgkmcnt(0)
	v_cmp_lt_i64_e64 s[0:1], v[2:3], v[4:5]
	s_or_b64 vcc, vcc, s[0:1]
	v_cndmask_b32_e32 v8, v6, v1, vcc
	v_cndmask_b32_e32 v2, v4, v2, vcc
	;; [unrolled: 1-line block ×3, first 2 shown]
	v_cmp_lt_i32_e32 vcc, v1, v6
	v_cndmask_b32_e32 v3, v3, v5, vcc
	v_cndmask_b32_e32 v2, v2, v4, vcc
	v_cndmask_b32_e32 v1, v8, v6, vcc
.LBB191_77:
	s_or_b64 exec, exec, s[2:3]
	v_cmp_eq_u32_e32 vcc, 0, v7
	s_and_saveexec_b64 s[0:1], vcc
	s_cbranch_execz .LBB191_79
; %bb.78:
	s_waitcnt lgkmcnt(1)
	v_lshrrev_b32_e32 v4, 2, v0
	v_and_b32_e32 v4, 48, v4
	ds_write_b32 v4, v1 offset:256
	ds_write_b64 v4, v[2:3] offset:264
.LBB191_79:
	s_or_b64 exec, exec, s[0:1]
	v_cmp_gt_u32_e32 vcc, 4, v0
	s_waitcnt lgkmcnt(0)
	s_barrier
	s_and_saveexec_b64 s[2:3], vcc
	s_cbranch_execz .LBB191_85
; %bb.80:
	v_lshlrev_b32_e32 v2, 4, v7
	ds_read_b32 v1, v2 offset:256
	ds_read_b64 v[2:3], v2 offset:264
	v_and_b32_e32 v8, 3, v7
	v_cmp_ne_u32_e32 vcc, 3, v8
	v_addc_co_u32_e32 v4, vcc, 0, v7, vcc
	v_lshlrev_b32_e32 v5, 2, v4
	s_waitcnt lgkmcnt(1)
	ds_bpermute_b32 v9, v5, v1
	s_waitcnt lgkmcnt(1)
	ds_bpermute_b32 v4, v5, v2
	ds_bpermute_b32 v6, v5, v3
	s_add_i32 s8, s8, 63
	s_lshr_b32 s10, s8, 6
	v_add_u32_e32 v5, 1, v8
	v_cmp_gt_u32_e32 vcc, s10, v5
	s_and_saveexec_b64 s[8:9], vcc
	s_cbranch_execz .LBB191_82
; %bb.81:
	s_waitcnt lgkmcnt(0)
	v_mov_b32_e32 v5, v6
	v_cmp_lt_i32_e32 vcc, v9, v1
	v_cmp_lt_i64_e64 s[0:1], v[2:3], v[4:5]
	s_or_b64 vcc, vcc, s[0:1]
	v_cndmask_b32_e32 v5, v9, v1, vcc
	v_cndmask_b32_e32 v2, v4, v2, vcc
	;; [unrolled: 1-line block ×3, first 2 shown]
	v_cmp_lt_i32_e32 vcc, v1, v9
	v_cndmask_b32_e32 v3, v3, v6, vcc
	v_cndmask_b32_e32 v2, v2, v4, vcc
	v_cndmask_b32_e32 v1, v5, v9, vcc
.LBB191_82:
	s_or_b64 exec, exec, s[8:9]
	v_cmp_gt_u32_e32 vcc, 2, v8
	s_waitcnt lgkmcnt(1)
	v_cndmask_b32_e64 v4, 0, 1, vcc
	v_lshlrev_b32_e32 v4, 1, v4
	v_add_lshl_u32 v5, v4, v7, 2
	s_waitcnt lgkmcnt(0)
	ds_bpermute_b32 v6, v5, v1
	ds_bpermute_b32 v4, v5, v2
	;; [unrolled: 1-line block ×3, first 2 shown]
	v_add_u32_e32 v7, 2, v8
	v_cmp_gt_u32_e32 vcc, s10, v7
	s_and_saveexec_b64 s[8:9], vcc
	s_cbranch_execz .LBB191_84
; %bb.83:
	s_waitcnt lgkmcnt(2)
	v_cmp_lt_i32_e32 vcc, v6, v1
	s_waitcnt lgkmcnt(0)
	v_cmp_lt_i64_e64 s[0:1], v[2:3], v[4:5]
	s_or_b64 vcc, vcc, s[0:1]
	v_cndmask_b32_e32 v7, v6, v1, vcc
	v_cndmask_b32_e32 v2, v4, v2, vcc
	;; [unrolled: 1-line block ×3, first 2 shown]
	v_cmp_lt_i32_e32 vcc, v1, v6
	v_cndmask_b32_e32 v3, v3, v5, vcc
	v_cndmask_b32_e32 v2, v2, v4, vcc
	;; [unrolled: 1-line block ×3, first 2 shown]
.LBB191_84:
	s_or_b64 exec, exec, s[8:9]
.LBB191_85:
	s_or_b64 exec, exec, s[2:3]
	v_cmp_eq_u32_e64 s[0:1], 0, v0
	s_and_b64 vcc, exec, s[18:19]
	s_cbranch_vccnz .LBB191_23
.LBB191_86:
	s_branch .LBB191_189
.LBB191_87:
                                        ; implicit-def: $vgpr1
                                        ; implicit-def: $vgpr2_vgpr3
	s_cbranch_execz .LBB191_120
; %bb.88:
	s_sub_i32 s12, s22, s2
	s_waitcnt lgkmcnt(2)
	v_pk_mov_b32 v[6:7], 0, 0
	v_cmp_gt_u32_e32 vcc, s12, v0
	v_mov_b32_e32 v11, 0
	v_pk_mov_b32 v[2:3], v[6:7], v[6:7] op_sel:[0,1]
	v_mov_b32_e32 v1, 0
	s_and_saveexec_b64 s[0:1], vcc
	s_cbranch_execz .LBB191_90
; %bb.89:
	s_waitcnt lgkmcnt(1)
	v_lshlrev_b32_e32 v4, 4, v0
	global_load_dword v1, v4, s[8:9]
	global_load_dwordx2 v[2:3], v4, s[8:9] offset:8
.LBB191_90:
	s_or_b64 exec, exec, s[0:1]
	s_waitcnt lgkmcnt(1)
	v_or_b32_e32 v4, 0x100, v0
	v_cmp_gt_u32_e64 s[2:3], s12, v4
	s_and_saveexec_b64 s[0:1], s[2:3]
	s_cbranch_execz .LBB191_92
; %bb.91:
	v_lshlrev_b32_e32 v4, 4, v4
	global_load_dword v11, v4, s[8:9]
	global_load_dwordx2 v[6:7], v4, s[8:9] offset:8
.LBB191_92:
	s_or_b64 exec, exec, s[0:1]
	v_or_b32_e32 v13, 0x200, v0
	s_waitcnt lgkmcnt(0)
	v_pk_mov_b32 v[4:5], 0, 0
	v_cmp_gt_u32_e64 s[0:1], s12, v13
	v_mov_b32_e32 v10, 0
	v_pk_mov_b32 v[8:9], v[4:5], v[4:5] op_sel:[0,1]
	v_mov_b32_e32 v12, 0
	s_and_saveexec_b64 s[10:11], s[0:1]
	s_cbranch_execz .LBB191_94
; %bb.93:
	v_lshlrev_b32_e32 v13, 4, v13
	global_load_dword v12, v13, s[8:9]
	global_load_dwordx2 v[8:9], v13, s[8:9] offset:8
.LBB191_94:
	s_or_b64 exec, exec, s[10:11]
	v_or_b32_e32 v13, 0x300, v0
	v_cmp_gt_u32_e32 vcc, s12, v13
	s_and_saveexec_b64 s[10:11], vcc
	s_cbranch_execnz .LBB191_223
; %bb.95:
	s_or_b64 exec, exec, s[10:11]
	s_and_saveexec_b64 s[10:11], s[2:3]
	s_cbranch_execnz .LBB191_224
.LBB191_96:
	s_or_b64 exec, exec, s[10:11]
	s_and_saveexec_b64 s[8:9], s[0:1]
	s_cbranch_execnz .LBB191_225
.LBB191_97:
	s_or_b64 exec, exec, s[8:9]
	s_and_saveexec_b64 s[2:3], vcc
	s_cbranch_execz .LBB191_99
.LBB191_98:
	s_waitcnt vmcnt(1)
	v_cmp_lt_i32_e32 vcc, v10, v1
	s_waitcnt vmcnt(0)
	v_cmp_lt_i64_e64 s[0:1], v[2:3], v[4:5]
	s_or_b64 vcc, vcc, s[0:1]
	v_cndmask_b32_e32 v6, v10, v1, vcc
	v_cndmask_b32_e32 v2, v4, v2, vcc
	;; [unrolled: 1-line block ×3, first 2 shown]
	v_cmp_lt_i32_e32 vcc, v1, v10
	v_cndmask_b32_e32 v3, v3, v5, vcc
	v_cndmask_b32_e32 v2, v2, v4, vcc
	;; [unrolled: 1-line block ×3, first 2 shown]
.LBB191_99:
	s_or_b64 exec, exec, s[2:3]
	s_waitcnt vmcnt(0)
	v_mbcnt_lo_u32_b32 v4, -1, 0
	v_mbcnt_hi_u32_b32 v7, -1, v4
	v_and_b32_e32 v8, 63, v7
	v_cmp_ne_u32_e32 vcc, 63, v8
	v_addc_co_u32_e32 v4, vcc, 0, v7, vcc
	v_lshlrev_b32_e32 v5, 2, v4
	ds_bpermute_b32 v10, v5, v1
	ds_bpermute_b32 v4, v5, v2
	;; [unrolled: 1-line block ×3, first 2 shown]
	s_min_u32 s8, s12, 0x100
	v_and_b32_e32 v5, 0xc0, v0
	v_sub_u32_e64 v9, s8, v5 clamp
	v_add_u32_e32 v5, 1, v8
	v_cmp_lt_u32_e32 vcc, v5, v9
	s_and_saveexec_b64 s[0:1], vcc
	s_xor_b64 s[2:3], exec, s[0:1]
	s_cbranch_execz .LBB191_101
; %bb.100:
	s_waitcnt lgkmcnt(0)
	v_mov_b32_e32 v5, v6
	v_cmp_lt_i32_e32 vcc, v10, v1
	v_cmp_lt_i64_e64 s[0:1], v[2:3], v[4:5]
	s_or_b64 vcc, vcc, s[0:1]
	v_cndmask_b32_e32 v5, v10, v1, vcc
	v_cndmask_b32_e32 v2, v4, v2, vcc
	v_cndmask_b32_e32 v3, v6, v3, vcc
	v_cmp_lt_i32_e32 vcc, v1, v10
	v_cndmask_b32_e32 v3, v3, v6, vcc
	v_cndmask_b32_e32 v2, v2, v4, vcc
	v_cndmask_b32_e32 v1, v5, v10, vcc
.LBB191_101:
	s_or_b64 exec, exec, s[2:3]
	v_cmp_gt_u32_e32 vcc, 62, v8
	s_waitcnt lgkmcnt(1)
	v_cndmask_b32_e64 v4, 0, 1, vcc
	v_lshlrev_b32_e32 v4, 1, v4
	v_add_lshl_u32 v5, v4, v7, 2
	ds_bpermute_b32 v10, v5, v1
	ds_bpermute_b32 v4, v5, v2
	s_waitcnt lgkmcnt(2)
	ds_bpermute_b32 v6, v5, v3
	v_add_u32_e32 v5, 2, v8
	v_cmp_lt_u32_e32 vcc, v5, v9
	s_and_saveexec_b64 s[2:3], vcc
	s_cbranch_execz .LBB191_103
; %bb.102:
	s_waitcnt lgkmcnt(0)
	v_mov_b32_e32 v5, v6
	v_cmp_lt_i32_e32 vcc, v10, v1
	v_cmp_lt_i64_e64 s[0:1], v[2:3], v[4:5]
	s_or_b64 vcc, vcc, s[0:1]
	v_cndmask_b32_e32 v5, v10, v1, vcc
	v_cndmask_b32_e32 v2, v4, v2, vcc
	v_cndmask_b32_e32 v3, v6, v3, vcc
	v_cmp_lt_i32_e32 vcc, v1, v10
	v_cndmask_b32_e32 v3, v3, v6, vcc
	v_cndmask_b32_e32 v2, v2, v4, vcc
	v_cndmask_b32_e32 v1, v5, v10, vcc
.LBB191_103:
	s_or_b64 exec, exec, s[2:3]
	v_cmp_gt_u32_e32 vcc, 60, v8
	s_waitcnt lgkmcnt(1)
	v_cndmask_b32_e64 v4, 0, 1, vcc
	v_lshlrev_b32_e32 v4, 2, v4
	v_add_lshl_u32 v5, v4, v7, 2
	ds_bpermute_b32 v10, v5, v1
	ds_bpermute_b32 v4, v5, v2
	s_waitcnt lgkmcnt(2)
	ds_bpermute_b32 v6, v5, v3
	v_add_u32_e32 v5, 4, v8
	v_cmp_lt_u32_e32 vcc, v5, v9
	s_and_saveexec_b64 s[2:3], vcc
	;; [unrolled: 28-line block ×4, first 2 shown]
	s_cbranch_execz .LBB191_109
; %bb.108:
	s_waitcnt lgkmcnt(0)
	v_mov_b32_e32 v5, v6
	v_cmp_lt_i32_e32 vcc, v10, v1
	v_cmp_lt_i64_e64 s[0:1], v[2:3], v[4:5]
	s_or_b64 vcc, vcc, s[0:1]
	v_cndmask_b32_e32 v5, v10, v1, vcc
	v_cndmask_b32_e32 v2, v4, v2, vcc
	;; [unrolled: 1-line block ×3, first 2 shown]
	v_cmp_lt_i32_e32 vcc, v1, v10
	v_cndmask_b32_e32 v3, v3, v6, vcc
	v_cndmask_b32_e32 v2, v2, v4, vcc
	;; [unrolled: 1-line block ×3, first 2 shown]
.LBB191_109:
	s_or_b64 exec, exec, s[2:3]
	v_cmp_gt_u32_e32 vcc, 32, v8
	s_waitcnt lgkmcnt(1)
	v_cndmask_b32_e64 v4, 0, 1, vcc
	v_lshlrev_b32_e32 v4, 5, v4
	v_add_lshl_u32 v5, v4, v7, 2
	s_waitcnt lgkmcnt(0)
	ds_bpermute_b32 v6, v5, v1
	ds_bpermute_b32 v4, v5, v2
	;; [unrolled: 1-line block ×3, first 2 shown]
	v_add_u32_e32 v8, 32, v8
	v_cmp_lt_u32_e32 vcc, v8, v9
	s_and_saveexec_b64 s[2:3], vcc
	s_cbranch_execz .LBB191_111
; %bb.110:
	s_waitcnt lgkmcnt(2)
	v_cmp_lt_i32_e32 vcc, v6, v1
	s_waitcnt lgkmcnt(0)
	v_cmp_lt_i64_e64 s[0:1], v[2:3], v[4:5]
	s_or_b64 vcc, vcc, s[0:1]
	v_cndmask_b32_e32 v8, v6, v1, vcc
	v_cndmask_b32_e32 v2, v4, v2, vcc
	;; [unrolled: 1-line block ×3, first 2 shown]
	v_cmp_lt_i32_e32 vcc, v1, v6
	v_cndmask_b32_e32 v3, v3, v5, vcc
	v_cndmask_b32_e32 v2, v2, v4, vcc
	;; [unrolled: 1-line block ×3, first 2 shown]
.LBB191_111:
	s_or_b64 exec, exec, s[2:3]
	v_cmp_eq_u32_e32 vcc, 0, v7
	s_and_saveexec_b64 s[0:1], vcc
	s_cbranch_execz .LBB191_113
; %bb.112:
	s_waitcnt lgkmcnt(1)
	v_lshrrev_b32_e32 v4, 2, v0
	v_and_b32_e32 v4, 48, v4
	ds_write_b32 v4, v1 offset:256
	ds_write_b64 v4, v[2:3] offset:264
.LBB191_113:
	s_or_b64 exec, exec, s[0:1]
	v_cmp_gt_u32_e32 vcc, 4, v0
	s_waitcnt lgkmcnt(0)
	s_barrier
	s_and_saveexec_b64 s[2:3], vcc
	s_cbranch_execz .LBB191_119
; %bb.114:
	v_lshlrev_b32_e32 v2, 4, v7
	ds_read_b32 v1, v2 offset:256
	ds_read_b64 v[2:3], v2 offset:264
	v_and_b32_e32 v8, 3, v7
	v_cmp_ne_u32_e32 vcc, 3, v8
	v_addc_co_u32_e32 v4, vcc, 0, v7, vcc
	v_lshlrev_b32_e32 v5, 2, v4
	s_waitcnt lgkmcnt(1)
	ds_bpermute_b32 v9, v5, v1
	s_waitcnt lgkmcnt(1)
	ds_bpermute_b32 v4, v5, v2
	ds_bpermute_b32 v6, v5, v3
	s_add_i32 s8, s8, 63
	s_lshr_b32 s10, s8, 6
	v_add_u32_e32 v5, 1, v8
	v_cmp_gt_u32_e32 vcc, s10, v5
	s_and_saveexec_b64 s[8:9], vcc
	s_cbranch_execz .LBB191_116
; %bb.115:
	s_waitcnt lgkmcnt(0)
	v_mov_b32_e32 v5, v6
	v_cmp_lt_i32_e32 vcc, v9, v1
	v_cmp_lt_i64_e64 s[0:1], v[2:3], v[4:5]
	s_or_b64 vcc, vcc, s[0:1]
	v_cndmask_b32_e32 v5, v9, v1, vcc
	v_cndmask_b32_e32 v2, v4, v2, vcc
	;; [unrolled: 1-line block ×3, first 2 shown]
	v_cmp_lt_i32_e32 vcc, v1, v9
	v_cndmask_b32_e32 v3, v3, v6, vcc
	v_cndmask_b32_e32 v2, v2, v4, vcc
	;; [unrolled: 1-line block ×3, first 2 shown]
.LBB191_116:
	s_or_b64 exec, exec, s[8:9]
	v_cmp_gt_u32_e32 vcc, 2, v8
	s_waitcnt lgkmcnt(1)
	v_cndmask_b32_e64 v4, 0, 1, vcc
	v_lshlrev_b32_e32 v4, 1, v4
	v_add_lshl_u32 v5, v4, v7, 2
	s_waitcnt lgkmcnt(0)
	ds_bpermute_b32 v6, v5, v1
	ds_bpermute_b32 v4, v5, v2
	;; [unrolled: 1-line block ×3, first 2 shown]
	v_add_u32_e32 v7, 2, v8
	v_cmp_gt_u32_e32 vcc, s10, v7
	s_and_saveexec_b64 s[8:9], vcc
	s_cbranch_execz .LBB191_118
; %bb.117:
	s_waitcnt lgkmcnt(2)
	v_cmp_lt_i32_e32 vcc, v6, v1
	s_waitcnt lgkmcnt(0)
	v_cmp_lt_i64_e64 s[0:1], v[2:3], v[4:5]
	s_or_b64 vcc, vcc, s[0:1]
	v_cndmask_b32_e32 v7, v6, v1, vcc
	v_cndmask_b32_e32 v2, v4, v2, vcc
	;; [unrolled: 1-line block ×3, first 2 shown]
	v_cmp_lt_i32_e32 vcc, v1, v6
	v_cndmask_b32_e32 v3, v3, v5, vcc
	v_cndmask_b32_e32 v2, v2, v4, vcc
	;; [unrolled: 1-line block ×3, first 2 shown]
.LBB191_118:
	s_or_b64 exec, exec, s[8:9]
.LBB191_119:
	s_or_b64 exec, exec, s[2:3]
.LBB191_120:
	v_cmp_eq_u32_e64 s[0:1], 0, v0
	s_branch .LBB191_189
.LBB191_121:
	s_cmp_gt_i32 s26, 1
	s_cbranch_scc0 .LBB191_139
; %bb.122:
	s_cmp_eq_u32 s26, 2
	s_cbranch_scc0 .LBB191_140
; %bb.123:
	s_mov_b32 s7, 0
	s_lshl_b32 s8, s6, 9
	s_mov_b32 s9, s7
	s_lshr_b64 s[0:1], s[22:23], 9
	s_lshl_b64 s[2:3], s[8:9], 4
	s_add_u32 s2, s20, s2
	s_addc_u32 s3, s21, s3
	s_cmp_lg_u64 s[0:1], s[6:7]
	s_cbranch_scc0 .LBB191_141
; %bb.124:
	v_lshlrev_b32_e32 v1, 4, v0
	v_mov_b32_e32 v2, s3
	v_add_co_u32_e32 v3, vcc, s2, v1
	s_waitcnt lgkmcnt(1)
	v_addc_co_u32_e32 v4, vcc, 0, v2, vcc
	v_add_co_u32_e32 v2, vcc, 0x1000, v3
	v_addc_co_u32_e32 v3, vcc, 0, v4, vcc
	global_load_dword v8, v1, s[2:3]
	s_waitcnt lgkmcnt(0)
	global_load_dwordx2 v[4:5], v1, s[2:3] offset:8
	global_load_dword v9, v[2:3], off
	global_load_dwordx2 v[6:7], v[2:3], off offset:8
	s_waitcnt vmcnt(1)
	v_cmp_lt_i32_e32 vcc, v9, v8
	s_waitcnt vmcnt(0)
	v_cmp_lt_i64_e64 s[0:1], v[4:5], v[6:7]
	s_or_b64 vcc, vcc, s[0:1]
	v_cndmask_b32_e32 v1, v9, v8, vcc
	v_cndmask_b32_e32 v2, v6, v4, vcc
	;; [unrolled: 1-line block ×3, first 2 shown]
	v_cmp_lt_i32_e32 vcc, v8, v9
	v_cndmask_b32_e32 v1, v1, v9, vcc
	v_cndmask_b32_e32 v3, v3, v7, vcc
	;; [unrolled: 1-line block ×3, first 2 shown]
	v_mov_b32_dpp v7, v1 quad_perm:[1,0,3,2] row_mask:0xf bank_mask:0xf bound_ctrl:1
	v_mov_b32_dpp v6, v3 quad_perm:[1,0,3,2] row_mask:0xf bank_mask:0xf bound_ctrl:1
	;; [unrolled: 1-line block ×3, first 2 shown]
	v_cmp_ge_i32_e32 vcc, v7, v1
	s_and_saveexec_b64 s[10:11], vcc
; %bb.125:
	v_mov_b32_e32 v5, v6
	v_cmp_gt_i32_e32 vcc, v7, v1
	v_cmp_lt_i64_e64 s[0:1], v[4:5], v[2:3]
	s_or_b64 vcc, vcc, s[0:1]
	v_cndmask_b32_e32 v3, v3, v6, vcc
	v_cndmask_b32_e32 v2, v2, v4, vcc
	;; [unrolled: 1-line block ×3, first 2 shown]
; %bb.126:
	s_or_b64 exec, exec, s[10:11]
	s_nop 0
	v_mov_b32_dpp v7, v1 quad_perm:[2,3,0,1] row_mask:0xf bank_mask:0xf bound_ctrl:1
	v_mov_b32_dpp v4, v2 quad_perm:[2,3,0,1] row_mask:0xf bank_mask:0xf bound_ctrl:1
	;; [unrolled: 1-line block ×3, first 2 shown]
	v_cmp_ge_i32_e32 vcc, v7, v1
	s_and_saveexec_b64 s[10:11], vcc
; %bb.127:
	v_mov_b32_e32 v5, v6
	v_cmp_lt_i32_e32 vcc, v1, v7
	v_cmp_lt_i64_e64 s[0:1], v[4:5], v[2:3]
	s_or_b64 vcc, vcc, s[0:1]
	v_cndmask_b32_e32 v3, v3, v6, vcc
	v_cndmask_b32_e32 v2, v2, v4, vcc
	;; [unrolled: 1-line block ×3, first 2 shown]
; %bb.128:
	s_or_b64 exec, exec, s[10:11]
	s_nop 0
	v_mov_b32_dpp v7, v1 row_ror:4 row_mask:0xf bank_mask:0xf bound_ctrl:1
	v_mov_b32_dpp v4, v2 row_ror:4 row_mask:0xf bank_mask:0xf bound_ctrl:1
	;; [unrolled: 1-line block ×3, first 2 shown]
	v_cmp_ge_i32_e32 vcc, v7, v1
	s_and_saveexec_b64 s[10:11], vcc
; %bb.129:
	v_mov_b32_e32 v5, v6
	v_cmp_lt_i32_e32 vcc, v1, v7
	v_cmp_lt_i64_e64 s[0:1], v[4:5], v[2:3]
	s_or_b64 vcc, vcc, s[0:1]
	v_cndmask_b32_e32 v3, v3, v6, vcc
	v_cndmask_b32_e32 v2, v2, v4, vcc
	;; [unrolled: 1-line block ×3, first 2 shown]
; %bb.130:
	s_or_b64 exec, exec, s[10:11]
	s_nop 0
	v_mov_b32_dpp v7, v1 row_ror:8 row_mask:0xf bank_mask:0xf bound_ctrl:1
	v_mov_b32_dpp v4, v2 row_ror:8 row_mask:0xf bank_mask:0xf bound_ctrl:1
	v_mov_b32_dpp v6, v3 row_ror:8 row_mask:0xf bank_mask:0xf bound_ctrl:1
	v_cmp_ge_i32_e32 vcc, v7, v1
	s_and_saveexec_b64 s[10:11], vcc
; %bb.131:
	v_mov_b32_e32 v5, v6
	v_cmp_lt_i32_e32 vcc, v1, v7
	v_cmp_lt_i64_e64 s[0:1], v[4:5], v[2:3]
	s_or_b64 vcc, vcc, s[0:1]
	v_cndmask_b32_e32 v3, v3, v6, vcc
	v_cndmask_b32_e32 v2, v2, v4, vcc
	;; [unrolled: 1-line block ×3, first 2 shown]
; %bb.132:
	s_or_b64 exec, exec, s[10:11]
	s_nop 0
	v_mov_b32_dpp v7, v1 row_bcast:15 row_mask:0xf bank_mask:0xf bound_ctrl:1
	v_mov_b32_dpp v4, v2 row_bcast:15 row_mask:0xf bank_mask:0xf bound_ctrl:1
	;; [unrolled: 1-line block ×3, first 2 shown]
	v_cmp_ge_i32_e32 vcc, v7, v1
	s_and_saveexec_b64 s[10:11], vcc
; %bb.133:
	v_mov_b32_e32 v5, v6
	v_cmp_lt_i32_e32 vcc, v1, v7
	v_cmp_lt_i64_e64 s[0:1], v[4:5], v[2:3]
	s_or_b64 vcc, vcc, s[0:1]
	v_cndmask_b32_e32 v3, v3, v6, vcc
	v_cndmask_b32_e32 v2, v2, v4, vcc
	;; [unrolled: 1-line block ×3, first 2 shown]
; %bb.134:
	s_or_b64 exec, exec, s[10:11]
	s_nop 0
	v_mov_b32_dpp v5, v1 row_bcast:31 row_mask:0xf bank_mask:0xf bound_ctrl:1
	v_mov_b32_dpp v6, v2 row_bcast:31 row_mask:0xf bank_mask:0xf bound_ctrl:1
	v_mov_b32_dpp v7, v3 row_bcast:31 row_mask:0xf bank_mask:0xf bound_ctrl:1
	v_cmp_lt_i32_e32 vcc, v1, v5
	v_cmp_lt_i64_e64 s[0:1], v[6:7], v[2:3]
	v_mbcnt_lo_u32_b32 v4, -1, 0
	s_or_b64 vcc, vcc, s[0:1]
	v_mbcnt_hi_u32_b32 v4, -1, v4
	v_cndmask_b32_e32 v8, v1, v5, vcc
	v_cndmask_b32_e32 v6, v2, v6, vcc
	;; [unrolled: 1-line block ×3, first 2 shown]
	v_cmp_lt_i32_e32 vcc, v5, v1
	v_bfrev_b32_e32 v5, 0.5
	v_cndmask_b32_e32 v3, v7, v3, vcc
	v_cndmask_b32_e32 v2, v6, v2, vcc
	;; [unrolled: 1-line block ×3, first 2 shown]
	v_lshl_or_b32 v5, v4, 2, v5
	ds_bpermute_b32 v1, v5, v1
	ds_bpermute_b32 v2, v5, v2
	;; [unrolled: 1-line block ×3, first 2 shown]
	v_cmp_eq_u32_e32 vcc, 0, v4
	s_and_saveexec_b64 s[0:1], vcc
	s_cbranch_execz .LBB191_136
; %bb.135:
	v_lshrrev_b32_e32 v5, 2, v0
	v_and_b32_e32 v5, 48, v5
	s_waitcnt lgkmcnt(2)
	ds_write_b32 v5, v1 offset:64
	s_waitcnt lgkmcnt(1)
	ds_write_b64 v5, v[2:3] offset:72
.LBB191_136:
	s_or_b64 exec, exec, s[0:1]
	v_cmp_gt_u32_e32 vcc, 64, v0
	s_waitcnt lgkmcnt(0)
	s_barrier
	s_and_saveexec_b64 s[10:11], vcc
	s_cbranch_execz .LBB191_138
; %bb.137:
	v_and_b32_e32 v1, 3, v4
	v_lshlrev_b32_e32 v2, 4, v1
	ds_read_b32 v5, v2 offset:64
	ds_read_b64 v[2:3], v2 offset:72
	v_cmp_ne_u32_e32 vcc, 3, v1
	v_addc_co_u32_e32 v6, vcc, 0, v4, vcc
	v_lshlrev_b32_e32 v7, 2, v6
	s_waitcnt lgkmcnt(0)
	ds_bpermute_b32 v6, v7, v3
	ds_bpermute_b32 v10, v7, v5
	;; [unrolled: 1-line block ×3, first 2 shown]
	s_waitcnt lgkmcnt(2)
	v_mov_b32_e32 v9, v6
	s_waitcnt lgkmcnt(1)
	v_cmp_lt_i32_e32 vcc, v10, v5
	s_waitcnt lgkmcnt(0)
	v_cmp_gt_i64_e64 s[0:1], v[8:9], v[2:3]
	s_or_b64 vcc, vcc, s[0:1]
	v_cndmask_b32_e32 v7, v10, v5, vcc
	v_cndmask_b32_e32 v2, v8, v2, vcc
	;; [unrolled: 1-line block ×3, first 2 shown]
	v_cmp_gt_i32_e32 vcc, v10, v5
	v_cndmask_b32_e32 v3, v3, v6, vcc
	v_cndmask_b32_e32 v2, v2, v8, vcc
	;; [unrolled: 1-line block ×3, first 2 shown]
	v_cmp_gt_u32_e32 vcc, 2, v1
	v_cndmask_b32_e64 v1, 0, 1, vcc
	v_lshlrev_b32_e32 v1, 1, v1
	v_add_lshl_u32 v1, v1, v4, 2
	ds_bpermute_b32 v4, v1, v3
	ds_bpermute_b32 v8, v1, v5
	;; [unrolled: 1-line block ×3, first 2 shown]
	s_waitcnt lgkmcnt(2)
	v_mov_b32_e32 v7, v4
	s_waitcnt lgkmcnt(1)
	v_cmp_lt_i32_e32 vcc, v8, v5
	s_waitcnt lgkmcnt(0)
	v_cmp_lt_i64_e64 s[0:1], v[2:3], v[6:7]
	s_or_b64 vcc, vcc, s[0:1]
	v_cndmask_b32_e32 v1, v8, v5, vcc
	v_cndmask_b32_e32 v2, v6, v2, vcc
	;; [unrolled: 1-line block ×3, first 2 shown]
	v_cmp_lt_i32_e32 vcc, v5, v8
	v_cndmask_b32_e32 v3, v3, v4, vcc
	v_cndmask_b32_e32 v2, v2, v6, vcc
	;; [unrolled: 1-line block ×3, first 2 shown]
.LBB191_138:
	s_or_b64 exec, exec, s[10:11]
	s_branch .LBB191_169
.LBB191_139:
                                        ; implicit-def: $vgpr2_vgpr3
                                        ; implicit-def: $vgpr1
	s_cbranch_execnz .LBB191_170
	s_branch .LBB191_189
.LBB191_140:
                                        ; implicit-def: $vgpr2_vgpr3
                                        ; implicit-def: $vgpr1
	s_branch .LBB191_189
.LBB191_141:
                                        ; implicit-def: $vgpr1
                                        ; implicit-def: $vgpr2_vgpr3
	s_cbranch_execz .LBB191_169
; %bb.142:
	s_sub_i32 s8, s22, s8
	s_waitcnt lgkmcnt(0)
	v_pk_mov_b32 v[4:5], 0, 0
	v_cmp_gt_u32_e32 vcc, s8, v0
	v_mov_b32_e32 v6, 0
	v_pk_mov_b32 v[2:3], v[4:5], v[4:5] op_sel:[0,1]
	v_mov_b32_e32 v1, 0
	s_and_saveexec_b64 s[0:1], vcc
	s_cbranch_execz .LBB191_144
; %bb.143:
	v_lshlrev_b32_e32 v7, 4, v0
	global_load_dword v1, v7, s[2:3]
	global_load_dwordx2 v[2:3], v7, s[2:3] offset:8
.LBB191_144:
	s_or_b64 exec, exec, s[0:1]
	v_or_b32_e32 v7, 0x100, v0
	v_cmp_gt_u32_e32 vcc, s8, v7
	s_and_saveexec_b64 s[0:1], vcc
	s_cbranch_execz .LBB191_146
; %bb.145:
	v_lshlrev_b32_e32 v7, 4, v7
	global_load_dword v6, v7, s[2:3]
	global_load_dwordx2 v[4:5], v7, s[2:3] offset:8
.LBB191_146:
	s_or_b64 exec, exec, s[0:1]
	s_and_saveexec_b64 s[2:3], vcc
	s_cbranch_execz .LBB191_148
; %bb.147:
	s_waitcnt vmcnt(1)
	v_cmp_lt_i32_e32 vcc, v6, v1
	s_waitcnt vmcnt(0)
	v_cmp_lt_i64_e64 s[0:1], v[2:3], v[4:5]
	s_or_b64 vcc, vcc, s[0:1]
	v_cndmask_b32_e32 v7, v6, v1, vcc
	v_cndmask_b32_e32 v2, v4, v2, vcc
	;; [unrolled: 1-line block ×3, first 2 shown]
	v_cmp_lt_i32_e32 vcc, v1, v6
	v_cndmask_b32_e32 v3, v3, v5, vcc
	v_cndmask_b32_e32 v2, v2, v4, vcc
	;; [unrolled: 1-line block ×3, first 2 shown]
.LBB191_148:
	s_or_b64 exec, exec, s[2:3]
	s_waitcnt vmcnt(0)
	v_mbcnt_lo_u32_b32 v4, -1, 0
	v_mbcnt_hi_u32_b32 v7, -1, v4
	v_and_b32_e32 v8, 63, v7
	v_cmp_ne_u32_e32 vcc, 63, v8
	v_addc_co_u32_e32 v4, vcc, 0, v7, vcc
	v_lshlrev_b32_e32 v5, 2, v4
	ds_bpermute_b32 v10, v5, v1
	ds_bpermute_b32 v4, v5, v2
	ds_bpermute_b32 v6, v5, v3
	s_min_u32 s8, s8, 0x100
	v_and_b32_e32 v5, 0xc0, v0
	v_sub_u32_e64 v9, s8, v5 clamp
	v_add_u32_e32 v5, 1, v8
	v_cmp_lt_u32_e32 vcc, v5, v9
	s_and_saveexec_b64 s[2:3], vcc
	s_cbranch_execz .LBB191_150
; %bb.149:
	s_waitcnt lgkmcnt(0)
	v_mov_b32_e32 v5, v6
	v_cmp_lt_i32_e32 vcc, v10, v1
	v_cmp_lt_i64_e64 s[0:1], v[2:3], v[4:5]
	s_or_b64 vcc, vcc, s[0:1]
	v_cndmask_b32_e32 v5, v10, v1, vcc
	v_cndmask_b32_e32 v2, v4, v2, vcc
	v_cndmask_b32_e32 v3, v6, v3, vcc
	v_cmp_lt_i32_e32 vcc, v1, v10
	v_cndmask_b32_e32 v3, v3, v6, vcc
	v_cndmask_b32_e32 v2, v2, v4, vcc
	v_cndmask_b32_e32 v1, v5, v10, vcc
.LBB191_150:
	s_or_b64 exec, exec, s[2:3]
	v_cmp_gt_u32_e32 vcc, 62, v8
	s_waitcnt lgkmcnt(1)
	v_cndmask_b32_e64 v4, 0, 1, vcc
	v_lshlrev_b32_e32 v4, 1, v4
	v_add_lshl_u32 v5, v4, v7, 2
	ds_bpermute_b32 v10, v5, v1
	ds_bpermute_b32 v4, v5, v2
	s_waitcnt lgkmcnt(2)
	ds_bpermute_b32 v6, v5, v3
	v_add_u32_e32 v5, 2, v8
	v_cmp_lt_u32_e32 vcc, v5, v9
	s_and_saveexec_b64 s[2:3], vcc
	s_cbranch_execz .LBB191_152
; %bb.151:
	s_waitcnt lgkmcnt(0)
	v_mov_b32_e32 v5, v6
	v_cmp_lt_i32_e32 vcc, v10, v1
	v_cmp_lt_i64_e64 s[0:1], v[2:3], v[4:5]
	s_or_b64 vcc, vcc, s[0:1]
	v_cndmask_b32_e32 v5, v10, v1, vcc
	v_cndmask_b32_e32 v2, v4, v2, vcc
	v_cndmask_b32_e32 v3, v6, v3, vcc
	v_cmp_lt_i32_e32 vcc, v1, v10
	v_cndmask_b32_e32 v3, v3, v6, vcc
	v_cndmask_b32_e32 v2, v2, v4, vcc
	v_cndmask_b32_e32 v1, v5, v10, vcc
.LBB191_152:
	s_or_b64 exec, exec, s[2:3]
	v_cmp_gt_u32_e32 vcc, 60, v8
	s_waitcnt lgkmcnt(1)
	v_cndmask_b32_e64 v4, 0, 1, vcc
	v_lshlrev_b32_e32 v4, 2, v4
	v_add_lshl_u32 v5, v4, v7, 2
	ds_bpermute_b32 v10, v5, v1
	ds_bpermute_b32 v4, v5, v2
	s_waitcnt lgkmcnt(2)
	ds_bpermute_b32 v6, v5, v3
	v_add_u32_e32 v5, 4, v8
	v_cmp_lt_u32_e32 vcc, v5, v9
	s_and_saveexec_b64 s[2:3], vcc
	s_cbranch_execz .LBB191_154
; %bb.153:
	s_waitcnt lgkmcnt(0)
	v_mov_b32_e32 v5, v6
	v_cmp_lt_i32_e32 vcc, v10, v1
	v_cmp_lt_i64_e64 s[0:1], v[2:3], v[4:5]
	s_or_b64 vcc, vcc, s[0:1]
	v_cndmask_b32_e32 v5, v10, v1, vcc
	v_cndmask_b32_e32 v2, v4, v2, vcc
	v_cndmask_b32_e32 v3, v6, v3, vcc
	v_cmp_lt_i32_e32 vcc, v1, v10
	v_cndmask_b32_e32 v3, v3, v6, vcc
	v_cndmask_b32_e32 v2, v2, v4, vcc
	v_cndmask_b32_e32 v1, v5, v10, vcc
.LBB191_154:
	s_or_b64 exec, exec, s[2:3]
	v_cmp_gt_u32_e32 vcc, 56, v8
	s_waitcnt lgkmcnt(1)
	v_cndmask_b32_e64 v4, 0, 1, vcc
	v_lshlrev_b32_e32 v4, 3, v4
	v_add_lshl_u32 v5, v4, v7, 2
	ds_bpermute_b32 v10, v5, v1
	ds_bpermute_b32 v4, v5, v2
	s_waitcnt lgkmcnt(2)
	ds_bpermute_b32 v6, v5, v3
	v_add_u32_e32 v5, 8, v8
	v_cmp_lt_u32_e32 vcc, v5, v9
	s_and_saveexec_b64 s[2:3], vcc
	s_cbranch_execz .LBB191_156
; %bb.155:
	s_waitcnt lgkmcnt(0)
	v_mov_b32_e32 v5, v6
	v_cmp_lt_i32_e32 vcc, v10, v1
	v_cmp_lt_i64_e64 s[0:1], v[2:3], v[4:5]
	s_or_b64 vcc, vcc, s[0:1]
	v_cndmask_b32_e32 v5, v10, v1, vcc
	v_cndmask_b32_e32 v2, v4, v2, vcc
	v_cndmask_b32_e32 v3, v6, v3, vcc
	v_cmp_lt_i32_e32 vcc, v1, v10
	v_cndmask_b32_e32 v3, v3, v6, vcc
	v_cndmask_b32_e32 v2, v2, v4, vcc
	v_cndmask_b32_e32 v1, v5, v10, vcc
.LBB191_156:
	s_or_b64 exec, exec, s[2:3]
	v_cmp_gt_u32_e32 vcc, 48, v8
	s_waitcnt lgkmcnt(1)
	v_cndmask_b32_e64 v4, 0, 1, vcc
	v_lshlrev_b32_e32 v4, 4, v4
	v_add_lshl_u32 v5, v4, v7, 2
	ds_bpermute_b32 v10, v5, v1
	ds_bpermute_b32 v4, v5, v2
	s_waitcnt lgkmcnt(2)
	ds_bpermute_b32 v6, v5, v3
	v_add_u32_e32 v5, 16, v8
	v_cmp_lt_u32_e32 vcc, v5, v9
	s_and_saveexec_b64 s[2:3], vcc
	s_cbranch_execz .LBB191_158
; %bb.157:
	s_waitcnt lgkmcnt(0)
	v_mov_b32_e32 v5, v6
	v_cmp_lt_i32_e32 vcc, v10, v1
	v_cmp_lt_i64_e64 s[0:1], v[2:3], v[4:5]
	s_or_b64 vcc, vcc, s[0:1]
	v_cndmask_b32_e32 v5, v10, v1, vcc
	v_cndmask_b32_e32 v2, v4, v2, vcc
	;; [unrolled: 1-line block ×3, first 2 shown]
	v_cmp_lt_i32_e32 vcc, v1, v10
	v_cndmask_b32_e32 v3, v3, v6, vcc
	v_cndmask_b32_e32 v2, v2, v4, vcc
	;; [unrolled: 1-line block ×3, first 2 shown]
.LBB191_158:
	s_or_b64 exec, exec, s[2:3]
	v_cmp_gt_u32_e32 vcc, 32, v8
	s_waitcnt lgkmcnt(1)
	v_cndmask_b32_e64 v4, 0, 1, vcc
	v_lshlrev_b32_e32 v4, 5, v4
	v_add_lshl_u32 v5, v4, v7, 2
	s_waitcnt lgkmcnt(0)
	ds_bpermute_b32 v6, v5, v1
	ds_bpermute_b32 v4, v5, v2
	;; [unrolled: 1-line block ×3, first 2 shown]
	v_add_u32_e32 v8, 32, v8
	v_cmp_lt_u32_e32 vcc, v8, v9
	s_and_saveexec_b64 s[2:3], vcc
	s_cbranch_execz .LBB191_160
; %bb.159:
	s_waitcnt lgkmcnt(2)
	v_cmp_lt_i32_e32 vcc, v6, v1
	s_waitcnt lgkmcnt(0)
	v_cmp_lt_i64_e64 s[0:1], v[2:3], v[4:5]
	s_or_b64 vcc, vcc, s[0:1]
	v_cndmask_b32_e32 v8, v6, v1, vcc
	v_cndmask_b32_e32 v2, v4, v2, vcc
	;; [unrolled: 1-line block ×3, first 2 shown]
	v_cmp_lt_i32_e32 vcc, v1, v6
	v_cndmask_b32_e32 v3, v3, v5, vcc
	v_cndmask_b32_e32 v2, v2, v4, vcc
	;; [unrolled: 1-line block ×3, first 2 shown]
.LBB191_160:
	s_or_b64 exec, exec, s[2:3]
	v_cmp_eq_u32_e32 vcc, 0, v7
	s_and_saveexec_b64 s[0:1], vcc
	s_cbranch_execz .LBB191_162
; %bb.161:
	s_waitcnt lgkmcnt(1)
	v_lshrrev_b32_e32 v4, 2, v0
	v_and_b32_e32 v4, 48, v4
	ds_write_b32 v4, v1 offset:256
	ds_write_b64 v4, v[2:3] offset:264
.LBB191_162:
	s_or_b64 exec, exec, s[0:1]
	v_cmp_gt_u32_e32 vcc, 4, v0
	s_waitcnt lgkmcnt(0)
	s_barrier
	s_and_saveexec_b64 s[2:3], vcc
	s_cbranch_execz .LBB191_168
; %bb.163:
	v_lshlrev_b32_e32 v2, 4, v7
	ds_read_b32 v1, v2 offset:256
	ds_read_b64 v[2:3], v2 offset:264
	v_and_b32_e32 v8, 3, v7
	v_cmp_ne_u32_e32 vcc, 3, v8
	v_addc_co_u32_e32 v4, vcc, 0, v7, vcc
	v_lshlrev_b32_e32 v5, 2, v4
	s_waitcnt lgkmcnt(1)
	ds_bpermute_b32 v9, v5, v1
	s_waitcnt lgkmcnt(1)
	ds_bpermute_b32 v4, v5, v2
	ds_bpermute_b32 v6, v5, v3
	s_add_i32 s8, s8, 63
	s_lshr_b32 s10, s8, 6
	v_add_u32_e32 v5, 1, v8
	v_cmp_gt_u32_e32 vcc, s10, v5
	s_and_saveexec_b64 s[8:9], vcc
	s_cbranch_execz .LBB191_165
; %bb.164:
	s_waitcnt lgkmcnt(0)
	v_mov_b32_e32 v5, v6
	v_cmp_lt_i32_e32 vcc, v9, v1
	v_cmp_lt_i64_e64 s[0:1], v[2:3], v[4:5]
	s_or_b64 vcc, vcc, s[0:1]
	v_cndmask_b32_e32 v5, v9, v1, vcc
	v_cndmask_b32_e32 v2, v4, v2, vcc
	;; [unrolled: 1-line block ×3, first 2 shown]
	v_cmp_lt_i32_e32 vcc, v1, v9
	v_cndmask_b32_e32 v3, v3, v6, vcc
	v_cndmask_b32_e32 v2, v2, v4, vcc
	;; [unrolled: 1-line block ×3, first 2 shown]
.LBB191_165:
	s_or_b64 exec, exec, s[8:9]
	v_cmp_gt_u32_e32 vcc, 2, v8
	s_waitcnt lgkmcnt(1)
	v_cndmask_b32_e64 v4, 0, 1, vcc
	v_lshlrev_b32_e32 v4, 1, v4
	v_add_lshl_u32 v5, v4, v7, 2
	s_waitcnt lgkmcnt(0)
	ds_bpermute_b32 v6, v5, v1
	ds_bpermute_b32 v4, v5, v2
	;; [unrolled: 1-line block ×3, first 2 shown]
	v_add_u32_e32 v7, 2, v8
	v_cmp_gt_u32_e32 vcc, s10, v7
	s_and_saveexec_b64 s[8:9], vcc
	s_cbranch_execz .LBB191_167
; %bb.166:
	s_waitcnt lgkmcnt(2)
	v_cmp_lt_i32_e32 vcc, v6, v1
	s_waitcnt lgkmcnt(0)
	v_cmp_lt_i64_e64 s[0:1], v[2:3], v[4:5]
	s_or_b64 vcc, vcc, s[0:1]
	v_cndmask_b32_e32 v7, v6, v1, vcc
	v_cndmask_b32_e32 v2, v4, v2, vcc
	;; [unrolled: 1-line block ×3, first 2 shown]
	v_cmp_lt_i32_e32 vcc, v1, v6
	v_cndmask_b32_e32 v3, v3, v5, vcc
	v_cndmask_b32_e32 v2, v2, v4, vcc
	;; [unrolled: 1-line block ×3, first 2 shown]
.LBB191_167:
	s_or_b64 exec, exec, s[8:9]
.LBB191_168:
	s_or_b64 exec, exec, s[2:3]
.LBB191_169:
	v_cmp_eq_u32_e64 s[0:1], 0, v0
	s_branch .LBB191_189
.LBB191_170:
	s_cmp_eq_u32 s26, 1
	s_cbranch_scc0 .LBB191_188
; %bb.171:
	s_mov_b32 s3, 0
	s_lshl_b32 s2, s6, 8
	s_mov_b32 s7, s3
	s_lshr_b64 s[0:1], s[22:23], 8
	s_cmp_lg_u64 s[0:1], s[6:7]
	s_cbranch_scc0 .LBB191_192
; %bb.172:
	s_lshl_b64 s[0:1], s[2:3], 4
	s_add_u32 s0, s20, s0
	s_addc_u32 s1, s21, s1
	s_waitcnt lgkmcnt(1)
	v_lshlrev_b32_e32 v4, 4, v0
	global_load_dword v1, v4, s[0:1]
	global_load_dwordx2 v[2:3], v4, s[0:1] offset:8
	s_waitcnt vmcnt(1)
	v_mov_b32_dpp v7, v1 quad_perm:[1,0,3,2] row_mask:0xf bank_mask:0xf bound_ctrl:1
	s_waitcnt vmcnt(0)
	v_mov_b32_dpp v4, v2 quad_perm:[1,0,3,2] row_mask:0xf bank_mask:0xf bound_ctrl:1
	v_mov_b32_dpp v6, v3 quad_perm:[1,0,3,2] row_mask:0xf bank_mask:0xf bound_ctrl:1
	v_cmp_ge_i32_e32 vcc, v7, v1
	s_and_saveexec_b64 s[8:9], vcc
	s_cbranch_execz .LBB191_174
; %bb.173:
	s_waitcnt lgkmcnt(0)
	v_mov_b32_e32 v5, v6
	v_cmp_gt_i32_e32 vcc, v7, v1
	v_cmp_lt_i64_e64 s[0:1], v[4:5], v[2:3]
	s_or_b64 vcc, vcc, s[0:1]
	v_cndmask_b32_e32 v3, v3, v6, vcc
	v_cndmask_b32_e32 v2, v2, v4, vcc
	;; [unrolled: 1-line block ×3, first 2 shown]
.LBB191_174:
	s_or_b64 exec, exec, s[8:9]
	s_nop 0
	v_mov_b32_dpp v7, v1 quad_perm:[2,3,0,1] row_mask:0xf bank_mask:0xf bound_ctrl:1
	v_mov_b32_dpp v4, v2 quad_perm:[2,3,0,1] row_mask:0xf bank_mask:0xf bound_ctrl:1
	;; [unrolled: 1-line block ×3, first 2 shown]
	v_cmp_ge_i32_e32 vcc, v7, v1
	s_and_saveexec_b64 s[8:9], vcc
	s_cbranch_execz .LBB191_176
; %bb.175:
	s_waitcnt lgkmcnt(0)
	v_mov_b32_e32 v5, v6
	v_cmp_lt_i32_e32 vcc, v1, v7
	v_cmp_lt_i64_e64 s[0:1], v[4:5], v[2:3]
	s_or_b64 vcc, vcc, s[0:1]
	v_cndmask_b32_e32 v3, v3, v6, vcc
	v_cndmask_b32_e32 v2, v2, v4, vcc
	;; [unrolled: 1-line block ×3, first 2 shown]
.LBB191_176:
	s_or_b64 exec, exec, s[8:9]
	s_nop 0
	v_mov_b32_dpp v7, v1 row_ror:4 row_mask:0xf bank_mask:0xf bound_ctrl:1
	v_mov_b32_dpp v4, v2 row_ror:4 row_mask:0xf bank_mask:0xf bound_ctrl:1
	v_mov_b32_dpp v6, v3 row_ror:4 row_mask:0xf bank_mask:0xf bound_ctrl:1
	v_cmp_ge_i32_e32 vcc, v7, v1
	s_and_saveexec_b64 s[8:9], vcc
	s_cbranch_execz .LBB191_178
; %bb.177:
	s_waitcnt lgkmcnt(0)
	v_mov_b32_e32 v5, v6
	v_cmp_lt_i32_e32 vcc, v1, v7
	v_cmp_lt_i64_e64 s[0:1], v[4:5], v[2:3]
	s_or_b64 vcc, vcc, s[0:1]
	v_cndmask_b32_e32 v3, v3, v6, vcc
	v_cndmask_b32_e32 v2, v2, v4, vcc
	;; [unrolled: 1-line block ×3, first 2 shown]
.LBB191_178:
	s_or_b64 exec, exec, s[8:9]
	s_nop 0
	v_mov_b32_dpp v7, v1 row_ror:8 row_mask:0xf bank_mask:0xf bound_ctrl:1
	v_mov_b32_dpp v4, v2 row_ror:8 row_mask:0xf bank_mask:0xf bound_ctrl:1
	;; [unrolled: 1-line block ×3, first 2 shown]
	v_cmp_ge_i32_e32 vcc, v7, v1
	s_and_saveexec_b64 s[8:9], vcc
	s_cbranch_execz .LBB191_180
; %bb.179:
	s_waitcnt lgkmcnt(0)
	v_mov_b32_e32 v5, v6
	v_cmp_lt_i32_e32 vcc, v1, v7
	v_cmp_lt_i64_e64 s[0:1], v[4:5], v[2:3]
	s_or_b64 vcc, vcc, s[0:1]
	v_cndmask_b32_e32 v3, v3, v6, vcc
	v_cndmask_b32_e32 v2, v2, v4, vcc
	;; [unrolled: 1-line block ×3, first 2 shown]
.LBB191_180:
	s_or_b64 exec, exec, s[8:9]
	s_nop 0
	v_mov_b32_dpp v7, v1 row_bcast:15 row_mask:0xf bank_mask:0xf bound_ctrl:1
	v_mov_b32_dpp v4, v2 row_bcast:15 row_mask:0xf bank_mask:0xf bound_ctrl:1
	;; [unrolled: 1-line block ×3, first 2 shown]
	v_cmp_ge_i32_e32 vcc, v7, v1
	s_and_saveexec_b64 s[8:9], vcc
	s_cbranch_execz .LBB191_182
; %bb.181:
	s_waitcnt lgkmcnt(0)
	v_mov_b32_e32 v5, v6
	v_cmp_lt_i32_e32 vcc, v1, v7
	v_cmp_lt_i64_e64 s[0:1], v[4:5], v[2:3]
	s_or_b64 vcc, vcc, s[0:1]
	v_cndmask_b32_e32 v3, v3, v6, vcc
	v_cndmask_b32_e32 v2, v2, v4, vcc
	;; [unrolled: 1-line block ×3, first 2 shown]
.LBB191_182:
	s_or_b64 exec, exec, s[8:9]
	s_waitcnt lgkmcnt(0)
	v_mov_b32_dpp v5, v1 row_bcast:31 row_mask:0xf bank_mask:0xf bound_ctrl:1
	v_mov_b32_dpp v6, v2 row_bcast:31 row_mask:0xf bank_mask:0xf bound_ctrl:1
	v_mov_b32_dpp v7, v3 row_bcast:31 row_mask:0xf bank_mask:0xf bound_ctrl:1
	v_cmp_lt_i32_e32 vcc, v1, v5
	v_cmp_lt_i64_e64 s[0:1], v[6:7], v[2:3]
	v_mbcnt_lo_u32_b32 v4, -1, 0
	s_or_b64 vcc, vcc, s[0:1]
	v_mbcnt_hi_u32_b32 v4, -1, v4
	v_cndmask_b32_e32 v8, v1, v5, vcc
	v_cndmask_b32_e32 v6, v2, v6, vcc
	;; [unrolled: 1-line block ×3, first 2 shown]
	v_cmp_lt_i32_e32 vcc, v5, v1
	v_bfrev_b32_e32 v5, 0.5
	v_cndmask_b32_e32 v3, v7, v3, vcc
	v_cndmask_b32_e32 v2, v6, v2, vcc
	;; [unrolled: 1-line block ×3, first 2 shown]
	v_lshl_or_b32 v5, v4, 2, v5
	ds_bpermute_b32 v1, v5, v1
	ds_bpermute_b32 v2, v5, v2
	;; [unrolled: 1-line block ×3, first 2 shown]
	v_cmp_eq_u32_e32 vcc, 0, v4
	s_and_saveexec_b64 s[0:1], vcc
	s_cbranch_execz .LBB191_184
; %bb.183:
	v_lshrrev_b32_e32 v5, 2, v0
	v_and_b32_e32 v5, 48, v5
	s_waitcnt lgkmcnt(2)
	ds_write_b32 v5, v1
	s_waitcnt lgkmcnt(1)
	ds_write_b64 v5, v[2:3] offset:8
.LBB191_184:
	s_or_b64 exec, exec, s[0:1]
	v_cmp_gt_u32_e32 vcc, 64, v0
	s_waitcnt lgkmcnt(0)
	s_barrier
	s_and_saveexec_b64 s[8:9], vcc
	s_cbranch_execz .LBB191_186
; %bb.185:
	v_and_b32_e32 v1, 3, v4
	v_lshlrev_b32_e32 v2, 4, v1
	ds_read_b32 v5, v2
	ds_read_b64 v[2:3], v2 offset:8
	v_cmp_ne_u32_e32 vcc, 3, v1
	v_addc_co_u32_e32 v6, vcc, 0, v4, vcc
	v_lshlrev_b32_e32 v7, 2, v6
	s_waitcnt lgkmcnt(0)
	ds_bpermute_b32 v6, v7, v3
	ds_bpermute_b32 v10, v7, v5
	;; [unrolled: 1-line block ×3, first 2 shown]
	s_waitcnt lgkmcnt(2)
	v_mov_b32_e32 v9, v6
	s_waitcnt lgkmcnt(1)
	v_cmp_lt_i32_e32 vcc, v10, v5
	s_waitcnt lgkmcnt(0)
	v_cmp_gt_i64_e64 s[0:1], v[8:9], v[2:3]
	s_or_b64 vcc, vcc, s[0:1]
	v_cndmask_b32_e32 v7, v10, v5, vcc
	v_cndmask_b32_e32 v2, v8, v2, vcc
	;; [unrolled: 1-line block ×3, first 2 shown]
	v_cmp_gt_i32_e32 vcc, v10, v5
	v_cndmask_b32_e32 v3, v3, v6, vcc
	v_cndmask_b32_e32 v2, v2, v8, vcc
	;; [unrolled: 1-line block ×3, first 2 shown]
	v_cmp_gt_u32_e32 vcc, 2, v1
	v_cndmask_b32_e64 v1, 0, 1, vcc
	v_lshlrev_b32_e32 v1, 1, v1
	v_add_lshl_u32 v1, v1, v4, 2
	ds_bpermute_b32 v4, v1, v3
	ds_bpermute_b32 v8, v1, v5
	;; [unrolled: 1-line block ×3, first 2 shown]
	s_waitcnt lgkmcnt(2)
	v_mov_b32_e32 v7, v4
	s_waitcnt lgkmcnt(1)
	v_cmp_lt_i32_e32 vcc, v8, v5
	s_waitcnt lgkmcnt(0)
	v_cmp_lt_i64_e64 s[0:1], v[2:3], v[6:7]
	s_or_b64 vcc, vcc, s[0:1]
	v_cndmask_b32_e32 v1, v8, v5, vcc
	v_cndmask_b32_e32 v2, v6, v2, vcc
	v_cndmask_b32_e32 v3, v4, v3, vcc
	v_cmp_lt_i32_e32 vcc, v5, v8
	v_cndmask_b32_e32 v3, v3, v4, vcc
	v_cndmask_b32_e32 v2, v2, v6, vcc
	;; [unrolled: 1-line block ×3, first 2 shown]
.LBB191_186:
	s_or_b64 exec, exec, s[8:9]
.LBB191_187:
	v_cmp_eq_u32_e64 s[0:1], 0, v0
	s_and_saveexec_b64 s[2:3], s[0:1]
	s_cbranch_execnz .LBB191_190
	s_branch .LBB191_191
.LBB191_188:
                                        ; implicit-def: $vgpr2_vgpr3
                                        ; implicit-def: $vgpr1
                                        ; implicit-def: $sgpr6_sgpr7
.LBB191_189:
	s_and_saveexec_b64 s[2:3], s[0:1]
	s_cbranch_execz .LBB191_191
.LBB191_190:
	s_load_dwordx2 s[0:1], s[4:5], 0x18
	s_load_dword s8, s[4:5], 0x20
	s_load_dwordx2 s[2:3], s[4:5], 0x28
	s_lshl_b64 s[4:5], s[6:7], 4
	s_waitcnt lgkmcnt(0)
	v_mov_b32_e32 v4, 0
	s_add_u32 s0, s0, s4
	s_addc_u32 s1, s1, s5
	s_cmp_eq_u64 s[22:23], 0
	v_mov_b32_e32 v0, s8
	s_cselect_b64 vcc, -1, 0
	v_cndmask_b32_e32 v5, v1, v0, vcc
	v_mov_b32_e32 v0, s3
	v_cndmask_b32_e32 v1, v3, v0, vcc
	v_mov_b32_e32 v0, s2
	v_cndmask_b32_e32 v0, v2, v0, vcc
	global_store_dword v4, v5, s[0:1]
	global_store_dwordx2 v4, v[0:1], s[0:1] offset:8
.LBB191_191:
	s_endpgm
.LBB191_192:
                                        ; implicit-def: $vgpr2_vgpr3
                                        ; implicit-def: $vgpr1
	s_cbranch_execz .LBB191_187
; %bb.193:
	s_sub_i32 s8, s22, s2
	v_cmp_gt_u32_e32 vcc, s8, v0
	v_pk_mov_b32 v[2:3], 0, 0
	v_mov_b32_e32 v1, 0
	s_and_saveexec_b64 s[0:1], vcc
	s_cbranch_execz .LBB191_195
; %bb.194:
	s_lshl_b64 s[2:3], s[2:3], 4
	s_add_u32 s2, s20, s2
	s_addc_u32 s3, s21, s3
	s_waitcnt lgkmcnt(1)
	v_lshlrev_b32_e32 v4, 4, v0
	global_load_dword v1, v4, s[2:3]
	global_load_dwordx2 v[2:3], v4, s[2:3] offset:8
.LBB191_195:
	s_or_b64 exec, exec, s[0:1]
	s_waitcnt lgkmcnt(1)
	v_mbcnt_lo_u32_b32 v4, -1, 0
	v_mbcnt_hi_u32_b32 v7, -1, v4
	v_and_b32_e32 v8, 63, v7
	v_cmp_ne_u32_e32 vcc, 63, v8
	v_addc_co_u32_e32 v4, vcc, 0, v7, vcc
	s_waitcnt lgkmcnt(0)
	v_lshlrev_b32_e32 v5, 2, v4
	s_waitcnt vmcnt(1)
	ds_bpermute_b32 v10, v5, v1
	s_waitcnt vmcnt(0)
	ds_bpermute_b32 v4, v5, v2
	ds_bpermute_b32 v6, v5, v3
	s_min_u32 s8, s8, 0x100
	v_and_b32_e32 v5, 0xc0, v0
	v_sub_u32_e64 v9, s8, v5 clamp
	v_add_u32_e32 v5, 1, v8
	v_cmp_lt_u32_e32 vcc, v5, v9
	s_and_saveexec_b64 s[2:3], vcc
	s_cbranch_execz .LBB191_197
; %bb.196:
	s_waitcnt lgkmcnt(0)
	v_mov_b32_e32 v5, v6
	v_cmp_lt_i32_e32 vcc, v10, v1
	v_cmp_lt_i64_e64 s[0:1], v[2:3], v[4:5]
	s_or_b64 vcc, vcc, s[0:1]
	v_cndmask_b32_e32 v5, v10, v1, vcc
	v_cndmask_b32_e32 v2, v4, v2, vcc
	v_cndmask_b32_e32 v3, v6, v3, vcc
	v_cmp_lt_i32_e32 vcc, v1, v10
	v_cndmask_b32_e32 v3, v3, v6, vcc
	v_cndmask_b32_e32 v2, v2, v4, vcc
	v_cndmask_b32_e32 v1, v5, v10, vcc
.LBB191_197:
	s_or_b64 exec, exec, s[2:3]
	v_cmp_gt_u32_e32 vcc, 62, v8
	s_waitcnt lgkmcnt(1)
	v_cndmask_b32_e64 v4, 0, 1, vcc
	v_lshlrev_b32_e32 v4, 1, v4
	v_add_lshl_u32 v5, v4, v7, 2
	ds_bpermute_b32 v10, v5, v1
	ds_bpermute_b32 v4, v5, v2
	s_waitcnt lgkmcnt(2)
	ds_bpermute_b32 v6, v5, v3
	v_add_u32_e32 v5, 2, v8
	v_cmp_lt_u32_e32 vcc, v5, v9
	s_and_saveexec_b64 s[2:3], vcc
	s_cbranch_execz .LBB191_199
; %bb.198:
	s_waitcnt lgkmcnt(0)
	v_mov_b32_e32 v5, v6
	v_cmp_lt_i32_e32 vcc, v10, v1
	v_cmp_lt_i64_e64 s[0:1], v[2:3], v[4:5]
	s_or_b64 vcc, vcc, s[0:1]
	v_cndmask_b32_e32 v5, v10, v1, vcc
	v_cndmask_b32_e32 v2, v4, v2, vcc
	v_cndmask_b32_e32 v3, v6, v3, vcc
	v_cmp_lt_i32_e32 vcc, v1, v10
	v_cndmask_b32_e32 v3, v3, v6, vcc
	v_cndmask_b32_e32 v2, v2, v4, vcc
	v_cndmask_b32_e32 v1, v5, v10, vcc
.LBB191_199:
	s_or_b64 exec, exec, s[2:3]
	v_cmp_gt_u32_e32 vcc, 60, v8
	s_waitcnt lgkmcnt(1)
	v_cndmask_b32_e64 v4, 0, 1, vcc
	v_lshlrev_b32_e32 v4, 2, v4
	v_add_lshl_u32 v5, v4, v7, 2
	ds_bpermute_b32 v10, v5, v1
	ds_bpermute_b32 v4, v5, v2
	s_waitcnt lgkmcnt(2)
	ds_bpermute_b32 v6, v5, v3
	;; [unrolled: 28-line block ×4, first 2 shown]
	v_add_u32_e32 v5, 16, v8
	v_cmp_lt_u32_e32 vcc, v5, v9
	s_and_saveexec_b64 s[2:3], vcc
	s_cbranch_execz .LBB191_205
; %bb.204:
	s_waitcnt lgkmcnt(0)
	v_mov_b32_e32 v5, v6
	v_cmp_lt_i32_e32 vcc, v10, v1
	v_cmp_lt_i64_e64 s[0:1], v[2:3], v[4:5]
	s_or_b64 vcc, vcc, s[0:1]
	v_cndmask_b32_e32 v5, v10, v1, vcc
	v_cndmask_b32_e32 v2, v4, v2, vcc
	;; [unrolled: 1-line block ×3, first 2 shown]
	v_cmp_lt_i32_e32 vcc, v1, v10
	v_cndmask_b32_e32 v3, v3, v6, vcc
	v_cndmask_b32_e32 v2, v2, v4, vcc
	;; [unrolled: 1-line block ×3, first 2 shown]
.LBB191_205:
	s_or_b64 exec, exec, s[2:3]
	v_cmp_gt_u32_e32 vcc, 32, v8
	s_waitcnt lgkmcnt(1)
	v_cndmask_b32_e64 v4, 0, 1, vcc
	v_lshlrev_b32_e32 v4, 5, v4
	v_add_lshl_u32 v5, v4, v7, 2
	s_waitcnt lgkmcnt(0)
	ds_bpermute_b32 v6, v5, v1
	ds_bpermute_b32 v4, v5, v2
	;; [unrolled: 1-line block ×3, first 2 shown]
	v_add_u32_e32 v8, 32, v8
	v_cmp_lt_u32_e32 vcc, v8, v9
	s_and_saveexec_b64 s[2:3], vcc
	s_cbranch_execz .LBB191_207
; %bb.206:
	s_waitcnt lgkmcnt(2)
	v_cmp_lt_i32_e32 vcc, v6, v1
	s_waitcnt lgkmcnt(0)
	v_cmp_lt_i64_e64 s[0:1], v[2:3], v[4:5]
	s_or_b64 vcc, vcc, s[0:1]
	v_cndmask_b32_e32 v8, v6, v1, vcc
	v_cndmask_b32_e32 v2, v4, v2, vcc
	;; [unrolled: 1-line block ×3, first 2 shown]
	v_cmp_lt_i32_e32 vcc, v1, v6
	v_cndmask_b32_e32 v3, v3, v5, vcc
	v_cndmask_b32_e32 v2, v2, v4, vcc
	;; [unrolled: 1-line block ×3, first 2 shown]
.LBB191_207:
	s_or_b64 exec, exec, s[2:3]
	v_cmp_eq_u32_e32 vcc, 0, v7
	s_and_saveexec_b64 s[0:1], vcc
	s_cbranch_execz .LBB191_209
; %bb.208:
	s_waitcnt lgkmcnt(1)
	v_lshrrev_b32_e32 v4, 2, v0
	v_and_b32_e32 v4, 48, v4
	ds_write_b32 v4, v1 offset:256
	ds_write_b64 v4, v[2:3] offset:264
.LBB191_209:
	s_or_b64 exec, exec, s[0:1]
	v_cmp_gt_u32_e32 vcc, 4, v0
	s_waitcnt lgkmcnt(0)
	s_barrier
	s_and_saveexec_b64 s[2:3], vcc
	s_cbranch_execz .LBB191_215
; %bb.210:
	v_lshlrev_b32_e32 v2, 4, v7
	ds_read_b32 v1, v2 offset:256
	ds_read_b64 v[2:3], v2 offset:264
	v_and_b32_e32 v8, 3, v7
	v_cmp_ne_u32_e32 vcc, 3, v8
	v_addc_co_u32_e32 v4, vcc, 0, v7, vcc
	v_lshlrev_b32_e32 v5, 2, v4
	s_waitcnt lgkmcnt(1)
	ds_bpermute_b32 v9, v5, v1
	s_waitcnt lgkmcnt(1)
	ds_bpermute_b32 v4, v5, v2
	ds_bpermute_b32 v6, v5, v3
	s_add_i32 s8, s8, 63
	s_lshr_b32 s10, s8, 6
	v_add_u32_e32 v5, 1, v8
	v_cmp_gt_u32_e32 vcc, s10, v5
	s_and_saveexec_b64 s[8:9], vcc
	s_cbranch_execz .LBB191_212
; %bb.211:
	s_waitcnt lgkmcnt(0)
	v_mov_b32_e32 v5, v6
	v_cmp_lt_i32_e32 vcc, v9, v1
	v_cmp_lt_i64_e64 s[0:1], v[2:3], v[4:5]
	s_or_b64 vcc, vcc, s[0:1]
	v_cndmask_b32_e32 v5, v9, v1, vcc
	v_cndmask_b32_e32 v2, v4, v2, vcc
	;; [unrolled: 1-line block ×3, first 2 shown]
	v_cmp_lt_i32_e32 vcc, v1, v9
	v_cndmask_b32_e32 v3, v3, v6, vcc
	v_cndmask_b32_e32 v2, v2, v4, vcc
	;; [unrolled: 1-line block ×3, first 2 shown]
.LBB191_212:
	s_or_b64 exec, exec, s[8:9]
	v_cmp_gt_u32_e32 vcc, 2, v8
	s_waitcnt lgkmcnt(1)
	v_cndmask_b32_e64 v4, 0, 1, vcc
	v_lshlrev_b32_e32 v4, 1, v4
	v_add_lshl_u32 v5, v4, v7, 2
	s_waitcnt lgkmcnt(0)
	ds_bpermute_b32 v6, v5, v1
	ds_bpermute_b32 v4, v5, v2
	;; [unrolled: 1-line block ×3, first 2 shown]
	v_add_u32_e32 v7, 2, v8
	v_cmp_gt_u32_e32 vcc, s10, v7
	s_and_saveexec_b64 s[8:9], vcc
	s_cbranch_execz .LBB191_214
; %bb.213:
	s_waitcnt lgkmcnt(2)
	v_cmp_lt_i32_e32 vcc, v6, v1
	s_waitcnt lgkmcnt(0)
	v_cmp_lt_i64_e64 s[0:1], v[2:3], v[4:5]
	s_or_b64 vcc, vcc, s[0:1]
	v_cndmask_b32_e32 v7, v6, v1, vcc
	v_cndmask_b32_e32 v2, v4, v2, vcc
	;; [unrolled: 1-line block ×3, first 2 shown]
	v_cmp_lt_i32_e32 vcc, v1, v6
	v_cndmask_b32_e32 v3, v3, v5, vcc
	v_cndmask_b32_e32 v2, v2, v4, vcc
	;; [unrolled: 1-line block ×3, first 2 shown]
.LBB191_214:
	s_or_b64 exec, exec, s[8:9]
.LBB191_215:
	s_or_b64 exec, exec, s[2:3]
	v_cmp_eq_u32_e64 s[0:1], 0, v0
	s_and_saveexec_b64 s[2:3], s[0:1]
	s_cbranch_execnz .LBB191_190
	s_branch .LBB191_191
.LBB191_216:
	v_lshlrev_b32_e32 v25, 4, v25
	global_load_dword v18, v25, s[16:17]
	global_load_dwordx2 v[4:5], v25, s[16:17] offset:8
	s_or_b64 exec, exec, s[24:25]
	s_and_saveexec_b64 s[24:25], s[14:15]
	s_cbranch_execz .LBB191_58
.LBB191_217:
	s_waitcnt vmcnt(1)
	v_cmp_lt_i32_e64 s[14:15], v22, v1
	s_waitcnt vmcnt(0)
	v_cmp_lt_i64_e64 s[16:17], v[2:3], v[12:13]
	s_or_b64 s[14:15], s[14:15], s[16:17]
	v_cndmask_b32_e64 v25, v22, v1, s[14:15]
	v_cndmask_b32_e64 v2, v12, v2, s[14:15]
	;; [unrolled: 1-line block ×3, first 2 shown]
	v_cmp_lt_i32_e64 s[14:15], v1, v22
	v_cndmask_b32_e64 v3, v3, v13, s[14:15]
	v_cndmask_b32_e64 v2, v2, v12, s[14:15]
	;; [unrolled: 1-line block ×3, first 2 shown]
	s_or_b64 exec, exec, s[24:25]
	s_and_saveexec_b64 s[16:17], s[12:13]
	s_cbranch_execz .LBB191_59
.LBB191_218:
	s_waitcnt vmcnt(1)
	v_cmp_lt_i32_e64 s[12:13], v24, v1
	s_waitcnt vmcnt(0)
	v_cmp_lt_i64_e64 s[14:15], v[2:3], v[16:17]
	s_or_b64 s[12:13], s[12:13], s[14:15]
	v_cndmask_b32_e64 v12, v24, v1, s[12:13]
	v_cndmask_b32_e64 v2, v16, v2, s[12:13]
	;; [unrolled: 1-line block ×3, first 2 shown]
	v_cmp_lt_i32_e64 s[12:13], v1, v24
	v_cndmask_b32_e64 v3, v3, v17, s[12:13]
	v_cndmask_b32_e64 v2, v2, v16, s[12:13]
	;; [unrolled: 1-line block ×3, first 2 shown]
	s_or_b64 exec, exec, s[16:17]
	s_and_saveexec_b64 s[14:15], s[10:11]
	s_cbranch_execz .LBB191_60
.LBB191_219:
	s_waitcnt vmcnt(1)
	v_cmp_lt_i32_e64 s[10:11], v20, v1
	s_waitcnt vmcnt(0)
	v_cmp_lt_i64_e64 s[12:13], v[2:3], v[8:9]
	s_or_b64 s[10:11], s[10:11], s[12:13]
	v_cndmask_b32_e64 v12, v20, v1, s[10:11]
	v_cndmask_b32_e64 v2, v8, v2, s[10:11]
	;; [unrolled: 1-line block ×3, first 2 shown]
	v_cmp_lt_i32_e64 s[10:11], v1, v20
	v_cndmask_b32_e64 v3, v3, v9, s[10:11]
	v_cndmask_b32_e64 v2, v2, v8, s[10:11]
	;; [unrolled: 1-line block ×3, first 2 shown]
	s_or_b64 exec, exec, s[14:15]
	s_and_saveexec_b64 s[12:13], s[8:9]
	s_cbranch_execz .LBB191_61
.LBB191_220:
	s_waitcnt vmcnt(1)
	v_cmp_lt_i32_e64 s[8:9], v23, v1
	s_waitcnt vmcnt(0)
	v_cmp_lt_i64_e64 s[10:11], v[2:3], v[14:15]
	s_or_b64 s[8:9], s[8:9], s[10:11]
	v_cndmask_b32_e64 v8, v23, v1, s[8:9]
	v_cndmask_b32_e64 v2, v14, v2, s[8:9]
	v_cndmask_b32_e64 v3, v15, v3, s[8:9]
	v_cmp_lt_i32_e64 s[8:9], v1, v23
	v_cndmask_b32_e64 v3, v3, v15, s[8:9]
	v_cndmask_b32_e64 v2, v2, v14, s[8:9]
	;; [unrolled: 1-line block ×3, first 2 shown]
	s_or_b64 exec, exec, s[12:13]
	s_and_saveexec_b64 s[10:11], s[2:3]
	s_cbranch_execz .LBB191_62
.LBB191_221:
	s_waitcnt vmcnt(1)
	v_cmp_lt_i32_e64 s[2:3], v19, v1
	s_waitcnt vmcnt(0)
	v_cmp_lt_i64_e64 s[8:9], v[2:3], v[6:7]
	s_or_b64 s[2:3], s[2:3], s[8:9]
	v_cndmask_b32_e64 v8, v19, v1, s[2:3]
	v_cndmask_b32_e64 v2, v6, v2, s[2:3]
	;; [unrolled: 1-line block ×3, first 2 shown]
	v_cmp_lt_i32_e64 s[2:3], v1, v19
	v_cndmask_b32_e64 v3, v3, v7, s[2:3]
	v_cndmask_b32_e64 v2, v2, v6, s[2:3]
	;; [unrolled: 1-line block ×3, first 2 shown]
	s_or_b64 exec, exec, s[10:11]
	s_and_saveexec_b64 s[8:9], s[0:1]
	s_cbranch_execz .LBB191_63
.LBB191_222:
	s_waitcnt vmcnt(1)
	v_cmp_lt_i32_e64 s[0:1], v21, v1
	s_waitcnt vmcnt(0)
	v_cmp_lt_i64_e64 s[2:3], v[2:3], v[10:11]
	s_or_b64 s[0:1], s[0:1], s[2:3]
	v_cndmask_b32_e64 v6, v21, v1, s[0:1]
	v_cndmask_b32_e64 v2, v10, v2, s[0:1]
	;; [unrolled: 1-line block ×3, first 2 shown]
	v_cmp_lt_i32_e64 s[0:1], v1, v21
	v_cndmask_b32_e64 v3, v3, v11, s[0:1]
	v_cndmask_b32_e64 v2, v2, v10, s[0:1]
	;; [unrolled: 1-line block ×3, first 2 shown]
	s_or_b64 exec, exec, s[8:9]
	s_and_saveexec_b64 s[2:3], vcc
	s_cbranch_execnz .LBB191_64
	s_branch .LBB191_65
.LBB191_223:
	v_lshlrev_b32_e32 v13, 4, v13
	global_load_dword v10, v13, s[8:9]
	global_load_dwordx2 v[4:5], v13, s[8:9] offset:8
	s_or_b64 exec, exec, s[10:11]
	s_and_saveexec_b64 s[10:11], s[2:3]
	s_cbranch_execz .LBB191_96
.LBB191_224:
	s_waitcnt vmcnt(1)
	v_cmp_lt_i32_e64 s[2:3], v11, v1
	s_waitcnt vmcnt(0)
	v_cmp_lt_i64_e64 s[8:9], v[2:3], v[6:7]
	s_or_b64 s[2:3], s[2:3], s[8:9]
	v_cndmask_b32_e64 v13, v11, v1, s[2:3]
	v_cndmask_b32_e64 v2, v6, v2, s[2:3]
	;; [unrolled: 1-line block ×3, first 2 shown]
	v_cmp_lt_i32_e64 s[2:3], v1, v11
	v_cndmask_b32_e64 v3, v3, v7, s[2:3]
	v_cndmask_b32_e64 v2, v2, v6, s[2:3]
	;; [unrolled: 1-line block ×3, first 2 shown]
	s_or_b64 exec, exec, s[10:11]
	s_and_saveexec_b64 s[8:9], s[0:1]
	s_cbranch_execz .LBB191_97
.LBB191_225:
	s_waitcnt vmcnt(1)
	v_cmp_lt_i32_e64 s[0:1], v12, v1
	s_waitcnt vmcnt(0)
	v_cmp_lt_i64_e64 s[2:3], v[2:3], v[8:9]
	s_or_b64 s[0:1], s[0:1], s[2:3]
	v_cndmask_b32_e64 v6, v12, v1, s[0:1]
	v_cndmask_b32_e64 v2, v8, v2, s[0:1]
	;; [unrolled: 1-line block ×3, first 2 shown]
	v_cmp_lt_i32_e64 s[0:1], v1, v12
	v_cndmask_b32_e64 v3, v3, v9, s[0:1]
	v_cndmask_b32_e64 v2, v2, v8, s[0:1]
	;; [unrolled: 1-line block ×3, first 2 shown]
	s_or_b64 exec, exec, s[8:9]
	s_and_saveexec_b64 s[2:3], vcc
	s_cbranch_execnz .LBB191_98
	s_branch .LBB191_99
	.section	.rodata,"a",@progbits
	.p2align	6, 0x0
	.amdhsa_kernel _ZN7rocprim17ROCPRIM_400000_NS6detail17trampoline_kernelINS0_14default_configENS1_22reduce_config_selectorIN6thrust23THRUST_200600_302600_NS5tupleIilNS6_9null_typeES8_S8_S8_S8_S8_S8_S8_EEEEZNS1_11reduce_implILb0ES3_PS9_SC_S9_NS6_11hip_rocprim9__extrema9arg_max_fIilNS6_4lessIiEEEEEE10hipError_tPvRmT1_T2_T3_mT4_P12ihipStream_tbEUlT_E1_NS1_11comp_targetILNS1_3genE4ELNS1_11target_archE910ELNS1_3gpuE8ELNS1_3repE0EEENS1_30default_config_static_selectorELNS0_4arch9wavefront6targetE1EEEvSM_
		.amdhsa_group_segment_fixed_size 320
		.amdhsa_private_segment_fixed_size 0
		.amdhsa_kernarg_size 56
		.amdhsa_user_sgpr_count 6
		.amdhsa_user_sgpr_private_segment_buffer 1
		.amdhsa_user_sgpr_dispatch_ptr 0
		.amdhsa_user_sgpr_queue_ptr 0
		.amdhsa_user_sgpr_kernarg_segment_ptr 1
		.amdhsa_user_sgpr_dispatch_id 0
		.amdhsa_user_sgpr_flat_scratch_init 0
		.amdhsa_user_sgpr_kernarg_preload_length 0
		.amdhsa_user_sgpr_kernarg_preload_offset 0
		.amdhsa_user_sgpr_private_segment_size 0
		.amdhsa_uses_dynamic_stack 0
		.amdhsa_system_sgpr_private_segment_wavefront_offset 0
		.amdhsa_system_sgpr_workgroup_id_x 1
		.amdhsa_system_sgpr_workgroup_id_y 0
		.amdhsa_system_sgpr_workgroup_id_z 0
		.amdhsa_system_sgpr_workgroup_info 0
		.amdhsa_system_vgpr_workitem_id 0
		.amdhsa_next_free_vgpr 28
		.amdhsa_next_free_sgpr 28
		.amdhsa_accum_offset 28
		.amdhsa_reserve_vcc 1
		.amdhsa_reserve_flat_scratch 0
		.amdhsa_float_round_mode_32 0
		.amdhsa_float_round_mode_16_64 0
		.amdhsa_float_denorm_mode_32 3
		.amdhsa_float_denorm_mode_16_64 3
		.amdhsa_dx10_clamp 1
		.amdhsa_ieee_mode 1
		.amdhsa_fp16_overflow 0
		.amdhsa_tg_split 0
		.amdhsa_exception_fp_ieee_invalid_op 0
		.amdhsa_exception_fp_denorm_src 0
		.amdhsa_exception_fp_ieee_div_zero 0
		.amdhsa_exception_fp_ieee_overflow 0
		.amdhsa_exception_fp_ieee_underflow 0
		.amdhsa_exception_fp_ieee_inexact 0
		.amdhsa_exception_int_div_zero 0
	.end_amdhsa_kernel
	.section	.text._ZN7rocprim17ROCPRIM_400000_NS6detail17trampoline_kernelINS0_14default_configENS1_22reduce_config_selectorIN6thrust23THRUST_200600_302600_NS5tupleIilNS6_9null_typeES8_S8_S8_S8_S8_S8_S8_EEEEZNS1_11reduce_implILb0ES3_PS9_SC_S9_NS6_11hip_rocprim9__extrema9arg_max_fIilNS6_4lessIiEEEEEE10hipError_tPvRmT1_T2_T3_mT4_P12ihipStream_tbEUlT_E1_NS1_11comp_targetILNS1_3genE4ELNS1_11target_archE910ELNS1_3gpuE8ELNS1_3repE0EEENS1_30default_config_static_selectorELNS0_4arch9wavefront6targetE1EEEvSM_,"axG",@progbits,_ZN7rocprim17ROCPRIM_400000_NS6detail17trampoline_kernelINS0_14default_configENS1_22reduce_config_selectorIN6thrust23THRUST_200600_302600_NS5tupleIilNS6_9null_typeES8_S8_S8_S8_S8_S8_S8_EEEEZNS1_11reduce_implILb0ES3_PS9_SC_S9_NS6_11hip_rocprim9__extrema9arg_max_fIilNS6_4lessIiEEEEEE10hipError_tPvRmT1_T2_T3_mT4_P12ihipStream_tbEUlT_E1_NS1_11comp_targetILNS1_3genE4ELNS1_11target_archE910ELNS1_3gpuE8ELNS1_3repE0EEENS1_30default_config_static_selectorELNS0_4arch9wavefront6targetE1EEEvSM_,comdat
.Lfunc_end191:
	.size	_ZN7rocprim17ROCPRIM_400000_NS6detail17trampoline_kernelINS0_14default_configENS1_22reduce_config_selectorIN6thrust23THRUST_200600_302600_NS5tupleIilNS6_9null_typeES8_S8_S8_S8_S8_S8_S8_EEEEZNS1_11reduce_implILb0ES3_PS9_SC_S9_NS6_11hip_rocprim9__extrema9arg_max_fIilNS6_4lessIiEEEEEE10hipError_tPvRmT1_T2_T3_mT4_P12ihipStream_tbEUlT_E1_NS1_11comp_targetILNS1_3genE4ELNS1_11target_archE910ELNS1_3gpuE8ELNS1_3repE0EEENS1_30default_config_static_selectorELNS0_4arch9wavefront6targetE1EEEvSM_, .Lfunc_end191-_ZN7rocprim17ROCPRIM_400000_NS6detail17trampoline_kernelINS0_14default_configENS1_22reduce_config_selectorIN6thrust23THRUST_200600_302600_NS5tupleIilNS6_9null_typeES8_S8_S8_S8_S8_S8_S8_EEEEZNS1_11reduce_implILb0ES3_PS9_SC_S9_NS6_11hip_rocprim9__extrema9arg_max_fIilNS6_4lessIiEEEEEE10hipError_tPvRmT1_T2_T3_mT4_P12ihipStream_tbEUlT_E1_NS1_11comp_targetILNS1_3genE4ELNS1_11target_archE910ELNS1_3gpuE8ELNS1_3repE0EEENS1_30default_config_static_selectorELNS0_4arch9wavefront6targetE1EEEvSM_
                                        ; -- End function
	.section	.AMDGPU.csdata,"",@progbits
; Kernel info:
; codeLenInByte = 11256
; NumSgprs: 32
; NumVgprs: 28
; NumAgprs: 0
; TotalNumVgprs: 28
; ScratchSize: 0
; MemoryBound: 0
; FloatMode: 240
; IeeeMode: 1
; LDSByteSize: 320 bytes/workgroup (compile time only)
; SGPRBlocks: 3
; VGPRBlocks: 3
; NumSGPRsForWavesPerEU: 32
; NumVGPRsForWavesPerEU: 28
; AccumOffset: 28
; Occupancy: 8
; WaveLimiterHint : 1
; COMPUTE_PGM_RSRC2:SCRATCH_EN: 0
; COMPUTE_PGM_RSRC2:USER_SGPR: 6
; COMPUTE_PGM_RSRC2:TRAP_HANDLER: 0
; COMPUTE_PGM_RSRC2:TGID_X_EN: 1
; COMPUTE_PGM_RSRC2:TGID_Y_EN: 0
; COMPUTE_PGM_RSRC2:TGID_Z_EN: 0
; COMPUTE_PGM_RSRC2:TIDIG_COMP_CNT: 0
; COMPUTE_PGM_RSRC3_GFX90A:ACCUM_OFFSET: 6
; COMPUTE_PGM_RSRC3_GFX90A:TG_SPLIT: 0
	.section	.text._ZN7rocprim17ROCPRIM_400000_NS6detail17trampoline_kernelINS0_14default_configENS1_22reduce_config_selectorIN6thrust23THRUST_200600_302600_NS5tupleIilNS6_9null_typeES8_S8_S8_S8_S8_S8_S8_EEEEZNS1_11reduce_implILb0ES3_PS9_SC_S9_NS6_11hip_rocprim9__extrema9arg_max_fIilNS6_4lessIiEEEEEE10hipError_tPvRmT1_T2_T3_mT4_P12ihipStream_tbEUlT_E1_NS1_11comp_targetILNS1_3genE3ELNS1_11target_archE908ELNS1_3gpuE7ELNS1_3repE0EEENS1_30default_config_static_selectorELNS0_4arch9wavefront6targetE1EEEvSM_,"axG",@progbits,_ZN7rocprim17ROCPRIM_400000_NS6detail17trampoline_kernelINS0_14default_configENS1_22reduce_config_selectorIN6thrust23THRUST_200600_302600_NS5tupleIilNS6_9null_typeES8_S8_S8_S8_S8_S8_S8_EEEEZNS1_11reduce_implILb0ES3_PS9_SC_S9_NS6_11hip_rocprim9__extrema9arg_max_fIilNS6_4lessIiEEEEEE10hipError_tPvRmT1_T2_T3_mT4_P12ihipStream_tbEUlT_E1_NS1_11comp_targetILNS1_3genE3ELNS1_11target_archE908ELNS1_3gpuE7ELNS1_3repE0EEENS1_30default_config_static_selectorELNS0_4arch9wavefront6targetE1EEEvSM_,comdat
	.protected	_ZN7rocprim17ROCPRIM_400000_NS6detail17trampoline_kernelINS0_14default_configENS1_22reduce_config_selectorIN6thrust23THRUST_200600_302600_NS5tupleIilNS6_9null_typeES8_S8_S8_S8_S8_S8_S8_EEEEZNS1_11reduce_implILb0ES3_PS9_SC_S9_NS6_11hip_rocprim9__extrema9arg_max_fIilNS6_4lessIiEEEEEE10hipError_tPvRmT1_T2_T3_mT4_P12ihipStream_tbEUlT_E1_NS1_11comp_targetILNS1_3genE3ELNS1_11target_archE908ELNS1_3gpuE7ELNS1_3repE0EEENS1_30default_config_static_selectorELNS0_4arch9wavefront6targetE1EEEvSM_ ; -- Begin function _ZN7rocprim17ROCPRIM_400000_NS6detail17trampoline_kernelINS0_14default_configENS1_22reduce_config_selectorIN6thrust23THRUST_200600_302600_NS5tupleIilNS6_9null_typeES8_S8_S8_S8_S8_S8_S8_EEEEZNS1_11reduce_implILb0ES3_PS9_SC_S9_NS6_11hip_rocprim9__extrema9arg_max_fIilNS6_4lessIiEEEEEE10hipError_tPvRmT1_T2_T3_mT4_P12ihipStream_tbEUlT_E1_NS1_11comp_targetILNS1_3genE3ELNS1_11target_archE908ELNS1_3gpuE7ELNS1_3repE0EEENS1_30default_config_static_selectorELNS0_4arch9wavefront6targetE1EEEvSM_
	.globl	_ZN7rocprim17ROCPRIM_400000_NS6detail17trampoline_kernelINS0_14default_configENS1_22reduce_config_selectorIN6thrust23THRUST_200600_302600_NS5tupleIilNS6_9null_typeES8_S8_S8_S8_S8_S8_S8_EEEEZNS1_11reduce_implILb0ES3_PS9_SC_S9_NS6_11hip_rocprim9__extrema9arg_max_fIilNS6_4lessIiEEEEEE10hipError_tPvRmT1_T2_T3_mT4_P12ihipStream_tbEUlT_E1_NS1_11comp_targetILNS1_3genE3ELNS1_11target_archE908ELNS1_3gpuE7ELNS1_3repE0EEENS1_30default_config_static_selectorELNS0_4arch9wavefront6targetE1EEEvSM_
	.p2align	8
	.type	_ZN7rocprim17ROCPRIM_400000_NS6detail17trampoline_kernelINS0_14default_configENS1_22reduce_config_selectorIN6thrust23THRUST_200600_302600_NS5tupleIilNS6_9null_typeES8_S8_S8_S8_S8_S8_S8_EEEEZNS1_11reduce_implILb0ES3_PS9_SC_S9_NS6_11hip_rocprim9__extrema9arg_max_fIilNS6_4lessIiEEEEEE10hipError_tPvRmT1_T2_T3_mT4_P12ihipStream_tbEUlT_E1_NS1_11comp_targetILNS1_3genE3ELNS1_11target_archE908ELNS1_3gpuE7ELNS1_3repE0EEENS1_30default_config_static_selectorELNS0_4arch9wavefront6targetE1EEEvSM_,@function
_ZN7rocprim17ROCPRIM_400000_NS6detail17trampoline_kernelINS0_14default_configENS1_22reduce_config_selectorIN6thrust23THRUST_200600_302600_NS5tupleIilNS6_9null_typeES8_S8_S8_S8_S8_S8_S8_EEEEZNS1_11reduce_implILb0ES3_PS9_SC_S9_NS6_11hip_rocprim9__extrema9arg_max_fIilNS6_4lessIiEEEEEE10hipError_tPvRmT1_T2_T3_mT4_P12ihipStream_tbEUlT_E1_NS1_11comp_targetILNS1_3genE3ELNS1_11target_archE908ELNS1_3gpuE7ELNS1_3repE0EEENS1_30default_config_static_selectorELNS0_4arch9wavefront6targetE1EEEvSM_: ; @_ZN7rocprim17ROCPRIM_400000_NS6detail17trampoline_kernelINS0_14default_configENS1_22reduce_config_selectorIN6thrust23THRUST_200600_302600_NS5tupleIilNS6_9null_typeES8_S8_S8_S8_S8_S8_S8_EEEEZNS1_11reduce_implILb0ES3_PS9_SC_S9_NS6_11hip_rocprim9__extrema9arg_max_fIilNS6_4lessIiEEEEEE10hipError_tPvRmT1_T2_T3_mT4_P12ihipStream_tbEUlT_E1_NS1_11comp_targetILNS1_3genE3ELNS1_11target_archE908ELNS1_3gpuE7ELNS1_3repE0EEENS1_30default_config_static_selectorELNS0_4arch9wavefront6targetE1EEEvSM_
; %bb.0:
	.section	.rodata,"a",@progbits
	.p2align	6, 0x0
	.amdhsa_kernel _ZN7rocprim17ROCPRIM_400000_NS6detail17trampoline_kernelINS0_14default_configENS1_22reduce_config_selectorIN6thrust23THRUST_200600_302600_NS5tupleIilNS6_9null_typeES8_S8_S8_S8_S8_S8_S8_EEEEZNS1_11reduce_implILb0ES3_PS9_SC_S9_NS6_11hip_rocprim9__extrema9arg_max_fIilNS6_4lessIiEEEEEE10hipError_tPvRmT1_T2_T3_mT4_P12ihipStream_tbEUlT_E1_NS1_11comp_targetILNS1_3genE3ELNS1_11target_archE908ELNS1_3gpuE7ELNS1_3repE0EEENS1_30default_config_static_selectorELNS0_4arch9wavefront6targetE1EEEvSM_
		.amdhsa_group_segment_fixed_size 0
		.amdhsa_private_segment_fixed_size 0
		.amdhsa_kernarg_size 56
		.amdhsa_user_sgpr_count 6
		.amdhsa_user_sgpr_private_segment_buffer 1
		.amdhsa_user_sgpr_dispatch_ptr 0
		.amdhsa_user_sgpr_queue_ptr 0
		.amdhsa_user_sgpr_kernarg_segment_ptr 1
		.amdhsa_user_sgpr_dispatch_id 0
		.amdhsa_user_sgpr_flat_scratch_init 0
		.amdhsa_user_sgpr_kernarg_preload_length 0
		.amdhsa_user_sgpr_kernarg_preload_offset 0
		.amdhsa_user_sgpr_private_segment_size 0
		.amdhsa_uses_dynamic_stack 0
		.amdhsa_system_sgpr_private_segment_wavefront_offset 0
		.amdhsa_system_sgpr_workgroup_id_x 1
		.amdhsa_system_sgpr_workgroup_id_y 0
		.amdhsa_system_sgpr_workgroup_id_z 0
		.amdhsa_system_sgpr_workgroup_info 0
		.amdhsa_system_vgpr_workitem_id 0
		.amdhsa_next_free_vgpr 1
		.amdhsa_next_free_sgpr 0
		.amdhsa_accum_offset 4
		.amdhsa_reserve_vcc 0
		.amdhsa_reserve_flat_scratch 0
		.amdhsa_float_round_mode_32 0
		.amdhsa_float_round_mode_16_64 0
		.amdhsa_float_denorm_mode_32 3
		.amdhsa_float_denorm_mode_16_64 3
		.amdhsa_dx10_clamp 1
		.amdhsa_ieee_mode 1
		.amdhsa_fp16_overflow 0
		.amdhsa_tg_split 0
		.amdhsa_exception_fp_ieee_invalid_op 0
		.amdhsa_exception_fp_denorm_src 0
		.amdhsa_exception_fp_ieee_div_zero 0
		.amdhsa_exception_fp_ieee_overflow 0
		.amdhsa_exception_fp_ieee_underflow 0
		.amdhsa_exception_fp_ieee_inexact 0
		.amdhsa_exception_int_div_zero 0
	.end_amdhsa_kernel
	.section	.text._ZN7rocprim17ROCPRIM_400000_NS6detail17trampoline_kernelINS0_14default_configENS1_22reduce_config_selectorIN6thrust23THRUST_200600_302600_NS5tupleIilNS6_9null_typeES8_S8_S8_S8_S8_S8_S8_EEEEZNS1_11reduce_implILb0ES3_PS9_SC_S9_NS6_11hip_rocprim9__extrema9arg_max_fIilNS6_4lessIiEEEEEE10hipError_tPvRmT1_T2_T3_mT4_P12ihipStream_tbEUlT_E1_NS1_11comp_targetILNS1_3genE3ELNS1_11target_archE908ELNS1_3gpuE7ELNS1_3repE0EEENS1_30default_config_static_selectorELNS0_4arch9wavefront6targetE1EEEvSM_,"axG",@progbits,_ZN7rocprim17ROCPRIM_400000_NS6detail17trampoline_kernelINS0_14default_configENS1_22reduce_config_selectorIN6thrust23THRUST_200600_302600_NS5tupleIilNS6_9null_typeES8_S8_S8_S8_S8_S8_S8_EEEEZNS1_11reduce_implILb0ES3_PS9_SC_S9_NS6_11hip_rocprim9__extrema9arg_max_fIilNS6_4lessIiEEEEEE10hipError_tPvRmT1_T2_T3_mT4_P12ihipStream_tbEUlT_E1_NS1_11comp_targetILNS1_3genE3ELNS1_11target_archE908ELNS1_3gpuE7ELNS1_3repE0EEENS1_30default_config_static_selectorELNS0_4arch9wavefront6targetE1EEEvSM_,comdat
.Lfunc_end192:
	.size	_ZN7rocprim17ROCPRIM_400000_NS6detail17trampoline_kernelINS0_14default_configENS1_22reduce_config_selectorIN6thrust23THRUST_200600_302600_NS5tupleIilNS6_9null_typeES8_S8_S8_S8_S8_S8_S8_EEEEZNS1_11reduce_implILb0ES3_PS9_SC_S9_NS6_11hip_rocprim9__extrema9arg_max_fIilNS6_4lessIiEEEEEE10hipError_tPvRmT1_T2_T3_mT4_P12ihipStream_tbEUlT_E1_NS1_11comp_targetILNS1_3genE3ELNS1_11target_archE908ELNS1_3gpuE7ELNS1_3repE0EEENS1_30default_config_static_selectorELNS0_4arch9wavefront6targetE1EEEvSM_, .Lfunc_end192-_ZN7rocprim17ROCPRIM_400000_NS6detail17trampoline_kernelINS0_14default_configENS1_22reduce_config_selectorIN6thrust23THRUST_200600_302600_NS5tupleIilNS6_9null_typeES8_S8_S8_S8_S8_S8_S8_EEEEZNS1_11reduce_implILb0ES3_PS9_SC_S9_NS6_11hip_rocprim9__extrema9arg_max_fIilNS6_4lessIiEEEEEE10hipError_tPvRmT1_T2_T3_mT4_P12ihipStream_tbEUlT_E1_NS1_11comp_targetILNS1_3genE3ELNS1_11target_archE908ELNS1_3gpuE7ELNS1_3repE0EEENS1_30default_config_static_selectorELNS0_4arch9wavefront6targetE1EEEvSM_
                                        ; -- End function
	.section	.AMDGPU.csdata,"",@progbits
; Kernel info:
; codeLenInByte = 0
; NumSgprs: 4
; NumVgprs: 0
; NumAgprs: 0
; TotalNumVgprs: 0
; ScratchSize: 0
; MemoryBound: 0
; FloatMode: 240
; IeeeMode: 1
; LDSByteSize: 0 bytes/workgroup (compile time only)
; SGPRBlocks: 0
; VGPRBlocks: 0
; NumSGPRsForWavesPerEU: 4
; NumVGPRsForWavesPerEU: 1
; AccumOffset: 4
; Occupancy: 8
; WaveLimiterHint : 0
; COMPUTE_PGM_RSRC2:SCRATCH_EN: 0
; COMPUTE_PGM_RSRC2:USER_SGPR: 6
; COMPUTE_PGM_RSRC2:TRAP_HANDLER: 0
; COMPUTE_PGM_RSRC2:TGID_X_EN: 1
; COMPUTE_PGM_RSRC2:TGID_Y_EN: 0
; COMPUTE_PGM_RSRC2:TGID_Z_EN: 0
; COMPUTE_PGM_RSRC2:TIDIG_COMP_CNT: 0
; COMPUTE_PGM_RSRC3_GFX90A:ACCUM_OFFSET: 0
; COMPUTE_PGM_RSRC3_GFX90A:TG_SPLIT: 0
	.section	.text._ZN7rocprim17ROCPRIM_400000_NS6detail17trampoline_kernelINS0_14default_configENS1_22reduce_config_selectorIN6thrust23THRUST_200600_302600_NS5tupleIilNS6_9null_typeES8_S8_S8_S8_S8_S8_S8_EEEEZNS1_11reduce_implILb0ES3_PS9_SC_S9_NS6_11hip_rocprim9__extrema9arg_max_fIilNS6_4lessIiEEEEEE10hipError_tPvRmT1_T2_T3_mT4_P12ihipStream_tbEUlT_E1_NS1_11comp_targetILNS1_3genE2ELNS1_11target_archE906ELNS1_3gpuE6ELNS1_3repE0EEENS1_30default_config_static_selectorELNS0_4arch9wavefront6targetE1EEEvSM_,"axG",@progbits,_ZN7rocprim17ROCPRIM_400000_NS6detail17trampoline_kernelINS0_14default_configENS1_22reduce_config_selectorIN6thrust23THRUST_200600_302600_NS5tupleIilNS6_9null_typeES8_S8_S8_S8_S8_S8_S8_EEEEZNS1_11reduce_implILb0ES3_PS9_SC_S9_NS6_11hip_rocprim9__extrema9arg_max_fIilNS6_4lessIiEEEEEE10hipError_tPvRmT1_T2_T3_mT4_P12ihipStream_tbEUlT_E1_NS1_11comp_targetILNS1_3genE2ELNS1_11target_archE906ELNS1_3gpuE6ELNS1_3repE0EEENS1_30default_config_static_selectorELNS0_4arch9wavefront6targetE1EEEvSM_,comdat
	.protected	_ZN7rocprim17ROCPRIM_400000_NS6detail17trampoline_kernelINS0_14default_configENS1_22reduce_config_selectorIN6thrust23THRUST_200600_302600_NS5tupleIilNS6_9null_typeES8_S8_S8_S8_S8_S8_S8_EEEEZNS1_11reduce_implILb0ES3_PS9_SC_S9_NS6_11hip_rocprim9__extrema9arg_max_fIilNS6_4lessIiEEEEEE10hipError_tPvRmT1_T2_T3_mT4_P12ihipStream_tbEUlT_E1_NS1_11comp_targetILNS1_3genE2ELNS1_11target_archE906ELNS1_3gpuE6ELNS1_3repE0EEENS1_30default_config_static_selectorELNS0_4arch9wavefront6targetE1EEEvSM_ ; -- Begin function _ZN7rocprim17ROCPRIM_400000_NS6detail17trampoline_kernelINS0_14default_configENS1_22reduce_config_selectorIN6thrust23THRUST_200600_302600_NS5tupleIilNS6_9null_typeES8_S8_S8_S8_S8_S8_S8_EEEEZNS1_11reduce_implILb0ES3_PS9_SC_S9_NS6_11hip_rocprim9__extrema9arg_max_fIilNS6_4lessIiEEEEEE10hipError_tPvRmT1_T2_T3_mT4_P12ihipStream_tbEUlT_E1_NS1_11comp_targetILNS1_3genE2ELNS1_11target_archE906ELNS1_3gpuE6ELNS1_3repE0EEENS1_30default_config_static_selectorELNS0_4arch9wavefront6targetE1EEEvSM_
	.globl	_ZN7rocprim17ROCPRIM_400000_NS6detail17trampoline_kernelINS0_14default_configENS1_22reduce_config_selectorIN6thrust23THRUST_200600_302600_NS5tupleIilNS6_9null_typeES8_S8_S8_S8_S8_S8_S8_EEEEZNS1_11reduce_implILb0ES3_PS9_SC_S9_NS6_11hip_rocprim9__extrema9arg_max_fIilNS6_4lessIiEEEEEE10hipError_tPvRmT1_T2_T3_mT4_P12ihipStream_tbEUlT_E1_NS1_11comp_targetILNS1_3genE2ELNS1_11target_archE906ELNS1_3gpuE6ELNS1_3repE0EEENS1_30default_config_static_selectorELNS0_4arch9wavefront6targetE1EEEvSM_
	.p2align	8
	.type	_ZN7rocprim17ROCPRIM_400000_NS6detail17trampoline_kernelINS0_14default_configENS1_22reduce_config_selectorIN6thrust23THRUST_200600_302600_NS5tupleIilNS6_9null_typeES8_S8_S8_S8_S8_S8_S8_EEEEZNS1_11reduce_implILb0ES3_PS9_SC_S9_NS6_11hip_rocprim9__extrema9arg_max_fIilNS6_4lessIiEEEEEE10hipError_tPvRmT1_T2_T3_mT4_P12ihipStream_tbEUlT_E1_NS1_11comp_targetILNS1_3genE2ELNS1_11target_archE906ELNS1_3gpuE6ELNS1_3repE0EEENS1_30default_config_static_selectorELNS0_4arch9wavefront6targetE1EEEvSM_,@function
_ZN7rocprim17ROCPRIM_400000_NS6detail17trampoline_kernelINS0_14default_configENS1_22reduce_config_selectorIN6thrust23THRUST_200600_302600_NS5tupleIilNS6_9null_typeES8_S8_S8_S8_S8_S8_S8_EEEEZNS1_11reduce_implILb0ES3_PS9_SC_S9_NS6_11hip_rocprim9__extrema9arg_max_fIilNS6_4lessIiEEEEEE10hipError_tPvRmT1_T2_T3_mT4_P12ihipStream_tbEUlT_E1_NS1_11comp_targetILNS1_3genE2ELNS1_11target_archE906ELNS1_3gpuE6ELNS1_3repE0EEENS1_30default_config_static_selectorELNS0_4arch9wavefront6targetE1EEEvSM_: ; @_ZN7rocprim17ROCPRIM_400000_NS6detail17trampoline_kernelINS0_14default_configENS1_22reduce_config_selectorIN6thrust23THRUST_200600_302600_NS5tupleIilNS6_9null_typeES8_S8_S8_S8_S8_S8_S8_EEEEZNS1_11reduce_implILb0ES3_PS9_SC_S9_NS6_11hip_rocprim9__extrema9arg_max_fIilNS6_4lessIiEEEEEE10hipError_tPvRmT1_T2_T3_mT4_P12ihipStream_tbEUlT_E1_NS1_11comp_targetILNS1_3genE2ELNS1_11target_archE906ELNS1_3gpuE6ELNS1_3repE0EEENS1_30default_config_static_selectorELNS0_4arch9wavefront6targetE1EEEvSM_
; %bb.0:
	.section	.rodata,"a",@progbits
	.p2align	6, 0x0
	.amdhsa_kernel _ZN7rocprim17ROCPRIM_400000_NS6detail17trampoline_kernelINS0_14default_configENS1_22reduce_config_selectorIN6thrust23THRUST_200600_302600_NS5tupleIilNS6_9null_typeES8_S8_S8_S8_S8_S8_S8_EEEEZNS1_11reduce_implILb0ES3_PS9_SC_S9_NS6_11hip_rocprim9__extrema9arg_max_fIilNS6_4lessIiEEEEEE10hipError_tPvRmT1_T2_T3_mT4_P12ihipStream_tbEUlT_E1_NS1_11comp_targetILNS1_3genE2ELNS1_11target_archE906ELNS1_3gpuE6ELNS1_3repE0EEENS1_30default_config_static_selectorELNS0_4arch9wavefront6targetE1EEEvSM_
		.amdhsa_group_segment_fixed_size 0
		.amdhsa_private_segment_fixed_size 0
		.amdhsa_kernarg_size 56
		.amdhsa_user_sgpr_count 6
		.amdhsa_user_sgpr_private_segment_buffer 1
		.amdhsa_user_sgpr_dispatch_ptr 0
		.amdhsa_user_sgpr_queue_ptr 0
		.amdhsa_user_sgpr_kernarg_segment_ptr 1
		.amdhsa_user_sgpr_dispatch_id 0
		.amdhsa_user_sgpr_flat_scratch_init 0
		.amdhsa_user_sgpr_kernarg_preload_length 0
		.amdhsa_user_sgpr_kernarg_preload_offset 0
		.amdhsa_user_sgpr_private_segment_size 0
		.amdhsa_uses_dynamic_stack 0
		.amdhsa_system_sgpr_private_segment_wavefront_offset 0
		.amdhsa_system_sgpr_workgroup_id_x 1
		.amdhsa_system_sgpr_workgroup_id_y 0
		.amdhsa_system_sgpr_workgroup_id_z 0
		.amdhsa_system_sgpr_workgroup_info 0
		.amdhsa_system_vgpr_workitem_id 0
		.amdhsa_next_free_vgpr 1
		.amdhsa_next_free_sgpr 0
		.amdhsa_accum_offset 4
		.amdhsa_reserve_vcc 0
		.amdhsa_reserve_flat_scratch 0
		.amdhsa_float_round_mode_32 0
		.amdhsa_float_round_mode_16_64 0
		.amdhsa_float_denorm_mode_32 3
		.amdhsa_float_denorm_mode_16_64 3
		.amdhsa_dx10_clamp 1
		.amdhsa_ieee_mode 1
		.amdhsa_fp16_overflow 0
		.amdhsa_tg_split 0
		.amdhsa_exception_fp_ieee_invalid_op 0
		.amdhsa_exception_fp_denorm_src 0
		.amdhsa_exception_fp_ieee_div_zero 0
		.amdhsa_exception_fp_ieee_overflow 0
		.amdhsa_exception_fp_ieee_underflow 0
		.amdhsa_exception_fp_ieee_inexact 0
		.amdhsa_exception_int_div_zero 0
	.end_amdhsa_kernel
	.section	.text._ZN7rocprim17ROCPRIM_400000_NS6detail17trampoline_kernelINS0_14default_configENS1_22reduce_config_selectorIN6thrust23THRUST_200600_302600_NS5tupleIilNS6_9null_typeES8_S8_S8_S8_S8_S8_S8_EEEEZNS1_11reduce_implILb0ES3_PS9_SC_S9_NS6_11hip_rocprim9__extrema9arg_max_fIilNS6_4lessIiEEEEEE10hipError_tPvRmT1_T2_T3_mT4_P12ihipStream_tbEUlT_E1_NS1_11comp_targetILNS1_3genE2ELNS1_11target_archE906ELNS1_3gpuE6ELNS1_3repE0EEENS1_30default_config_static_selectorELNS0_4arch9wavefront6targetE1EEEvSM_,"axG",@progbits,_ZN7rocprim17ROCPRIM_400000_NS6detail17trampoline_kernelINS0_14default_configENS1_22reduce_config_selectorIN6thrust23THRUST_200600_302600_NS5tupleIilNS6_9null_typeES8_S8_S8_S8_S8_S8_S8_EEEEZNS1_11reduce_implILb0ES3_PS9_SC_S9_NS6_11hip_rocprim9__extrema9arg_max_fIilNS6_4lessIiEEEEEE10hipError_tPvRmT1_T2_T3_mT4_P12ihipStream_tbEUlT_E1_NS1_11comp_targetILNS1_3genE2ELNS1_11target_archE906ELNS1_3gpuE6ELNS1_3repE0EEENS1_30default_config_static_selectorELNS0_4arch9wavefront6targetE1EEEvSM_,comdat
.Lfunc_end193:
	.size	_ZN7rocprim17ROCPRIM_400000_NS6detail17trampoline_kernelINS0_14default_configENS1_22reduce_config_selectorIN6thrust23THRUST_200600_302600_NS5tupleIilNS6_9null_typeES8_S8_S8_S8_S8_S8_S8_EEEEZNS1_11reduce_implILb0ES3_PS9_SC_S9_NS6_11hip_rocprim9__extrema9arg_max_fIilNS6_4lessIiEEEEEE10hipError_tPvRmT1_T2_T3_mT4_P12ihipStream_tbEUlT_E1_NS1_11comp_targetILNS1_3genE2ELNS1_11target_archE906ELNS1_3gpuE6ELNS1_3repE0EEENS1_30default_config_static_selectorELNS0_4arch9wavefront6targetE1EEEvSM_, .Lfunc_end193-_ZN7rocprim17ROCPRIM_400000_NS6detail17trampoline_kernelINS0_14default_configENS1_22reduce_config_selectorIN6thrust23THRUST_200600_302600_NS5tupleIilNS6_9null_typeES8_S8_S8_S8_S8_S8_S8_EEEEZNS1_11reduce_implILb0ES3_PS9_SC_S9_NS6_11hip_rocprim9__extrema9arg_max_fIilNS6_4lessIiEEEEEE10hipError_tPvRmT1_T2_T3_mT4_P12ihipStream_tbEUlT_E1_NS1_11comp_targetILNS1_3genE2ELNS1_11target_archE906ELNS1_3gpuE6ELNS1_3repE0EEENS1_30default_config_static_selectorELNS0_4arch9wavefront6targetE1EEEvSM_
                                        ; -- End function
	.section	.AMDGPU.csdata,"",@progbits
; Kernel info:
; codeLenInByte = 0
; NumSgprs: 4
; NumVgprs: 0
; NumAgprs: 0
; TotalNumVgprs: 0
; ScratchSize: 0
; MemoryBound: 0
; FloatMode: 240
; IeeeMode: 1
; LDSByteSize: 0 bytes/workgroup (compile time only)
; SGPRBlocks: 0
; VGPRBlocks: 0
; NumSGPRsForWavesPerEU: 4
; NumVGPRsForWavesPerEU: 1
; AccumOffset: 4
; Occupancy: 8
; WaveLimiterHint : 0
; COMPUTE_PGM_RSRC2:SCRATCH_EN: 0
; COMPUTE_PGM_RSRC2:USER_SGPR: 6
; COMPUTE_PGM_RSRC2:TRAP_HANDLER: 0
; COMPUTE_PGM_RSRC2:TGID_X_EN: 1
; COMPUTE_PGM_RSRC2:TGID_Y_EN: 0
; COMPUTE_PGM_RSRC2:TGID_Z_EN: 0
; COMPUTE_PGM_RSRC2:TIDIG_COMP_CNT: 0
; COMPUTE_PGM_RSRC3_GFX90A:ACCUM_OFFSET: 0
; COMPUTE_PGM_RSRC3_GFX90A:TG_SPLIT: 0
	.section	.text._ZN7rocprim17ROCPRIM_400000_NS6detail17trampoline_kernelINS0_14default_configENS1_22reduce_config_selectorIN6thrust23THRUST_200600_302600_NS5tupleIilNS6_9null_typeES8_S8_S8_S8_S8_S8_S8_EEEEZNS1_11reduce_implILb0ES3_PS9_SC_S9_NS6_11hip_rocprim9__extrema9arg_max_fIilNS6_4lessIiEEEEEE10hipError_tPvRmT1_T2_T3_mT4_P12ihipStream_tbEUlT_E1_NS1_11comp_targetILNS1_3genE10ELNS1_11target_archE1201ELNS1_3gpuE5ELNS1_3repE0EEENS1_30default_config_static_selectorELNS0_4arch9wavefront6targetE1EEEvSM_,"axG",@progbits,_ZN7rocprim17ROCPRIM_400000_NS6detail17trampoline_kernelINS0_14default_configENS1_22reduce_config_selectorIN6thrust23THRUST_200600_302600_NS5tupleIilNS6_9null_typeES8_S8_S8_S8_S8_S8_S8_EEEEZNS1_11reduce_implILb0ES3_PS9_SC_S9_NS6_11hip_rocprim9__extrema9arg_max_fIilNS6_4lessIiEEEEEE10hipError_tPvRmT1_T2_T3_mT4_P12ihipStream_tbEUlT_E1_NS1_11comp_targetILNS1_3genE10ELNS1_11target_archE1201ELNS1_3gpuE5ELNS1_3repE0EEENS1_30default_config_static_selectorELNS0_4arch9wavefront6targetE1EEEvSM_,comdat
	.protected	_ZN7rocprim17ROCPRIM_400000_NS6detail17trampoline_kernelINS0_14default_configENS1_22reduce_config_selectorIN6thrust23THRUST_200600_302600_NS5tupleIilNS6_9null_typeES8_S8_S8_S8_S8_S8_S8_EEEEZNS1_11reduce_implILb0ES3_PS9_SC_S9_NS6_11hip_rocprim9__extrema9arg_max_fIilNS6_4lessIiEEEEEE10hipError_tPvRmT1_T2_T3_mT4_P12ihipStream_tbEUlT_E1_NS1_11comp_targetILNS1_3genE10ELNS1_11target_archE1201ELNS1_3gpuE5ELNS1_3repE0EEENS1_30default_config_static_selectorELNS0_4arch9wavefront6targetE1EEEvSM_ ; -- Begin function _ZN7rocprim17ROCPRIM_400000_NS6detail17trampoline_kernelINS0_14default_configENS1_22reduce_config_selectorIN6thrust23THRUST_200600_302600_NS5tupleIilNS6_9null_typeES8_S8_S8_S8_S8_S8_S8_EEEEZNS1_11reduce_implILb0ES3_PS9_SC_S9_NS6_11hip_rocprim9__extrema9arg_max_fIilNS6_4lessIiEEEEEE10hipError_tPvRmT1_T2_T3_mT4_P12ihipStream_tbEUlT_E1_NS1_11comp_targetILNS1_3genE10ELNS1_11target_archE1201ELNS1_3gpuE5ELNS1_3repE0EEENS1_30default_config_static_selectorELNS0_4arch9wavefront6targetE1EEEvSM_
	.globl	_ZN7rocprim17ROCPRIM_400000_NS6detail17trampoline_kernelINS0_14default_configENS1_22reduce_config_selectorIN6thrust23THRUST_200600_302600_NS5tupleIilNS6_9null_typeES8_S8_S8_S8_S8_S8_S8_EEEEZNS1_11reduce_implILb0ES3_PS9_SC_S9_NS6_11hip_rocprim9__extrema9arg_max_fIilNS6_4lessIiEEEEEE10hipError_tPvRmT1_T2_T3_mT4_P12ihipStream_tbEUlT_E1_NS1_11comp_targetILNS1_3genE10ELNS1_11target_archE1201ELNS1_3gpuE5ELNS1_3repE0EEENS1_30default_config_static_selectorELNS0_4arch9wavefront6targetE1EEEvSM_
	.p2align	8
	.type	_ZN7rocprim17ROCPRIM_400000_NS6detail17trampoline_kernelINS0_14default_configENS1_22reduce_config_selectorIN6thrust23THRUST_200600_302600_NS5tupleIilNS6_9null_typeES8_S8_S8_S8_S8_S8_S8_EEEEZNS1_11reduce_implILb0ES3_PS9_SC_S9_NS6_11hip_rocprim9__extrema9arg_max_fIilNS6_4lessIiEEEEEE10hipError_tPvRmT1_T2_T3_mT4_P12ihipStream_tbEUlT_E1_NS1_11comp_targetILNS1_3genE10ELNS1_11target_archE1201ELNS1_3gpuE5ELNS1_3repE0EEENS1_30default_config_static_selectorELNS0_4arch9wavefront6targetE1EEEvSM_,@function
_ZN7rocprim17ROCPRIM_400000_NS6detail17trampoline_kernelINS0_14default_configENS1_22reduce_config_selectorIN6thrust23THRUST_200600_302600_NS5tupleIilNS6_9null_typeES8_S8_S8_S8_S8_S8_S8_EEEEZNS1_11reduce_implILb0ES3_PS9_SC_S9_NS6_11hip_rocprim9__extrema9arg_max_fIilNS6_4lessIiEEEEEE10hipError_tPvRmT1_T2_T3_mT4_P12ihipStream_tbEUlT_E1_NS1_11comp_targetILNS1_3genE10ELNS1_11target_archE1201ELNS1_3gpuE5ELNS1_3repE0EEENS1_30default_config_static_selectorELNS0_4arch9wavefront6targetE1EEEvSM_: ; @_ZN7rocprim17ROCPRIM_400000_NS6detail17trampoline_kernelINS0_14default_configENS1_22reduce_config_selectorIN6thrust23THRUST_200600_302600_NS5tupleIilNS6_9null_typeES8_S8_S8_S8_S8_S8_S8_EEEEZNS1_11reduce_implILb0ES3_PS9_SC_S9_NS6_11hip_rocprim9__extrema9arg_max_fIilNS6_4lessIiEEEEEE10hipError_tPvRmT1_T2_T3_mT4_P12ihipStream_tbEUlT_E1_NS1_11comp_targetILNS1_3genE10ELNS1_11target_archE1201ELNS1_3gpuE5ELNS1_3repE0EEENS1_30default_config_static_selectorELNS0_4arch9wavefront6targetE1EEEvSM_
; %bb.0:
	.section	.rodata,"a",@progbits
	.p2align	6, 0x0
	.amdhsa_kernel _ZN7rocprim17ROCPRIM_400000_NS6detail17trampoline_kernelINS0_14default_configENS1_22reduce_config_selectorIN6thrust23THRUST_200600_302600_NS5tupleIilNS6_9null_typeES8_S8_S8_S8_S8_S8_S8_EEEEZNS1_11reduce_implILb0ES3_PS9_SC_S9_NS6_11hip_rocprim9__extrema9arg_max_fIilNS6_4lessIiEEEEEE10hipError_tPvRmT1_T2_T3_mT4_P12ihipStream_tbEUlT_E1_NS1_11comp_targetILNS1_3genE10ELNS1_11target_archE1201ELNS1_3gpuE5ELNS1_3repE0EEENS1_30default_config_static_selectorELNS0_4arch9wavefront6targetE1EEEvSM_
		.amdhsa_group_segment_fixed_size 0
		.amdhsa_private_segment_fixed_size 0
		.amdhsa_kernarg_size 56
		.amdhsa_user_sgpr_count 6
		.amdhsa_user_sgpr_private_segment_buffer 1
		.amdhsa_user_sgpr_dispatch_ptr 0
		.amdhsa_user_sgpr_queue_ptr 0
		.amdhsa_user_sgpr_kernarg_segment_ptr 1
		.amdhsa_user_sgpr_dispatch_id 0
		.amdhsa_user_sgpr_flat_scratch_init 0
		.amdhsa_user_sgpr_kernarg_preload_length 0
		.amdhsa_user_sgpr_kernarg_preload_offset 0
		.amdhsa_user_sgpr_private_segment_size 0
		.amdhsa_uses_dynamic_stack 0
		.amdhsa_system_sgpr_private_segment_wavefront_offset 0
		.amdhsa_system_sgpr_workgroup_id_x 1
		.amdhsa_system_sgpr_workgroup_id_y 0
		.amdhsa_system_sgpr_workgroup_id_z 0
		.amdhsa_system_sgpr_workgroup_info 0
		.amdhsa_system_vgpr_workitem_id 0
		.amdhsa_next_free_vgpr 1
		.amdhsa_next_free_sgpr 0
		.amdhsa_accum_offset 4
		.amdhsa_reserve_vcc 0
		.amdhsa_reserve_flat_scratch 0
		.amdhsa_float_round_mode_32 0
		.amdhsa_float_round_mode_16_64 0
		.amdhsa_float_denorm_mode_32 3
		.amdhsa_float_denorm_mode_16_64 3
		.amdhsa_dx10_clamp 1
		.amdhsa_ieee_mode 1
		.amdhsa_fp16_overflow 0
		.amdhsa_tg_split 0
		.amdhsa_exception_fp_ieee_invalid_op 0
		.amdhsa_exception_fp_denorm_src 0
		.amdhsa_exception_fp_ieee_div_zero 0
		.amdhsa_exception_fp_ieee_overflow 0
		.amdhsa_exception_fp_ieee_underflow 0
		.amdhsa_exception_fp_ieee_inexact 0
		.amdhsa_exception_int_div_zero 0
	.end_amdhsa_kernel
	.section	.text._ZN7rocprim17ROCPRIM_400000_NS6detail17trampoline_kernelINS0_14default_configENS1_22reduce_config_selectorIN6thrust23THRUST_200600_302600_NS5tupleIilNS6_9null_typeES8_S8_S8_S8_S8_S8_S8_EEEEZNS1_11reduce_implILb0ES3_PS9_SC_S9_NS6_11hip_rocprim9__extrema9arg_max_fIilNS6_4lessIiEEEEEE10hipError_tPvRmT1_T2_T3_mT4_P12ihipStream_tbEUlT_E1_NS1_11comp_targetILNS1_3genE10ELNS1_11target_archE1201ELNS1_3gpuE5ELNS1_3repE0EEENS1_30default_config_static_selectorELNS0_4arch9wavefront6targetE1EEEvSM_,"axG",@progbits,_ZN7rocprim17ROCPRIM_400000_NS6detail17trampoline_kernelINS0_14default_configENS1_22reduce_config_selectorIN6thrust23THRUST_200600_302600_NS5tupleIilNS6_9null_typeES8_S8_S8_S8_S8_S8_S8_EEEEZNS1_11reduce_implILb0ES3_PS9_SC_S9_NS6_11hip_rocprim9__extrema9arg_max_fIilNS6_4lessIiEEEEEE10hipError_tPvRmT1_T2_T3_mT4_P12ihipStream_tbEUlT_E1_NS1_11comp_targetILNS1_3genE10ELNS1_11target_archE1201ELNS1_3gpuE5ELNS1_3repE0EEENS1_30default_config_static_selectorELNS0_4arch9wavefront6targetE1EEEvSM_,comdat
.Lfunc_end194:
	.size	_ZN7rocprim17ROCPRIM_400000_NS6detail17trampoline_kernelINS0_14default_configENS1_22reduce_config_selectorIN6thrust23THRUST_200600_302600_NS5tupleIilNS6_9null_typeES8_S8_S8_S8_S8_S8_S8_EEEEZNS1_11reduce_implILb0ES3_PS9_SC_S9_NS6_11hip_rocprim9__extrema9arg_max_fIilNS6_4lessIiEEEEEE10hipError_tPvRmT1_T2_T3_mT4_P12ihipStream_tbEUlT_E1_NS1_11comp_targetILNS1_3genE10ELNS1_11target_archE1201ELNS1_3gpuE5ELNS1_3repE0EEENS1_30default_config_static_selectorELNS0_4arch9wavefront6targetE1EEEvSM_, .Lfunc_end194-_ZN7rocprim17ROCPRIM_400000_NS6detail17trampoline_kernelINS0_14default_configENS1_22reduce_config_selectorIN6thrust23THRUST_200600_302600_NS5tupleIilNS6_9null_typeES8_S8_S8_S8_S8_S8_S8_EEEEZNS1_11reduce_implILb0ES3_PS9_SC_S9_NS6_11hip_rocprim9__extrema9arg_max_fIilNS6_4lessIiEEEEEE10hipError_tPvRmT1_T2_T3_mT4_P12ihipStream_tbEUlT_E1_NS1_11comp_targetILNS1_3genE10ELNS1_11target_archE1201ELNS1_3gpuE5ELNS1_3repE0EEENS1_30default_config_static_selectorELNS0_4arch9wavefront6targetE1EEEvSM_
                                        ; -- End function
	.section	.AMDGPU.csdata,"",@progbits
; Kernel info:
; codeLenInByte = 0
; NumSgprs: 4
; NumVgprs: 0
; NumAgprs: 0
; TotalNumVgprs: 0
; ScratchSize: 0
; MemoryBound: 0
; FloatMode: 240
; IeeeMode: 1
; LDSByteSize: 0 bytes/workgroup (compile time only)
; SGPRBlocks: 0
; VGPRBlocks: 0
; NumSGPRsForWavesPerEU: 4
; NumVGPRsForWavesPerEU: 1
; AccumOffset: 4
; Occupancy: 8
; WaveLimiterHint : 0
; COMPUTE_PGM_RSRC2:SCRATCH_EN: 0
; COMPUTE_PGM_RSRC2:USER_SGPR: 6
; COMPUTE_PGM_RSRC2:TRAP_HANDLER: 0
; COMPUTE_PGM_RSRC2:TGID_X_EN: 1
; COMPUTE_PGM_RSRC2:TGID_Y_EN: 0
; COMPUTE_PGM_RSRC2:TGID_Z_EN: 0
; COMPUTE_PGM_RSRC2:TIDIG_COMP_CNT: 0
; COMPUTE_PGM_RSRC3_GFX90A:ACCUM_OFFSET: 0
; COMPUTE_PGM_RSRC3_GFX90A:TG_SPLIT: 0
	.section	.text._ZN7rocprim17ROCPRIM_400000_NS6detail17trampoline_kernelINS0_14default_configENS1_22reduce_config_selectorIN6thrust23THRUST_200600_302600_NS5tupleIilNS6_9null_typeES8_S8_S8_S8_S8_S8_S8_EEEEZNS1_11reduce_implILb0ES3_PS9_SC_S9_NS6_11hip_rocprim9__extrema9arg_max_fIilNS6_4lessIiEEEEEE10hipError_tPvRmT1_T2_T3_mT4_P12ihipStream_tbEUlT_E1_NS1_11comp_targetILNS1_3genE10ELNS1_11target_archE1200ELNS1_3gpuE4ELNS1_3repE0EEENS1_30default_config_static_selectorELNS0_4arch9wavefront6targetE1EEEvSM_,"axG",@progbits,_ZN7rocprim17ROCPRIM_400000_NS6detail17trampoline_kernelINS0_14default_configENS1_22reduce_config_selectorIN6thrust23THRUST_200600_302600_NS5tupleIilNS6_9null_typeES8_S8_S8_S8_S8_S8_S8_EEEEZNS1_11reduce_implILb0ES3_PS9_SC_S9_NS6_11hip_rocprim9__extrema9arg_max_fIilNS6_4lessIiEEEEEE10hipError_tPvRmT1_T2_T3_mT4_P12ihipStream_tbEUlT_E1_NS1_11comp_targetILNS1_3genE10ELNS1_11target_archE1200ELNS1_3gpuE4ELNS1_3repE0EEENS1_30default_config_static_selectorELNS0_4arch9wavefront6targetE1EEEvSM_,comdat
	.protected	_ZN7rocprim17ROCPRIM_400000_NS6detail17trampoline_kernelINS0_14default_configENS1_22reduce_config_selectorIN6thrust23THRUST_200600_302600_NS5tupleIilNS6_9null_typeES8_S8_S8_S8_S8_S8_S8_EEEEZNS1_11reduce_implILb0ES3_PS9_SC_S9_NS6_11hip_rocprim9__extrema9arg_max_fIilNS6_4lessIiEEEEEE10hipError_tPvRmT1_T2_T3_mT4_P12ihipStream_tbEUlT_E1_NS1_11comp_targetILNS1_3genE10ELNS1_11target_archE1200ELNS1_3gpuE4ELNS1_3repE0EEENS1_30default_config_static_selectorELNS0_4arch9wavefront6targetE1EEEvSM_ ; -- Begin function _ZN7rocprim17ROCPRIM_400000_NS6detail17trampoline_kernelINS0_14default_configENS1_22reduce_config_selectorIN6thrust23THRUST_200600_302600_NS5tupleIilNS6_9null_typeES8_S8_S8_S8_S8_S8_S8_EEEEZNS1_11reduce_implILb0ES3_PS9_SC_S9_NS6_11hip_rocprim9__extrema9arg_max_fIilNS6_4lessIiEEEEEE10hipError_tPvRmT1_T2_T3_mT4_P12ihipStream_tbEUlT_E1_NS1_11comp_targetILNS1_3genE10ELNS1_11target_archE1200ELNS1_3gpuE4ELNS1_3repE0EEENS1_30default_config_static_selectorELNS0_4arch9wavefront6targetE1EEEvSM_
	.globl	_ZN7rocprim17ROCPRIM_400000_NS6detail17trampoline_kernelINS0_14default_configENS1_22reduce_config_selectorIN6thrust23THRUST_200600_302600_NS5tupleIilNS6_9null_typeES8_S8_S8_S8_S8_S8_S8_EEEEZNS1_11reduce_implILb0ES3_PS9_SC_S9_NS6_11hip_rocprim9__extrema9arg_max_fIilNS6_4lessIiEEEEEE10hipError_tPvRmT1_T2_T3_mT4_P12ihipStream_tbEUlT_E1_NS1_11comp_targetILNS1_3genE10ELNS1_11target_archE1200ELNS1_3gpuE4ELNS1_3repE0EEENS1_30default_config_static_selectorELNS0_4arch9wavefront6targetE1EEEvSM_
	.p2align	8
	.type	_ZN7rocprim17ROCPRIM_400000_NS6detail17trampoline_kernelINS0_14default_configENS1_22reduce_config_selectorIN6thrust23THRUST_200600_302600_NS5tupleIilNS6_9null_typeES8_S8_S8_S8_S8_S8_S8_EEEEZNS1_11reduce_implILb0ES3_PS9_SC_S9_NS6_11hip_rocprim9__extrema9arg_max_fIilNS6_4lessIiEEEEEE10hipError_tPvRmT1_T2_T3_mT4_P12ihipStream_tbEUlT_E1_NS1_11comp_targetILNS1_3genE10ELNS1_11target_archE1200ELNS1_3gpuE4ELNS1_3repE0EEENS1_30default_config_static_selectorELNS0_4arch9wavefront6targetE1EEEvSM_,@function
_ZN7rocprim17ROCPRIM_400000_NS6detail17trampoline_kernelINS0_14default_configENS1_22reduce_config_selectorIN6thrust23THRUST_200600_302600_NS5tupleIilNS6_9null_typeES8_S8_S8_S8_S8_S8_S8_EEEEZNS1_11reduce_implILb0ES3_PS9_SC_S9_NS6_11hip_rocprim9__extrema9arg_max_fIilNS6_4lessIiEEEEEE10hipError_tPvRmT1_T2_T3_mT4_P12ihipStream_tbEUlT_E1_NS1_11comp_targetILNS1_3genE10ELNS1_11target_archE1200ELNS1_3gpuE4ELNS1_3repE0EEENS1_30default_config_static_selectorELNS0_4arch9wavefront6targetE1EEEvSM_: ; @_ZN7rocprim17ROCPRIM_400000_NS6detail17trampoline_kernelINS0_14default_configENS1_22reduce_config_selectorIN6thrust23THRUST_200600_302600_NS5tupleIilNS6_9null_typeES8_S8_S8_S8_S8_S8_S8_EEEEZNS1_11reduce_implILb0ES3_PS9_SC_S9_NS6_11hip_rocprim9__extrema9arg_max_fIilNS6_4lessIiEEEEEE10hipError_tPvRmT1_T2_T3_mT4_P12ihipStream_tbEUlT_E1_NS1_11comp_targetILNS1_3genE10ELNS1_11target_archE1200ELNS1_3gpuE4ELNS1_3repE0EEENS1_30default_config_static_selectorELNS0_4arch9wavefront6targetE1EEEvSM_
; %bb.0:
	.section	.rodata,"a",@progbits
	.p2align	6, 0x0
	.amdhsa_kernel _ZN7rocprim17ROCPRIM_400000_NS6detail17trampoline_kernelINS0_14default_configENS1_22reduce_config_selectorIN6thrust23THRUST_200600_302600_NS5tupleIilNS6_9null_typeES8_S8_S8_S8_S8_S8_S8_EEEEZNS1_11reduce_implILb0ES3_PS9_SC_S9_NS6_11hip_rocprim9__extrema9arg_max_fIilNS6_4lessIiEEEEEE10hipError_tPvRmT1_T2_T3_mT4_P12ihipStream_tbEUlT_E1_NS1_11comp_targetILNS1_3genE10ELNS1_11target_archE1200ELNS1_3gpuE4ELNS1_3repE0EEENS1_30default_config_static_selectorELNS0_4arch9wavefront6targetE1EEEvSM_
		.amdhsa_group_segment_fixed_size 0
		.amdhsa_private_segment_fixed_size 0
		.amdhsa_kernarg_size 56
		.amdhsa_user_sgpr_count 6
		.amdhsa_user_sgpr_private_segment_buffer 1
		.amdhsa_user_sgpr_dispatch_ptr 0
		.amdhsa_user_sgpr_queue_ptr 0
		.amdhsa_user_sgpr_kernarg_segment_ptr 1
		.amdhsa_user_sgpr_dispatch_id 0
		.amdhsa_user_sgpr_flat_scratch_init 0
		.amdhsa_user_sgpr_kernarg_preload_length 0
		.amdhsa_user_sgpr_kernarg_preload_offset 0
		.amdhsa_user_sgpr_private_segment_size 0
		.amdhsa_uses_dynamic_stack 0
		.amdhsa_system_sgpr_private_segment_wavefront_offset 0
		.amdhsa_system_sgpr_workgroup_id_x 1
		.amdhsa_system_sgpr_workgroup_id_y 0
		.amdhsa_system_sgpr_workgroup_id_z 0
		.amdhsa_system_sgpr_workgroup_info 0
		.amdhsa_system_vgpr_workitem_id 0
		.amdhsa_next_free_vgpr 1
		.amdhsa_next_free_sgpr 0
		.amdhsa_accum_offset 4
		.amdhsa_reserve_vcc 0
		.amdhsa_reserve_flat_scratch 0
		.amdhsa_float_round_mode_32 0
		.amdhsa_float_round_mode_16_64 0
		.amdhsa_float_denorm_mode_32 3
		.amdhsa_float_denorm_mode_16_64 3
		.amdhsa_dx10_clamp 1
		.amdhsa_ieee_mode 1
		.amdhsa_fp16_overflow 0
		.amdhsa_tg_split 0
		.amdhsa_exception_fp_ieee_invalid_op 0
		.amdhsa_exception_fp_denorm_src 0
		.amdhsa_exception_fp_ieee_div_zero 0
		.amdhsa_exception_fp_ieee_overflow 0
		.amdhsa_exception_fp_ieee_underflow 0
		.amdhsa_exception_fp_ieee_inexact 0
		.amdhsa_exception_int_div_zero 0
	.end_amdhsa_kernel
	.section	.text._ZN7rocprim17ROCPRIM_400000_NS6detail17trampoline_kernelINS0_14default_configENS1_22reduce_config_selectorIN6thrust23THRUST_200600_302600_NS5tupleIilNS6_9null_typeES8_S8_S8_S8_S8_S8_S8_EEEEZNS1_11reduce_implILb0ES3_PS9_SC_S9_NS6_11hip_rocprim9__extrema9arg_max_fIilNS6_4lessIiEEEEEE10hipError_tPvRmT1_T2_T3_mT4_P12ihipStream_tbEUlT_E1_NS1_11comp_targetILNS1_3genE10ELNS1_11target_archE1200ELNS1_3gpuE4ELNS1_3repE0EEENS1_30default_config_static_selectorELNS0_4arch9wavefront6targetE1EEEvSM_,"axG",@progbits,_ZN7rocprim17ROCPRIM_400000_NS6detail17trampoline_kernelINS0_14default_configENS1_22reduce_config_selectorIN6thrust23THRUST_200600_302600_NS5tupleIilNS6_9null_typeES8_S8_S8_S8_S8_S8_S8_EEEEZNS1_11reduce_implILb0ES3_PS9_SC_S9_NS6_11hip_rocprim9__extrema9arg_max_fIilNS6_4lessIiEEEEEE10hipError_tPvRmT1_T2_T3_mT4_P12ihipStream_tbEUlT_E1_NS1_11comp_targetILNS1_3genE10ELNS1_11target_archE1200ELNS1_3gpuE4ELNS1_3repE0EEENS1_30default_config_static_selectorELNS0_4arch9wavefront6targetE1EEEvSM_,comdat
.Lfunc_end195:
	.size	_ZN7rocprim17ROCPRIM_400000_NS6detail17trampoline_kernelINS0_14default_configENS1_22reduce_config_selectorIN6thrust23THRUST_200600_302600_NS5tupleIilNS6_9null_typeES8_S8_S8_S8_S8_S8_S8_EEEEZNS1_11reduce_implILb0ES3_PS9_SC_S9_NS6_11hip_rocprim9__extrema9arg_max_fIilNS6_4lessIiEEEEEE10hipError_tPvRmT1_T2_T3_mT4_P12ihipStream_tbEUlT_E1_NS1_11comp_targetILNS1_3genE10ELNS1_11target_archE1200ELNS1_3gpuE4ELNS1_3repE0EEENS1_30default_config_static_selectorELNS0_4arch9wavefront6targetE1EEEvSM_, .Lfunc_end195-_ZN7rocprim17ROCPRIM_400000_NS6detail17trampoline_kernelINS0_14default_configENS1_22reduce_config_selectorIN6thrust23THRUST_200600_302600_NS5tupleIilNS6_9null_typeES8_S8_S8_S8_S8_S8_S8_EEEEZNS1_11reduce_implILb0ES3_PS9_SC_S9_NS6_11hip_rocprim9__extrema9arg_max_fIilNS6_4lessIiEEEEEE10hipError_tPvRmT1_T2_T3_mT4_P12ihipStream_tbEUlT_E1_NS1_11comp_targetILNS1_3genE10ELNS1_11target_archE1200ELNS1_3gpuE4ELNS1_3repE0EEENS1_30default_config_static_selectorELNS0_4arch9wavefront6targetE1EEEvSM_
                                        ; -- End function
	.section	.AMDGPU.csdata,"",@progbits
; Kernel info:
; codeLenInByte = 0
; NumSgprs: 4
; NumVgprs: 0
; NumAgprs: 0
; TotalNumVgprs: 0
; ScratchSize: 0
; MemoryBound: 0
; FloatMode: 240
; IeeeMode: 1
; LDSByteSize: 0 bytes/workgroup (compile time only)
; SGPRBlocks: 0
; VGPRBlocks: 0
; NumSGPRsForWavesPerEU: 4
; NumVGPRsForWavesPerEU: 1
; AccumOffset: 4
; Occupancy: 8
; WaveLimiterHint : 0
; COMPUTE_PGM_RSRC2:SCRATCH_EN: 0
; COMPUTE_PGM_RSRC2:USER_SGPR: 6
; COMPUTE_PGM_RSRC2:TRAP_HANDLER: 0
; COMPUTE_PGM_RSRC2:TGID_X_EN: 1
; COMPUTE_PGM_RSRC2:TGID_Y_EN: 0
; COMPUTE_PGM_RSRC2:TGID_Z_EN: 0
; COMPUTE_PGM_RSRC2:TIDIG_COMP_CNT: 0
; COMPUTE_PGM_RSRC3_GFX90A:ACCUM_OFFSET: 0
; COMPUTE_PGM_RSRC3_GFX90A:TG_SPLIT: 0
	.section	.text._ZN7rocprim17ROCPRIM_400000_NS6detail17trampoline_kernelINS0_14default_configENS1_22reduce_config_selectorIN6thrust23THRUST_200600_302600_NS5tupleIilNS6_9null_typeES8_S8_S8_S8_S8_S8_S8_EEEEZNS1_11reduce_implILb0ES3_PS9_SC_S9_NS6_11hip_rocprim9__extrema9arg_max_fIilNS6_4lessIiEEEEEE10hipError_tPvRmT1_T2_T3_mT4_P12ihipStream_tbEUlT_E1_NS1_11comp_targetILNS1_3genE9ELNS1_11target_archE1100ELNS1_3gpuE3ELNS1_3repE0EEENS1_30default_config_static_selectorELNS0_4arch9wavefront6targetE1EEEvSM_,"axG",@progbits,_ZN7rocprim17ROCPRIM_400000_NS6detail17trampoline_kernelINS0_14default_configENS1_22reduce_config_selectorIN6thrust23THRUST_200600_302600_NS5tupleIilNS6_9null_typeES8_S8_S8_S8_S8_S8_S8_EEEEZNS1_11reduce_implILb0ES3_PS9_SC_S9_NS6_11hip_rocprim9__extrema9arg_max_fIilNS6_4lessIiEEEEEE10hipError_tPvRmT1_T2_T3_mT4_P12ihipStream_tbEUlT_E1_NS1_11comp_targetILNS1_3genE9ELNS1_11target_archE1100ELNS1_3gpuE3ELNS1_3repE0EEENS1_30default_config_static_selectorELNS0_4arch9wavefront6targetE1EEEvSM_,comdat
	.protected	_ZN7rocprim17ROCPRIM_400000_NS6detail17trampoline_kernelINS0_14default_configENS1_22reduce_config_selectorIN6thrust23THRUST_200600_302600_NS5tupleIilNS6_9null_typeES8_S8_S8_S8_S8_S8_S8_EEEEZNS1_11reduce_implILb0ES3_PS9_SC_S9_NS6_11hip_rocprim9__extrema9arg_max_fIilNS6_4lessIiEEEEEE10hipError_tPvRmT1_T2_T3_mT4_P12ihipStream_tbEUlT_E1_NS1_11comp_targetILNS1_3genE9ELNS1_11target_archE1100ELNS1_3gpuE3ELNS1_3repE0EEENS1_30default_config_static_selectorELNS0_4arch9wavefront6targetE1EEEvSM_ ; -- Begin function _ZN7rocprim17ROCPRIM_400000_NS6detail17trampoline_kernelINS0_14default_configENS1_22reduce_config_selectorIN6thrust23THRUST_200600_302600_NS5tupleIilNS6_9null_typeES8_S8_S8_S8_S8_S8_S8_EEEEZNS1_11reduce_implILb0ES3_PS9_SC_S9_NS6_11hip_rocprim9__extrema9arg_max_fIilNS6_4lessIiEEEEEE10hipError_tPvRmT1_T2_T3_mT4_P12ihipStream_tbEUlT_E1_NS1_11comp_targetILNS1_3genE9ELNS1_11target_archE1100ELNS1_3gpuE3ELNS1_3repE0EEENS1_30default_config_static_selectorELNS0_4arch9wavefront6targetE1EEEvSM_
	.globl	_ZN7rocprim17ROCPRIM_400000_NS6detail17trampoline_kernelINS0_14default_configENS1_22reduce_config_selectorIN6thrust23THRUST_200600_302600_NS5tupleIilNS6_9null_typeES8_S8_S8_S8_S8_S8_S8_EEEEZNS1_11reduce_implILb0ES3_PS9_SC_S9_NS6_11hip_rocprim9__extrema9arg_max_fIilNS6_4lessIiEEEEEE10hipError_tPvRmT1_T2_T3_mT4_P12ihipStream_tbEUlT_E1_NS1_11comp_targetILNS1_3genE9ELNS1_11target_archE1100ELNS1_3gpuE3ELNS1_3repE0EEENS1_30default_config_static_selectorELNS0_4arch9wavefront6targetE1EEEvSM_
	.p2align	8
	.type	_ZN7rocprim17ROCPRIM_400000_NS6detail17trampoline_kernelINS0_14default_configENS1_22reduce_config_selectorIN6thrust23THRUST_200600_302600_NS5tupleIilNS6_9null_typeES8_S8_S8_S8_S8_S8_S8_EEEEZNS1_11reduce_implILb0ES3_PS9_SC_S9_NS6_11hip_rocprim9__extrema9arg_max_fIilNS6_4lessIiEEEEEE10hipError_tPvRmT1_T2_T3_mT4_P12ihipStream_tbEUlT_E1_NS1_11comp_targetILNS1_3genE9ELNS1_11target_archE1100ELNS1_3gpuE3ELNS1_3repE0EEENS1_30default_config_static_selectorELNS0_4arch9wavefront6targetE1EEEvSM_,@function
_ZN7rocprim17ROCPRIM_400000_NS6detail17trampoline_kernelINS0_14default_configENS1_22reduce_config_selectorIN6thrust23THRUST_200600_302600_NS5tupleIilNS6_9null_typeES8_S8_S8_S8_S8_S8_S8_EEEEZNS1_11reduce_implILb0ES3_PS9_SC_S9_NS6_11hip_rocprim9__extrema9arg_max_fIilNS6_4lessIiEEEEEE10hipError_tPvRmT1_T2_T3_mT4_P12ihipStream_tbEUlT_E1_NS1_11comp_targetILNS1_3genE9ELNS1_11target_archE1100ELNS1_3gpuE3ELNS1_3repE0EEENS1_30default_config_static_selectorELNS0_4arch9wavefront6targetE1EEEvSM_: ; @_ZN7rocprim17ROCPRIM_400000_NS6detail17trampoline_kernelINS0_14default_configENS1_22reduce_config_selectorIN6thrust23THRUST_200600_302600_NS5tupleIilNS6_9null_typeES8_S8_S8_S8_S8_S8_S8_EEEEZNS1_11reduce_implILb0ES3_PS9_SC_S9_NS6_11hip_rocprim9__extrema9arg_max_fIilNS6_4lessIiEEEEEE10hipError_tPvRmT1_T2_T3_mT4_P12ihipStream_tbEUlT_E1_NS1_11comp_targetILNS1_3genE9ELNS1_11target_archE1100ELNS1_3gpuE3ELNS1_3repE0EEENS1_30default_config_static_selectorELNS0_4arch9wavefront6targetE1EEEvSM_
; %bb.0:
	.section	.rodata,"a",@progbits
	.p2align	6, 0x0
	.amdhsa_kernel _ZN7rocprim17ROCPRIM_400000_NS6detail17trampoline_kernelINS0_14default_configENS1_22reduce_config_selectorIN6thrust23THRUST_200600_302600_NS5tupleIilNS6_9null_typeES8_S8_S8_S8_S8_S8_S8_EEEEZNS1_11reduce_implILb0ES3_PS9_SC_S9_NS6_11hip_rocprim9__extrema9arg_max_fIilNS6_4lessIiEEEEEE10hipError_tPvRmT1_T2_T3_mT4_P12ihipStream_tbEUlT_E1_NS1_11comp_targetILNS1_3genE9ELNS1_11target_archE1100ELNS1_3gpuE3ELNS1_3repE0EEENS1_30default_config_static_selectorELNS0_4arch9wavefront6targetE1EEEvSM_
		.amdhsa_group_segment_fixed_size 0
		.amdhsa_private_segment_fixed_size 0
		.amdhsa_kernarg_size 56
		.amdhsa_user_sgpr_count 6
		.amdhsa_user_sgpr_private_segment_buffer 1
		.amdhsa_user_sgpr_dispatch_ptr 0
		.amdhsa_user_sgpr_queue_ptr 0
		.amdhsa_user_sgpr_kernarg_segment_ptr 1
		.amdhsa_user_sgpr_dispatch_id 0
		.amdhsa_user_sgpr_flat_scratch_init 0
		.amdhsa_user_sgpr_kernarg_preload_length 0
		.amdhsa_user_sgpr_kernarg_preload_offset 0
		.amdhsa_user_sgpr_private_segment_size 0
		.amdhsa_uses_dynamic_stack 0
		.amdhsa_system_sgpr_private_segment_wavefront_offset 0
		.amdhsa_system_sgpr_workgroup_id_x 1
		.amdhsa_system_sgpr_workgroup_id_y 0
		.amdhsa_system_sgpr_workgroup_id_z 0
		.amdhsa_system_sgpr_workgroup_info 0
		.amdhsa_system_vgpr_workitem_id 0
		.amdhsa_next_free_vgpr 1
		.amdhsa_next_free_sgpr 0
		.amdhsa_accum_offset 4
		.amdhsa_reserve_vcc 0
		.amdhsa_reserve_flat_scratch 0
		.amdhsa_float_round_mode_32 0
		.amdhsa_float_round_mode_16_64 0
		.amdhsa_float_denorm_mode_32 3
		.amdhsa_float_denorm_mode_16_64 3
		.amdhsa_dx10_clamp 1
		.amdhsa_ieee_mode 1
		.amdhsa_fp16_overflow 0
		.amdhsa_tg_split 0
		.amdhsa_exception_fp_ieee_invalid_op 0
		.amdhsa_exception_fp_denorm_src 0
		.amdhsa_exception_fp_ieee_div_zero 0
		.amdhsa_exception_fp_ieee_overflow 0
		.amdhsa_exception_fp_ieee_underflow 0
		.amdhsa_exception_fp_ieee_inexact 0
		.amdhsa_exception_int_div_zero 0
	.end_amdhsa_kernel
	.section	.text._ZN7rocprim17ROCPRIM_400000_NS6detail17trampoline_kernelINS0_14default_configENS1_22reduce_config_selectorIN6thrust23THRUST_200600_302600_NS5tupleIilNS6_9null_typeES8_S8_S8_S8_S8_S8_S8_EEEEZNS1_11reduce_implILb0ES3_PS9_SC_S9_NS6_11hip_rocprim9__extrema9arg_max_fIilNS6_4lessIiEEEEEE10hipError_tPvRmT1_T2_T3_mT4_P12ihipStream_tbEUlT_E1_NS1_11comp_targetILNS1_3genE9ELNS1_11target_archE1100ELNS1_3gpuE3ELNS1_3repE0EEENS1_30default_config_static_selectorELNS0_4arch9wavefront6targetE1EEEvSM_,"axG",@progbits,_ZN7rocprim17ROCPRIM_400000_NS6detail17trampoline_kernelINS0_14default_configENS1_22reduce_config_selectorIN6thrust23THRUST_200600_302600_NS5tupleIilNS6_9null_typeES8_S8_S8_S8_S8_S8_S8_EEEEZNS1_11reduce_implILb0ES3_PS9_SC_S9_NS6_11hip_rocprim9__extrema9arg_max_fIilNS6_4lessIiEEEEEE10hipError_tPvRmT1_T2_T3_mT4_P12ihipStream_tbEUlT_E1_NS1_11comp_targetILNS1_3genE9ELNS1_11target_archE1100ELNS1_3gpuE3ELNS1_3repE0EEENS1_30default_config_static_selectorELNS0_4arch9wavefront6targetE1EEEvSM_,comdat
.Lfunc_end196:
	.size	_ZN7rocprim17ROCPRIM_400000_NS6detail17trampoline_kernelINS0_14default_configENS1_22reduce_config_selectorIN6thrust23THRUST_200600_302600_NS5tupleIilNS6_9null_typeES8_S8_S8_S8_S8_S8_S8_EEEEZNS1_11reduce_implILb0ES3_PS9_SC_S9_NS6_11hip_rocprim9__extrema9arg_max_fIilNS6_4lessIiEEEEEE10hipError_tPvRmT1_T2_T3_mT4_P12ihipStream_tbEUlT_E1_NS1_11comp_targetILNS1_3genE9ELNS1_11target_archE1100ELNS1_3gpuE3ELNS1_3repE0EEENS1_30default_config_static_selectorELNS0_4arch9wavefront6targetE1EEEvSM_, .Lfunc_end196-_ZN7rocprim17ROCPRIM_400000_NS6detail17trampoline_kernelINS0_14default_configENS1_22reduce_config_selectorIN6thrust23THRUST_200600_302600_NS5tupleIilNS6_9null_typeES8_S8_S8_S8_S8_S8_S8_EEEEZNS1_11reduce_implILb0ES3_PS9_SC_S9_NS6_11hip_rocprim9__extrema9arg_max_fIilNS6_4lessIiEEEEEE10hipError_tPvRmT1_T2_T3_mT4_P12ihipStream_tbEUlT_E1_NS1_11comp_targetILNS1_3genE9ELNS1_11target_archE1100ELNS1_3gpuE3ELNS1_3repE0EEENS1_30default_config_static_selectorELNS0_4arch9wavefront6targetE1EEEvSM_
                                        ; -- End function
	.section	.AMDGPU.csdata,"",@progbits
; Kernel info:
; codeLenInByte = 0
; NumSgprs: 4
; NumVgprs: 0
; NumAgprs: 0
; TotalNumVgprs: 0
; ScratchSize: 0
; MemoryBound: 0
; FloatMode: 240
; IeeeMode: 1
; LDSByteSize: 0 bytes/workgroup (compile time only)
; SGPRBlocks: 0
; VGPRBlocks: 0
; NumSGPRsForWavesPerEU: 4
; NumVGPRsForWavesPerEU: 1
; AccumOffset: 4
; Occupancy: 8
; WaveLimiterHint : 0
; COMPUTE_PGM_RSRC2:SCRATCH_EN: 0
; COMPUTE_PGM_RSRC2:USER_SGPR: 6
; COMPUTE_PGM_RSRC2:TRAP_HANDLER: 0
; COMPUTE_PGM_RSRC2:TGID_X_EN: 1
; COMPUTE_PGM_RSRC2:TGID_Y_EN: 0
; COMPUTE_PGM_RSRC2:TGID_Z_EN: 0
; COMPUTE_PGM_RSRC2:TIDIG_COMP_CNT: 0
; COMPUTE_PGM_RSRC3_GFX90A:ACCUM_OFFSET: 0
; COMPUTE_PGM_RSRC3_GFX90A:TG_SPLIT: 0
	.section	.text._ZN7rocprim17ROCPRIM_400000_NS6detail17trampoline_kernelINS0_14default_configENS1_22reduce_config_selectorIN6thrust23THRUST_200600_302600_NS5tupleIilNS6_9null_typeES8_S8_S8_S8_S8_S8_S8_EEEEZNS1_11reduce_implILb0ES3_PS9_SC_S9_NS6_11hip_rocprim9__extrema9arg_max_fIilNS6_4lessIiEEEEEE10hipError_tPvRmT1_T2_T3_mT4_P12ihipStream_tbEUlT_E1_NS1_11comp_targetILNS1_3genE8ELNS1_11target_archE1030ELNS1_3gpuE2ELNS1_3repE0EEENS1_30default_config_static_selectorELNS0_4arch9wavefront6targetE1EEEvSM_,"axG",@progbits,_ZN7rocprim17ROCPRIM_400000_NS6detail17trampoline_kernelINS0_14default_configENS1_22reduce_config_selectorIN6thrust23THRUST_200600_302600_NS5tupleIilNS6_9null_typeES8_S8_S8_S8_S8_S8_S8_EEEEZNS1_11reduce_implILb0ES3_PS9_SC_S9_NS6_11hip_rocprim9__extrema9arg_max_fIilNS6_4lessIiEEEEEE10hipError_tPvRmT1_T2_T3_mT4_P12ihipStream_tbEUlT_E1_NS1_11comp_targetILNS1_3genE8ELNS1_11target_archE1030ELNS1_3gpuE2ELNS1_3repE0EEENS1_30default_config_static_selectorELNS0_4arch9wavefront6targetE1EEEvSM_,comdat
	.protected	_ZN7rocprim17ROCPRIM_400000_NS6detail17trampoline_kernelINS0_14default_configENS1_22reduce_config_selectorIN6thrust23THRUST_200600_302600_NS5tupleIilNS6_9null_typeES8_S8_S8_S8_S8_S8_S8_EEEEZNS1_11reduce_implILb0ES3_PS9_SC_S9_NS6_11hip_rocprim9__extrema9arg_max_fIilNS6_4lessIiEEEEEE10hipError_tPvRmT1_T2_T3_mT4_P12ihipStream_tbEUlT_E1_NS1_11comp_targetILNS1_3genE8ELNS1_11target_archE1030ELNS1_3gpuE2ELNS1_3repE0EEENS1_30default_config_static_selectorELNS0_4arch9wavefront6targetE1EEEvSM_ ; -- Begin function _ZN7rocprim17ROCPRIM_400000_NS6detail17trampoline_kernelINS0_14default_configENS1_22reduce_config_selectorIN6thrust23THRUST_200600_302600_NS5tupleIilNS6_9null_typeES8_S8_S8_S8_S8_S8_S8_EEEEZNS1_11reduce_implILb0ES3_PS9_SC_S9_NS6_11hip_rocprim9__extrema9arg_max_fIilNS6_4lessIiEEEEEE10hipError_tPvRmT1_T2_T3_mT4_P12ihipStream_tbEUlT_E1_NS1_11comp_targetILNS1_3genE8ELNS1_11target_archE1030ELNS1_3gpuE2ELNS1_3repE0EEENS1_30default_config_static_selectorELNS0_4arch9wavefront6targetE1EEEvSM_
	.globl	_ZN7rocprim17ROCPRIM_400000_NS6detail17trampoline_kernelINS0_14default_configENS1_22reduce_config_selectorIN6thrust23THRUST_200600_302600_NS5tupleIilNS6_9null_typeES8_S8_S8_S8_S8_S8_S8_EEEEZNS1_11reduce_implILb0ES3_PS9_SC_S9_NS6_11hip_rocprim9__extrema9arg_max_fIilNS6_4lessIiEEEEEE10hipError_tPvRmT1_T2_T3_mT4_P12ihipStream_tbEUlT_E1_NS1_11comp_targetILNS1_3genE8ELNS1_11target_archE1030ELNS1_3gpuE2ELNS1_3repE0EEENS1_30default_config_static_selectorELNS0_4arch9wavefront6targetE1EEEvSM_
	.p2align	8
	.type	_ZN7rocprim17ROCPRIM_400000_NS6detail17trampoline_kernelINS0_14default_configENS1_22reduce_config_selectorIN6thrust23THRUST_200600_302600_NS5tupleIilNS6_9null_typeES8_S8_S8_S8_S8_S8_S8_EEEEZNS1_11reduce_implILb0ES3_PS9_SC_S9_NS6_11hip_rocprim9__extrema9arg_max_fIilNS6_4lessIiEEEEEE10hipError_tPvRmT1_T2_T3_mT4_P12ihipStream_tbEUlT_E1_NS1_11comp_targetILNS1_3genE8ELNS1_11target_archE1030ELNS1_3gpuE2ELNS1_3repE0EEENS1_30default_config_static_selectorELNS0_4arch9wavefront6targetE1EEEvSM_,@function
_ZN7rocprim17ROCPRIM_400000_NS6detail17trampoline_kernelINS0_14default_configENS1_22reduce_config_selectorIN6thrust23THRUST_200600_302600_NS5tupleIilNS6_9null_typeES8_S8_S8_S8_S8_S8_S8_EEEEZNS1_11reduce_implILb0ES3_PS9_SC_S9_NS6_11hip_rocprim9__extrema9arg_max_fIilNS6_4lessIiEEEEEE10hipError_tPvRmT1_T2_T3_mT4_P12ihipStream_tbEUlT_E1_NS1_11comp_targetILNS1_3genE8ELNS1_11target_archE1030ELNS1_3gpuE2ELNS1_3repE0EEENS1_30default_config_static_selectorELNS0_4arch9wavefront6targetE1EEEvSM_: ; @_ZN7rocprim17ROCPRIM_400000_NS6detail17trampoline_kernelINS0_14default_configENS1_22reduce_config_selectorIN6thrust23THRUST_200600_302600_NS5tupleIilNS6_9null_typeES8_S8_S8_S8_S8_S8_S8_EEEEZNS1_11reduce_implILb0ES3_PS9_SC_S9_NS6_11hip_rocprim9__extrema9arg_max_fIilNS6_4lessIiEEEEEE10hipError_tPvRmT1_T2_T3_mT4_P12ihipStream_tbEUlT_E1_NS1_11comp_targetILNS1_3genE8ELNS1_11target_archE1030ELNS1_3gpuE2ELNS1_3repE0EEENS1_30default_config_static_selectorELNS0_4arch9wavefront6targetE1EEEvSM_
; %bb.0:
	.section	.rodata,"a",@progbits
	.p2align	6, 0x0
	.amdhsa_kernel _ZN7rocprim17ROCPRIM_400000_NS6detail17trampoline_kernelINS0_14default_configENS1_22reduce_config_selectorIN6thrust23THRUST_200600_302600_NS5tupleIilNS6_9null_typeES8_S8_S8_S8_S8_S8_S8_EEEEZNS1_11reduce_implILb0ES3_PS9_SC_S9_NS6_11hip_rocprim9__extrema9arg_max_fIilNS6_4lessIiEEEEEE10hipError_tPvRmT1_T2_T3_mT4_P12ihipStream_tbEUlT_E1_NS1_11comp_targetILNS1_3genE8ELNS1_11target_archE1030ELNS1_3gpuE2ELNS1_3repE0EEENS1_30default_config_static_selectorELNS0_4arch9wavefront6targetE1EEEvSM_
		.amdhsa_group_segment_fixed_size 0
		.amdhsa_private_segment_fixed_size 0
		.amdhsa_kernarg_size 56
		.amdhsa_user_sgpr_count 6
		.amdhsa_user_sgpr_private_segment_buffer 1
		.amdhsa_user_sgpr_dispatch_ptr 0
		.amdhsa_user_sgpr_queue_ptr 0
		.amdhsa_user_sgpr_kernarg_segment_ptr 1
		.amdhsa_user_sgpr_dispatch_id 0
		.amdhsa_user_sgpr_flat_scratch_init 0
		.amdhsa_user_sgpr_kernarg_preload_length 0
		.amdhsa_user_sgpr_kernarg_preload_offset 0
		.amdhsa_user_sgpr_private_segment_size 0
		.amdhsa_uses_dynamic_stack 0
		.amdhsa_system_sgpr_private_segment_wavefront_offset 0
		.amdhsa_system_sgpr_workgroup_id_x 1
		.amdhsa_system_sgpr_workgroup_id_y 0
		.amdhsa_system_sgpr_workgroup_id_z 0
		.amdhsa_system_sgpr_workgroup_info 0
		.amdhsa_system_vgpr_workitem_id 0
		.amdhsa_next_free_vgpr 1
		.amdhsa_next_free_sgpr 0
		.amdhsa_accum_offset 4
		.amdhsa_reserve_vcc 0
		.amdhsa_reserve_flat_scratch 0
		.amdhsa_float_round_mode_32 0
		.amdhsa_float_round_mode_16_64 0
		.amdhsa_float_denorm_mode_32 3
		.amdhsa_float_denorm_mode_16_64 3
		.amdhsa_dx10_clamp 1
		.amdhsa_ieee_mode 1
		.amdhsa_fp16_overflow 0
		.amdhsa_tg_split 0
		.amdhsa_exception_fp_ieee_invalid_op 0
		.amdhsa_exception_fp_denorm_src 0
		.amdhsa_exception_fp_ieee_div_zero 0
		.amdhsa_exception_fp_ieee_overflow 0
		.amdhsa_exception_fp_ieee_underflow 0
		.amdhsa_exception_fp_ieee_inexact 0
		.amdhsa_exception_int_div_zero 0
	.end_amdhsa_kernel
	.section	.text._ZN7rocprim17ROCPRIM_400000_NS6detail17trampoline_kernelINS0_14default_configENS1_22reduce_config_selectorIN6thrust23THRUST_200600_302600_NS5tupleIilNS6_9null_typeES8_S8_S8_S8_S8_S8_S8_EEEEZNS1_11reduce_implILb0ES3_PS9_SC_S9_NS6_11hip_rocprim9__extrema9arg_max_fIilNS6_4lessIiEEEEEE10hipError_tPvRmT1_T2_T3_mT4_P12ihipStream_tbEUlT_E1_NS1_11comp_targetILNS1_3genE8ELNS1_11target_archE1030ELNS1_3gpuE2ELNS1_3repE0EEENS1_30default_config_static_selectorELNS0_4arch9wavefront6targetE1EEEvSM_,"axG",@progbits,_ZN7rocprim17ROCPRIM_400000_NS6detail17trampoline_kernelINS0_14default_configENS1_22reduce_config_selectorIN6thrust23THRUST_200600_302600_NS5tupleIilNS6_9null_typeES8_S8_S8_S8_S8_S8_S8_EEEEZNS1_11reduce_implILb0ES3_PS9_SC_S9_NS6_11hip_rocprim9__extrema9arg_max_fIilNS6_4lessIiEEEEEE10hipError_tPvRmT1_T2_T3_mT4_P12ihipStream_tbEUlT_E1_NS1_11comp_targetILNS1_3genE8ELNS1_11target_archE1030ELNS1_3gpuE2ELNS1_3repE0EEENS1_30default_config_static_selectorELNS0_4arch9wavefront6targetE1EEEvSM_,comdat
.Lfunc_end197:
	.size	_ZN7rocprim17ROCPRIM_400000_NS6detail17trampoline_kernelINS0_14default_configENS1_22reduce_config_selectorIN6thrust23THRUST_200600_302600_NS5tupleIilNS6_9null_typeES8_S8_S8_S8_S8_S8_S8_EEEEZNS1_11reduce_implILb0ES3_PS9_SC_S9_NS6_11hip_rocprim9__extrema9arg_max_fIilNS6_4lessIiEEEEEE10hipError_tPvRmT1_T2_T3_mT4_P12ihipStream_tbEUlT_E1_NS1_11comp_targetILNS1_3genE8ELNS1_11target_archE1030ELNS1_3gpuE2ELNS1_3repE0EEENS1_30default_config_static_selectorELNS0_4arch9wavefront6targetE1EEEvSM_, .Lfunc_end197-_ZN7rocprim17ROCPRIM_400000_NS6detail17trampoline_kernelINS0_14default_configENS1_22reduce_config_selectorIN6thrust23THRUST_200600_302600_NS5tupleIilNS6_9null_typeES8_S8_S8_S8_S8_S8_S8_EEEEZNS1_11reduce_implILb0ES3_PS9_SC_S9_NS6_11hip_rocprim9__extrema9arg_max_fIilNS6_4lessIiEEEEEE10hipError_tPvRmT1_T2_T3_mT4_P12ihipStream_tbEUlT_E1_NS1_11comp_targetILNS1_3genE8ELNS1_11target_archE1030ELNS1_3gpuE2ELNS1_3repE0EEENS1_30default_config_static_selectorELNS0_4arch9wavefront6targetE1EEEvSM_
                                        ; -- End function
	.section	.AMDGPU.csdata,"",@progbits
; Kernel info:
; codeLenInByte = 0
; NumSgprs: 4
; NumVgprs: 0
; NumAgprs: 0
; TotalNumVgprs: 0
; ScratchSize: 0
; MemoryBound: 0
; FloatMode: 240
; IeeeMode: 1
; LDSByteSize: 0 bytes/workgroup (compile time only)
; SGPRBlocks: 0
; VGPRBlocks: 0
; NumSGPRsForWavesPerEU: 4
; NumVGPRsForWavesPerEU: 1
; AccumOffset: 4
; Occupancy: 8
; WaveLimiterHint : 0
; COMPUTE_PGM_RSRC2:SCRATCH_EN: 0
; COMPUTE_PGM_RSRC2:USER_SGPR: 6
; COMPUTE_PGM_RSRC2:TRAP_HANDLER: 0
; COMPUTE_PGM_RSRC2:TGID_X_EN: 1
; COMPUTE_PGM_RSRC2:TGID_Y_EN: 0
; COMPUTE_PGM_RSRC2:TGID_Z_EN: 0
; COMPUTE_PGM_RSRC2:TIDIG_COMP_CNT: 0
; COMPUTE_PGM_RSRC3_GFX90A:ACCUM_OFFSET: 0
; COMPUTE_PGM_RSRC3_GFX90A:TG_SPLIT: 0
	.section	.text._ZN7rocprim17ROCPRIM_400000_NS6detail17trampoline_kernelINS0_14default_configENS1_22reduce_config_selectorIN6thrust23THRUST_200600_302600_NS5tupleIilNS6_9null_typeES8_S8_S8_S8_S8_S8_S8_EEEEZNS1_11reduce_implILb0ES3_NS6_12zip_iteratorINS7_IPiNS6_11hip_rocprim19counting_iterator_tIlEES8_S8_S8_S8_S8_S8_S8_S8_EEEEPS9_S9_NSE_9__extrema9arg_max_fIilNS6_4lessIiEEEEEE10hipError_tPvRmT1_T2_T3_mT4_P12ihipStream_tbEUlT_E0_NS1_11comp_targetILNS1_3genE0ELNS1_11target_archE4294967295ELNS1_3gpuE0ELNS1_3repE0EEENS1_30default_config_static_selectorELNS0_4arch9wavefront6targetE1EEEvSS_,"axG",@progbits,_ZN7rocprim17ROCPRIM_400000_NS6detail17trampoline_kernelINS0_14default_configENS1_22reduce_config_selectorIN6thrust23THRUST_200600_302600_NS5tupleIilNS6_9null_typeES8_S8_S8_S8_S8_S8_S8_EEEEZNS1_11reduce_implILb0ES3_NS6_12zip_iteratorINS7_IPiNS6_11hip_rocprim19counting_iterator_tIlEES8_S8_S8_S8_S8_S8_S8_S8_EEEEPS9_S9_NSE_9__extrema9arg_max_fIilNS6_4lessIiEEEEEE10hipError_tPvRmT1_T2_T3_mT4_P12ihipStream_tbEUlT_E0_NS1_11comp_targetILNS1_3genE0ELNS1_11target_archE4294967295ELNS1_3gpuE0ELNS1_3repE0EEENS1_30default_config_static_selectorELNS0_4arch9wavefront6targetE1EEEvSS_,comdat
	.protected	_ZN7rocprim17ROCPRIM_400000_NS6detail17trampoline_kernelINS0_14default_configENS1_22reduce_config_selectorIN6thrust23THRUST_200600_302600_NS5tupleIilNS6_9null_typeES8_S8_S8_S8_S8_S8_S8_EEEEZNS1_11reduce_implILb0ES3_NS6_12zip_iteratorINS7_IPiNS6_11hip_rocprim19counting_iterator_tIlEES8_S8_S8_S8_S8_S8_S8_S8_EEEEPS9_S9_NSE_9__extrema9arg_max_fIilNS6_4lessIiEEEEEE10hipError_tPvRmT1_T2_T3_mT4_P12ihipStream_tbEUlT_E0_NS1_11comp_targetILNS1_3genE0ELNS1_11target_archE4294967295ELNS1_3gpuE0ELNS1_3repE0EEENS1_30default_config_static_selectorELNS0_4arch9wavefront6targetE1EEEvSS_ ; -- Begin function _ZN7rocprim17ROCPRIM_400000_NS6detail17trampoline_kernelINS0_14default_configENS1_22reduce_config_selectorIN6thrust23THRUST_200600_302600_NS5tupleIilNS6_9null_typeES8_S8_S8_S8_S8_S8_S8_EEEEZNS1_11reduce_implILb0ES3_NS6_12zip_iteratorINS7_IPiNS6_11hip_rocprim19counting_iterator_tIlEES8_S8_S8_S8_S8_S8_S8_S8_EEEEPS9_S9_NSE_9__extrema9arg_max_fIilNS6_4lessIiEEEEEE10hipError_tPvRmT1_T2_T3_mT4_P12ihipStream_tbEUlT_E0_NS1_11comp_targetILNS1_3genE0ELNS1_11target_archE4294967295ELNS1_3gpuE0ELNS1_3repE0EEENS1_30default_config_static_selectorELNS0_4arch9wavefront6targetE1EEEvSS_
	.globl	_ZN7rocprim17ROCPRIM_400000_NS6detail17trampoline_kernelINS0_14default_configENS1_22reduce_config_selectorIN6thrust23THRUST_200600_302600_NS5tupleIilNS6_9null_typeES8_S8_S8_S8_S8_S8_S8_EEEEZNS1_11reduce_implILb0ES3_NS6_12zip_iteratorINS7_IPiNS6_11hip_rocprim19counting_iterator_tIlEES8_S8_S8_S8_S8_S8_S8_S8_EEEEPS9_S9_NSE_9__extrema9arg_max_fIilNS6_4lessIiEEEEEE10hipError_tPvRmT1_T2_T3_mT4_P12ihipStream_tbEUlT_E0_NS1_11comp_targetILNS1_3genE0ELNS1_11target_archE4294967295ELNS1_3gpuE0ELNS1_3repE0EEENS1_30default_config_static_selectorELNS0_4arch9wavefront6targetE1EEEvSS_
	.p2align	8
	.type	_ZN7rocprim17ROCPRIM_400000_NS6detail17trampoline_kernelINS0_14default_configENS1_22reduce_config_selectorIN6thrust23THRUST_200600_302600_NS5tupleIilNS6_9null_typeES8_S8_S8_S8_S8_S8_S8_EEEEZNS1_11reduce_implILb0ES3_NS6_12zip_iteratorINS7_IPiNS6_11hip_rocprim19counting_iterator_tIlEES8_S8_S8_S8_S8_S8_S8_S8_EEEEPS9_S9_NSE_9__extrema9arg_max_fIilNS6_4lessIiEEEEEE10hipError_tPvRmT1_T2_T3_mT4_P12ihipStream_tbEUlT_E0_NS1_11comp_targetILNS1_3genE0ELNS1_11target_archE4294967295ELNS1_3gpuE0ELNS1_3repE0EEENS1_30default_config_static_selectorELNS0_4arch9wavefront6targetE1EEEvSS_,@function
_ZN7rocprim17ROCPRIM_400000_NS6detail17trampoline_kernelINS0_14default_configENS1_22reduce_config_selectorIN6thrust23THRUST_200600_302600_NS5tupleIilNS6_9null_typeES8_S8_S8_S8_S8_S8_S8_EEEEZNS1_11reduce_implILb0ES3_NS6_12zip_iteratorINS7_IPiNS6_11hip_rocprim19counting_iterator_tIlEES8_S8_S8_S8_S8_S8_S8_S8_EEEEPS9_S9_NSE_9__extrema9arg_max_fIilNS6_4lessIiEEEEEE10hipError_tPvRmT1_T2_T3_mT4_P12ihipStream_tbEUlT_E0_NS1_11comp_targetILNS1_3genE0ELNS1_11target_archE4294967295ELNS1_3gpuE0ELNS1_3repE0EEENS1_30default_config_static_selectorELNS0_4arch9wavefront6targetE1EEEvSS_: ; @_ZN7rocprim17ROCPRIM_400000_NS6detail17trampoline_kernelINS0_14default_configENS1_22reduce_config_selectorIN6thrust23THRUST_200600_302600_NS5tupleIilNS6_9null_typeES8_S8_S8_S8_S8_S8_S8_EEEEZNS1_11reduce_implILb0ES3_NS6_12zip_iteratorINS7_IPiNS6_11hip_rocprim19counting_iterator_tIlEES8_S8_S8_S8_S8_S8_S8_S8_EEEEPS9_S9_NSE_9__extrema9arg_max_fIilNS6_4lessIiEEEEEE10hipError_tPvRmT1_T2_T3_mT4_P12ihipStream_tbEUlT_E0_NS1_11comp_targetILNS1_3genE0ELNS1_11target_archE4294967295ELNS1_3gpuE0ELNS1_3repE0EEENS1_30default_config_static_selectorELNS0_4arch9wavefront6targetE1EEEvSS_
; %bb.0:
	.section	.rodata,"a",@progbits
	.p2align	6, 0x0
	.amdhsa_kernel _ZN7rocprim17ROCPRIM_400000_NS6detail17trampoline_kernelINS0_14default_configENS1_22reduce_config_selectorIN6thrust23THRUST_200600_302600_NS5tupleIilNS6_9null_typeES8_S8_S8_S8_S8_S8_S8_EEEEZNS1_11reduce_implILb0ES3_NS6_12zip_iteratorINS7_IPiNS6_11hip_rocprim19counting_iterator_tIlEES8_S8_S8_S8_S8_S8_S8_S8_EEEEPS9_S9_NSE_9__extrema9arg_max_fIilNS6_4lessIiEEEEEE10hipError_tPvRmT1_T2_T3_mT4_P12ihipStream_tbEUlT_E0_NS1_11comp_targetILNS1_3genE0ELNS1_11target_archE4294967295ELNS1_3gpuE0ELNS1_3repE0EEENS1_30default_config_static_selectorELNS0_4arch9wavefront6targetE1EEEvSS_
		.amdhsa_group_segment_fixed_size 0
		.amdhsa_private_segment_fixed_size 0
		.amdhsa_kernarg_size 80
		.amdhsa_user_sgpr_count 6
		.amdhsa_user_sgpr_private_segment_buffer 1
		.amdhsa_user_sgpr_dispatch_ptr 0
		.amdhsa_user_sgpr_queue_ptr 0
		.amdhsa_user_sgpr_kernarg_segment_ptr 1
		.amdhsa_user_sgpr_dispatch_id 0
		.amdhsa_user_sgpr_flat_scratch_init 0
		.amdhsa_user_sgpr_kernarg_preload_length 0
		.amdhsa_user_sgpr_kernarg_preload_offset 0
		.amdhsa_user_sgpr_private_segment_size 0
		.amdhsa_uses_dynamic_stack 0
		.amdhsa_system_sgpr_private_segment_wavefront_offset 0
		.amdhsa_system_sgpr_workgroup_id_x 1
		.amdhsa_system_sgpr_workgroup_id_y 0
		.amdhsa_system_sgpr_workgroup_id_z 0
		.amdhsa_system_sgpr_workgroup_info 0
		.amdhsa_system_vgpr_workitem_id 0
		.amdhsa_next_free_vgpr 1
		.amdhsa_next_free_sgpr 0
		.amdhsa_accum_offset 4
		.amdhsa_reserve_vcc 0
		.amdhsa_reserve_flat_scratch 0
		.amdhsa_float_round_mode_32 0
		.amdhsa_float_round_mode_16_64 0
		.amdhsa_float_denorm_mode_32 3
		.amdhsa_float_denorm_mode_16_64 3
		.amdhsa_dx10_clamp 1
		.amdhsa_ieee_mode 1
		.amdhsa_fp16_overflow 0
		.amdhsa_tg_split 0
		.amdhsa_exception_fp_ieee_invalid_op 0
		.amdhsa_exception_fp_denorm_src 0
		.amdhsa_exception_fp_ieee_div_zero 0
		.amdhsa_exception_fp_ieee_overflow 0
		.amdhsa_exception_fp_ieee_underflow 0
		.amdhsa_exception_fp_ieee_inexact 0
		.amdhsa_exception_int_div_zero 0
	.end_amdhsa_kernel
	.section	.text._ZN7rocprim17ROCPRIM_400000_NS6detail17trampoline_kernelINS0_14default_configENS1_22reduce_config_selectorIN6thrust23THRUST_200600_302600_NS5tupleIilNS6_9null_typeES8_S8_S8_S8_S8_S8_S8_EEEEZNS1_11reduce_implILb0ES3_NS6_12zip_iteratorINS7_IPiNS6_11hip_rocprim19counting_iterator_tIlEES8_S8_S8_S8_S8_S8_S8_S8_EEEEPS9_S9_NSE_9__extrema9arg_max_fIilNS6_4lessIiEEEEEE10hipError_tPvRmT1_T2_T3_mT4_P12ihipStream_tbEUlT_E0_NS1_11comp_targetILNS1_3genE0ELNS1_11target_archE4294967295ELNS1_3gpuE0ELNS1_3repE0EEENS1_30default_config_static_selectorELNS0_4arch9wavefront6targetE1EEEvSS_,"axG",@progbits,_ZN7rocprim17ROCPRIM_400000_NS6detail17trampoline_kernelINS0_14default_configENS1_22reduce_config_selectorIN6thrust23THRUST_200600_302600_NS5tupleIilNS6_9null_typeES8_S8_S8_S8_S8_S8_S8_EEEEZNS1_11reduce_implILb0ES3_NS6_12zip_iteratorINS7_IPiNS6_11hip_rocprim19counting_iterator_tIlEES8_S8_S8_S8_S8_S8_S8_S8_EEEEPS9_S9_NSE_9__extrema9arg_max_fIilNS6_4lessIiEEEEEE10hipError_tPvRmT1_T2_T3_mT4_P12ihipStream_tbEUlT_E0_NS1_11comp_targetILNS1_3genE0ELNS1_11target_archE4294967295ELNS1_3gpuE0ELNS1_3repE0EEENS1_30default_config_static_selectorELNS0_4arch9wavefront6targetE1EEEvSS_,comdat
.Lfunc_end198:
	.size	_ZN7rocprim17ROCPRIM_400000_NS6detail17trampoline_kernelINS0_14default_configENS1_22reduce_config_selectorIN6thrust23THRUST_200600_302600_NS5tupleIilNS6_9null_typeES8_S8_S8_S8_S8_S8_S8_EEEEZNS1_11reduce_implILb0ES3_NS6_12zip_iteratorINS7_IPiNS6_11hip_rocprim19counting_iterator_tIlEES8_S8_S8_S8_S8_S8_S8_S8_EEEEPS9_S9_NSE_9__extrema9arg_max_fIilNS6_4lessIiEEEEEE10hipError_tPvRmT1_T2_T3_mT4_P12ihipStream_tbEUlT_E0_NS1_11comp_targetILNS1_3genE0ELNS1_11target_archE4294967295ELNS1_3gpuE0ELNS1_3repE0EEENS1_30default_config_static_selectorELNS0_4arch9wavefront6targetE1EEEvSS_, .Lfunc_end198-_ZN7rocprim17ROCPRIM_400000_NS6detail17trampoline_kernelINS0_14default_configENS1_22reduce_config_selectorIN6thrust23THRUST_200600_302600_NS5tupleIilNS6_9null_typeES8_S8_S8_S8_S8_S8_S8_EEEEZNS1_11reduce_implILb0ES3_NS6_12zip_iteratorINS7_IPiNS6_11hip_rocprim19counting_iterator_tIlEES8_S8_S8_S8_S8_S8_S8_S8_EEEEPS9_S9_NSE_9__extrema9arg_max_fIilNS6_4lessIiEEEEEE10hipError_tPvRmT1_T2_T3_mT4_P12ihipStream_tbEUlT_E0_NS1_11comp_targetILNS1_3genE0ELNS1_11target_archE4294967295ELNS1_3gpuE0ELNS1_3repE0EEENS1_30default_config_static_selectorELNS0_4arch9wavefront6targetE1EEEvSS_
                                        ; -- End function
	.section	.AMDGPU.csdata,"",@progbits
; Kernel info:
; codeLenInByte = 0
; NumSgprs: 4
; NumVgprs: 0
; NumAgprs: 0
; TotalNumVgprs: 0
; ScratchSize: 0
; MemoryBound: 0
; FloatMode: 240
; IeeeMode: 1
; LDSByteSize: 0 bytes/workgroup (compile time only)
; SGPRBlocks: 0
; VGPRBlocks: 0
; NumSGPRsForWavesPerEU: 4
; NumVGPRsForWavesPerEU: 1
; AccumOffset: 4
; Occupancy: 8
; WaveLimiterHint : 0
; COMPUTE_PGM_RSRC2:SCRATCH_EN: 0
; COMPUTE_PGM_RSRC2:USER_SGPR: 6
; COMPUTE_PGM_RSRC2:TRAP_HANDLER: 0
; COMPUTE_PGM_RSRC2:TGID_X_EN: 1
; COMPUTE_PGM_RSRC2:TGID_Y_EN: 0
; COMPUTE_PGM_RSRC2:TGID_Z_EN: 0
; COMPUTE_PGM_RSRC2:TIDIG_COMP_CNT: 0
; COMPUTE_PGM_RSRC3_GFX90A:ACCUM_OFFSET: 0
; COMPUTE_PGM_RSRC3_GFX90A:TG_SPLIT: 0
	.section	.text._ZN7rocprim17ROCPRIM_400000_NS6detail17trampoline_kernelINS0_14default_configENS1_22reduce_config_selectorIN6thrust23THRUST_200600_302600_NS5tupleIilNS6_9null_typeES8_S8_S8_S8_S8_S8_S8_EEEEZNS1_11reduce_implILb0ES3_NS6_12zip_iteratorINS7_IPiNS6_11hip_rocprim19counting_iterator_tIlEES8_S8_S8_S8_S8_S8_S8_S8_EEEEPS9_S9_NSE_9__extrema9arg_max_fIilNS6_4lessIiEEEEEE10hipError_tPvRmT1_T2_T3_mT4_P12ihipStream_tbEUlT_E0_NS1_11comp_targetILNS1_3genE5ELNS1_11target_archE942ELNS1_3gpuE9ELNS1_3repE0EEENS1_30default_config_static_selectorELNS0_4arch9wavefront6targetE1EEEvSS_,"axG",@progbits,_ZN7rocprim17ROCPRIM_400000_NS6detail17trampoline_kernelINS0_14default_configENS1_22reduce_config_selectorIN6thrust23THRUST_200600_302600_NS5tupleIilNS6_9null_typeES8_S8_S8_S8_S8_S8_S8_EEEEZNS1_11reduce_implILb0ES3_NS6_12zip_iteratorINS7_IPiNS6_11hip_rocprim19counting_iterator_tIlEES8_S8_S8_S8_S8_S8_S8_S8_EEEEPS9_S9_NSE_9__extrema9arg_max_fIilNS6_4lessIiEEEEEE10hipError_tPvRmT1_T2_T3_mT4_P12ihipStream_tbEUlT_E0_NS1_11comp_targetILNS1_3genE5ELNS1_11target_archE942ELNS1_3gpuE9ELNS1_3repE0EEENS1_30default_config_static_selectorELNS0_4arch9wavefront6targetE1EEEvSS_,comdat
	.protected	_ZN7rocprim17ROCPRIM_400000_NS6detail17trampoline_kernelINS0_14default_configENS1_22reduce_config_selectorIN6thrust23THRUST_200600_302600_NS5tupleIilNS6_9null_typeES8_S8_S8_S8_S8_S8_S8_EEEEZNS1_11reduce_implILb0ES3_NS6_12zip_iteratorINS7_IPiNS6_11hip_rocprim19counting_iterator_tIlEES8_S8_S8_S8_S8_S8_S8_S8_EEEEPS9_S9_NSE_9__extrema9arg_max_fIilNS6_4lessIiEEEEEE10hipError_tPvRmT1_T2_T3_mT4_P12ihipStream_tbEUlT_E0_NS1_11comp_targetILNS1_3genE5ELNS1_11target_archE942ELNS1_3gpuE9ELNS1_3repE0EEENS1_30default_config_static_selectorELNS0_4arch9wavefront6targetE1EEEvSS_ ; -- Begin function _ZN7rocprim17ROCPRIM_400000_NS6detail17trampoline_kernelINS0_14default_configENS1_22reduce_config_selectorIN6thrust23THRUST_200600_302600_NS5tupleIilNS6_9null_typeES8_S8_S8_S8_S8_S8_S8_EEEEZNS1_11reduce_implILb0ES3_NS6_12zip_iteratorINS7_IPiNS6_11hip_rocprim19counting_iterator_tIlEES8_S8_S8_S8_S8_S8_S8_S8_EEEEPS9_S9_NSE_9__extrema9arg_max_fIilNS6_4lessIiEEEEEE10hipError_tPvRmT1_T2_T3_mT4_P12ihipStream_tbEUlT_E0_NS1_11comp_targetILNS1_3genE5ELNS1_11target_archE942ELNS1_3gpuE9ELNS1_3repE0EEENS1_30default_config_static_selectorELNS0_4arch9wavefront6targetE1EEEvSS_
	.globl	_ZN7rocprim17ROCPRIM_400000_NS6detail17trampoline_kernelINS0_14default_configENS1_22reduce_config_selectorIN6thrust23THRUST_200600_302600_NS5tupleIilNS6_9null_typeES8_S8_S8_S8_S8_S8_S8_EEEEZNS1_11reduce_implILb0ES3_NS6_12zip_iteratorINS7_IPiNS6_11hip_rocprim19counting_iterator_tIlEES8_S8_S8_S8_S8_S8_S8_S8_EEEEPS9_S9_NSE_9__extrema9arg_max_fIilNS6_4lessIiEEEEEE10hipError_tPvRmT1_T2_T3_mT4_P12ihipStream_tbEUlT_E0_NS1_11comp_targetILNS1_3genE5ELNS1_11target_archE942ELNS1_3gpuE9ELNS1_3repE0EEENS1_30default_config_static_selectorELNS0_4arch9wavefront6targetE1EEEvSS_
	.p2align	8
	.type	_ZN7rocprim17ROCPRIM_400000_NS6detail17trampoline_kernelINS0_14default_configENS1_22reduce_config_selectorIN6thrust23THRUST_200600_302600_NS5tupleIilNS6_9null_typeES8_S8_S8_S8_S8_S8_S8_EEEEZNS1_11reduce_implILb0ES3_NS6_12zip_iteratorINS7_IPiNS6_11hip_rocprim19counting_iterator_tIlEES8_S8_S8_S8_S8_S8_S8_S8_EEEEPS9_S9_NSE_9__extrema9arg_max_fIilNS6_4lessIiEEEEEE10hipError_tPvRmT1_T2_T3_mT4_P12ihipStream_tbEUlT_E0_NS1_11comp_targetILNS1_3genE5ELNS1_11target_archE942ELNS1_3gpuE9ELNS1_3repE0EEENS1_30default_config_static_selectorELNS0_4arch9wavefront6targetE1EEEvSS_,@function
_ZN7rocprim17ROCPRIM_400000_NS6detail17trampoline_kernelINS0_14default_configENS1_22reduce_config_selectorIN6thrust23THRUST_200600_302600_NS5tupleIilNS6_9null_typeES8_S8_S8_S8_S8_S8_S8_EEEEZNS1_11reduce_implILb0ES3_NS6_12zip_iteratorINS7_IPiNS6_11hip_rocprim19counting_iterator_tIlEES8_S8_S8_S8_S8_S8_S8_S8_EEEEPS9_S9_NSE_9__extrema9arg_max_fIilNS6_4lessIiEEEEEE10hipError_tPvRmT1_T2_T3_mT4_P12ihipStream_tbEUlT_E0_NS1_11comp_targetILNS1_3genE5ELNS1_11target_archE942ELNS1_3gpuE9ELNS1_3repE0EEENS1_30default_config_static_selectorELNS0_4arch9wavefront6targetE1EEEvSS_: ; @_ZN7rocprim17ROCPRIM_400000_NS6detail17trampoline_kernelINS0_14default_configENS1_22reduce_config_selectorIN6thrust23THRUST_200600_302600_NS5tupleIilNS6_9null_typeES8_S8_S8_S8_S8_S8_S8_EEEEZNS1_11reduce_implILb0ES3_NS6_12zip_iteratorINS7_IPiNS6_11hip_rocprim19counting_iterator_tIlEES8_S8_S8_S8_S8_S8_S8_S8_EEEEPS9_S9_NSE_9__extrema9arg_max_fIilNS6_4lessIiEEEEEE10hipError_tPvRmT1_T2_T3_mT4_P12ihipStream_tbEUlT_E0_NS1_11comp_targetILNS1_3genE5ELNS1_11target_archE942ELNS1_3gpuE9ELNS1_3repE0EEENS1_30default_config_static_selectorELNS0_4arch9wavefront6targetE1EEEvSS_
; %bb.0:
	.section	.rodata,"a",@progbits
	.p2align	6, 0x0
	.amdhsa_kernel _ZN7rocprim17ROCPRIM_400000_NS6detail17trampoline_kernelINS0_14default_configENS1_22reduce_config_selectorIN6thrust23THRUST_200600_302600_NS5tupleIilNS6_9null_typeES8_S8_S8_S8_S8_S8_S8_EEEEZNS1_11reduce_implILb0ES3_NS6_12zip_iteratorINS7_IPiNS6_11hip_rocprim19counting_iterator_tIlEES8_S8_S8_S8_S8_S8_S8_S8_EEEEPS9_S9_NSE_9__extrema9arg_max_fIilNS6_4lessIiEEEEEE10hipError_tPvRmT1_T2_T3_mT4_P12ihipStream_tbEUlT_E0_NS1_11comp_targetILNS1_3genE5ELNS1_11target_archE942ELNS1_3gpuE9ELNS1_3repE0EEENS1_30default_config_static_selectorELNS0_4arch9wavefront6targetE1EEEvSS_
		.amdhsa_group_segment_fixed_size 0
		.amdhsa_private_segment_fixed_size 0
		.amdhsa_kernarg_size 80
		.amdhsa_user_sgpr_count 6
		.amdhsa_user_sgpr_private_segment_buffer 1
		.amdhsa_user_sgpr_dispatch_ptr 0
		.amdhsa_user_sgpr_queue_ptr 0
		.amdhsa_user_sgpr_kernarg_segment_ptr 1
		.amdhsa_user_sgpr_dispatch_id 0
		.amdhsa_user_sgpr_flat_scratch_init 0
		.amdhsa_user_sgpr_kernarg_preload_length 0
		.amdhsa_user_sgpr_kernarg_preload_offset 0
		.amdhsa_user_sgpr_private_segment_size 0
		.amdhsa_uses_dynamic_stack 0
		.amdhsa_system_sgpr_private_segment_wavefront_offset 0
		.amdhsa_system_sgpr_workgroup_id_x 1
		.amdhsa_system_sgpr_workgroup_id_y 0
		.amdhsa_system_sgpr_workgroup_id_z 0
		.amdhsa_system_sgpr_workgroup_info 0
		.amdhsa_system_vgpr_workitem_id 0
		.amdhsa_next_free_vgpr 1
		.amdhsa_next_free_sgpr 0
		.amdhsa_accum_offset 4
		.amdhsa_reserve_vcc 0
		.amdhsa_reserve_flat_scratch 0
		.amdhsa_float_round_mode_32 0
		.amdhsa_float_round_mode_16_64 0
		.amdhsa_float_denorm_mode_32 3
		.amdhsa_float_denorm_mode_16_64 3
		.amdhsa_dx10_clamp 1
		.amdhsa_ieee_mode 1
		.amdhsa_fp16_overflow 0
		.amdhsa_tg_split 0
		.amdhsa_exception_fp_ieee_invalid_op 0
		.amdhsa_exception_fp_denorm_src 0
		.amdhsa_exception_fp_ieee_div_zero 0
		.amdhsa_exception_fp_ieee_overflow 0
		.amdhsa_exception_fp_ieee_underflow 0
		.amdhsa_exception_fp_ieee_inexact 0
		.amdhsa_exception_int_div_zero 0
	.end_amdhsa_kernel
	.section	.text._ZN7rocprim17ROCPRIM_400000_NS6detail17trampoline_kernelINS0_14default_configENS1_22reduce_config_selectorIN6thrust23THRUST_200600_302600_NS5tupleIilNS6_9null_typeES8_S8_S8_S8_S8_S8_S8_EEEEZNS1_11reduce_implILb0ES3_NS6_12zip_iteratorINS7_IPiNS6_11hip_rocprim19counting_iterator_tIlEES8_S8_S8_S8_S8_S8_S8_S8_EEEEPS9_S9_NSE_9__extrema9arg_max_fIilNS6_4lessIiEEEEEE10hipError_tPvRmT1_T2_T3_mT4_P12ihipStream_tbEUlT_E0_NS1_11comp_targetILNS1_3genE5ELNS1_11target_archE942ELNS1_3gpuE9ELNS1_3repE0EEENS1_30default_config_static_selectorELNS0_4arch9wavefront6targetE1EEEvSS_,"axG",@progbits,_ZN7rocprim17ROCPRIM_400000_NS6detail17trampoline_kernelINS0_14default_configENS1_22reduce_config_selectorIN6thrust23THRUST_200600_302600_NS5tupleIilNS6_9null_typeES8_S8_S8_S8_S8_S8_S8_EEEEZNS1_11reduce_implILb0ES3_NS6_12zip_iteratorINS7_IPiNS6_11hip_rocprim19counting_iterator_tIlEES8_S8_S8_S8_S8_S8_S8_S8_EEEEPS9_S9_NSE_9__extrema9arg_max_fIilNS6_4lessIiEEEEEE10hipError_tPvRmT1_T2_T3_mT4_P12ihipStream_tbEUlT_E0_NS1_11comp_targetILNS1_3genE5ELNS1_11target_archE942ELNS1_3gpuE9ELNS1_3repE0EEENS1_30default_config_static_selectorELNS0_4arch9wavefront6targetE1EEEvSS_,comdat
.Lfunc_end199:
	.size	_ZN7rocprim17ROCPRIM_400000_NS6detail17trampoline_kernelINS0_14default_configENS1_22reduce_config_selectorIN6thrust23THRUST_200600_302600_NS5tupleIilNS6_9null_typeES8_S8_S8_S8_S8_S8_S8_EEEEZNS1_11reduce_implILb0ES3_NS6_12zip_iteratorINS7_IPiNS6_11hip_rocprim19counting_iterator_tIlEES8_S8_S8_S8_S8_S8_S8_S8_EEEEPS9_S9_NSE_9__extrema9arg_max_fIilNS6_4lessIiEEEEEE10hipError_tPvRmT1_T2_T3_mT4_P12ihipStream_tbEUlT_E0_NS1_11comp_targetILNS1_3genE5ELNS1_11target_archE942ELNS1_3gpuE9ELNS1_3repE0EEENS1_30default_config_static_selectorELNS0_4arch9wavefront6targetE1EEEvSS_, .Lfunc_end199-_ZN7rocprim17ROCPRIM_400000_NS6detail17trampoline_kernelINS0_14default_configENS1_22reduce_config_selectorIN6thrust23THRUST_200600_302600_NS5tupleIilNS6_9null_typeES8_S8_S8_S8_S8_S8_S8_EEEEZNS1_11reduce_implILb0ES3_NS6_12zip_iteratorINS7_IPiNS6_11hip_rocprim19counting_iterator_tIlEES8_S8_S8_S8_S8_S8_S8_S8_EEEEPS9_S9_NSE_9__extrema9arg_max_fIilNS6_4lessIiEEEEEE10hipError_tPvRmT1_T2_T3_mT4_P12ihipStream_tbEUlT_E0_NS1_11comp_targetILNS1_3genE5ELNS1_11target_archE942ELNS1_3gpuE9ELNS1_3repE0EEENS1_30default_config_static_selectorELNS0_4arch9wavefront6targetE1EEEvSS_
                                        ; -- End function
	.section	.AMDGPU.csdata,"",@progbits
; Kernel info:
; codeLenInByte = 0
; NumSgprs: 4
; NumVgprs: 0
; NumAgprs: 0
; TotalNumVgprs: 0
; ScratchSize: 0
; MemoryBound: 0
; FloatMode: 240
; IeeeMode: 1
; LDSByteSize: 0 bytes/workgroup (compile time only)
; SGPRBlocks: 0
; VGPRBlocks: 0
; NumSGPRsForWavesPerEU: 4
; NumVGPRsForWavesPerEU: 1
; AccumOffset: 4
; Occupancy: 8
; WaveLimiterHint : 0
; COMPUTE_PGM_RSRC2:SCRATCH_EN: 0
; COMPUTE_PGM_RSRC2:USER_SGPR: 6
; COMPUTE_PGM_RSRC2:TRAP_HANDLER: 0
; COMPUTE_PGM_RSRC2:TGID_X_EN: 1
; COMPUTE_PGM_RSRC2:TGID_Y_EN: 0
; COMPUTE_PGM_RSRC2:TGID_Z_EN: 0
; COMPUTE_PGM_RSRC2:TIDIG_COMP_CNT: 0
; COMPUTE_PGM_RSRC3_GFX90A:ACCUM_OFFSET: 0
; COMPUTE_PGM_RSRC3_GFX90A:TG_SPLIT: 0
	.section	.text._ZN7rocprim17ROCPRIM_400000_NS6detail17trampoline_kernelINS0_14default_configENS1_22reduce_config_selectorIN6thrust23THRUST_200600_302600_NS5tupleIilNS6_9null_typeES8_S8_S8_S8_S8_S8_S8_EEEEZNS1_11reduce_implILb0ES3_NS6_12zip_iteratorINS7_IPiNS6_11hip_rocprim19counting_iterator_tIlEES8_S8_S8_S8_S8_S8_S8_S8_EEEEPS9_S9_NSE_9__extrema9arg_max_fIilNS6_4lessIiEEEEEE10hipError_tPvRmT1_T2_T3_mT4_P12ihipStream_tbEUlT_E0_NS1_11comp_targetILNS1_3genE4ELNS1_11target_archE910ELNS1_3gpuE8ELNS1_3repE0EEENS1_30default_config_static_selectorELNS0_4arch9wavefront6targetE1EEEvSS_,"axG",@progbits,_ZN7rocprim17ROCPRIM_400000_NS6detail17trampoline_kernelINS0_14default_configENS1_22reduce_config_selectorIN6thrust23THRUST_200600_302600_NS5tupleIilNS6_9null_typeES8_S8_S8_S8_S8_S8_S8_EEEEZNS1_11reduce_implILb0ES3_NS6_12zip_iteratorINS7_IPiNS6_11hip_rocprim19counting_iterator_tIlEES8_S8_S8_S8_S8_S8_S8_S8_EEEEPS9_S9_NSE_9__extrema9arg_max_fIilNS6_4lessIiEEEEEE10hipError_tPvRmT1_T2_T3_mT4_P12ihipStream_tbEUlT_E0_NS1_11comp_targetILNS1_3genE4ELNS1_11target_archE910ELNS1_3gpuE8ELNS1_3repE0EEENS1_30default_config_static_selectorELNS0_4arch9wavefront6targetE1EEEvSS_,comdat
	.protected	_ZN7rocprim17ROCPRIM_400000_NS6detail17trampoline_kernelINS0_14default_configENS1_22reduce_config_selectorIN6thrust23THRUST_200600_302600_NS5tupleIilNS6_9null_typeES8_S8_S8_S8_S8_S8_S8_EEEEZNS1_11reduce_implILb0ES3_NS6_12zip_iteratorINS7_IPiNS6_11hip_rocprim19counting_iterator_tIlEES8_S8_S8_S8_S8_S8_S8_S8_EEEEPS9_S9_NSE_9__extrema9arg_max_fIilNS6_4lessIiEEEEEE10hipError_tPvRmT1_T2_T3_mT4_P12ihipStream_tbEUlT_E0_NS1_11comp_targetILNS1_3genE4ELNS1_11target_archE910ELNS1_3gpuE8ELNS1_3repE0EEENS1_30default_config_static_selectorELNS0_4arch9wavefront6targetE1EEEvSS_ ; -- Begin function _ZN7rocprim17ROCPRIM_400000_NS6detail17trampoline_kernelINS0_14default_configENS1_22reduce_config_selectorIN6thrust23THRUST_200600_302600_NS5tupleIilNS6_9null_typeES8_S8_S8_S8_S8_S8_S8_EEEEZNS1_11reduce_implILb0ES3_NS6_12zip_iteratorINS7_IPiNS6_11hip_rocprim19counting_iterator_tIlEES8_S8_S8_S8_S8_S8_S8_S8_EEEEPS9_S9_NSE_9__extrema9arg_max_fIilNS6_4lessIiEEEEEE10hipError_tPvRmT1_T2_T3_mT4_P12ihipStream_tbEUlT_E0_NS1_11comp_targetILNS1_3genE4ELNS1_11target_archE910ELNS1_3gpuE8ELNS1_3repE0EEENS1_30default_config_static_selectorELNS0_4arch9wavefront6targetE1EEEvSS_
	.globl	_ZN7rocprim17ROCPRIM_400000_NS6detail17trampoline_kernelINS0_14default_configENS1_22reduce_config_selectorIN6thrust23THRUST_200600_302600_NS5tupleIilNS6_9null_typeES8_S8_S8_S8_S8_S8_S8_EEEEZNS1_11reduce_implILb0ES3_NS6_12zip_iteratorINS7_IPiNS6_11hip_rocprim19counting_iterator_tIlEES8_S8_S8_S8_S8_S8_S8_S8_EEEEPS9_S9_NSE_9__extrema9arg_max_fIilNS6_4lessIiEEEEEE10hipError_tPvRmT1_T2_T3_mT4_P12ihipStream_tbEUlT_E0_NS1_11comp_targetILNS1_3genE4ELNS1_11target_archE910ELNS1_3gpuE8ELNS1_3repE0EEENS1_30default_config_static_selectorELNS0_4arch9wavefront6targetE1EEEvSS_
	.p2align	8
	.type	_ZN7rocprim17ROCPRIM_400000_NS6detail17trampoline_kernelINS0_14default_configENS1_22reduce_config_selectorIN6thrust23THRUST_200600_302600_NS5tupleIilNS6_9null_typeES8_S8_S8_S8_S8_S8_S8_EEEEZNS1_11reduce_implILb0ES3_NS6_12zip_iteratorINS7_IPiNS6_11hip_rocprim19counting_iterator_tIlEES8_S8_S8_S8_S8_S8_S8_S8_EEEEPS9_S9_NSE_9__extrema9arg_max_fIilNS6_4lessIiEEEEEE10hipError_tPvRmT1_T2_T3_mT4_P12ihipStream_tbEUlT_E0_NS1_11comp_targetILNS1_3genE4ELNS1_11target_archE910ELNS1_3gpuE8ELNS1_3repE0EEENS1_30default_config_static_selectorELNS0_4arch9wavefront6targetE1EEEvSS_,@function
_ZN7rocprim17ROCPRIM_400000_NS6detail17trampoline_kernelINS0_14default_configENS1_22reduce_config_selectorIN6thrust23THRUST_200600_302600_NS5tupleIilNS6_9null_typeES8_S8_S8_S8_S8_S8_S8_EEEEZNS1_11reduce_implILb0ES3_NS6_12zip_iteratorINS7_IPiNS6_11hip_rocprim19counting_iterator_tIlEES8_S8_S8_S8_S8_S8_S8_S8_EEEEPS9_S9_NSE_9__extrema9arg_max_fIilNS6_4lessIiEEEEEE10hipError_tPvRmT1_T2_T3_mT4_P12ihipStream_tbEUlT_E0_NS1_11comp_targetILNS1_3genE4ELNS1_11target_archE910ELNS1_3gpuE8ELNS1_3repE0EEENS1_30default_config_static_selectorELNS0_4arch9wavefront6targetE1EEEvSS_: ; @_ZN7rocprim17ROCPRIM_400000_NS6detail17trampoline_kernelINS0_14default_configENS1_22reduce_config_selectorIN6thrust23THRUST_200600_302600_NS5tupleIilNS6_9null_typeES8_S8_S8_S8_S8_S8_S8_EEEEZNS1_11reduce_implILb0ES3_NS6_12zip_iteratorINS7_IPiNS6_11hip_rocprim19counting_iterator_tIlEES8_S8_S8_S8_S8_S8_S8_S8_EEEEPS9_S9_NSE_9__extrema9arg_max_fIilNS6_4lessIiEEEEEE10hipError_tPvRmT1_T2_T3_mT4_P12ihipStream_tbEUlT_E0_NS1_11comp_targetILNS1_3genE4ELNS1_11target_archE910ELNS1_3gpuE8ELNS1_3repE0EEENS1_30default_config_static_selectorELNS0_4arch9wavefront6targetE1EEEvSS_
; %bb.0:
	s_load_dwordx8 s[8:15], s[4:5], 0x0
	s_load_dwordx4 s[16:19], s[4:5], 0x20
	s_load_dwordx2 s[2:3], s[4:5], 0x30
	s_mov_b32 s23, 0
	s_mov_b32 s7, s23
	s_waitcnt lgkmcnt(0)
	s_lshl_b64 s[0:1], s[12:13], 2
	s_add_u32 s20, s8, s0
	s_addc_u32 s21, s9, s1
	s_lshl_b32 s22, s6, 9
	s_lshr_b64 s[0:1], s[14:15], 9
	s_lshl_b64 s[8:9], s[22:23], 2
	s_add_u32 s20, s20, s8
	s_addc_u32 s21, s21, s9
	s_add_u32 s8, s10, s22
	s_addc_u32 s9, s11, 0
	;; [unrolled: 2-line block ×3, first 2 shown]
	s_cmp_lg_u64 s[0:1], s[6:7]
	v_lshlrev_b32_e32 v7, 2, v0
	s_cbranch_scc0 .LBB200_16
; %bb.1:
	global_load_dword v2, v7, s[20:21]
	global_load_dword v3, v7, s[20:21] offset:1024
	v_mov_b32_e32 v1, s11
	v_add_co_u32_e32 v4, vcc, s10, v0
	v_addc_co_u32_e32 v5, vcc, 0, v1, vcc
	v_add_co_u32_e32 v6, vcc, 0x100, v4
	v_addc_co_u32_e32 v8, vcc, 0, v5, vcc
	s_waitcnt vmcnt(0)
	v_max_i32_e32 v1, v2, v3
	v_cmp_lt_i32_e32 vcc, v2, v3
	v_cndmask_b32_e32 v3, v5, v8, vcc
	v_cndmask_b32_e32 v2, v4, v6, vcc
	v_mov_b32_dpp v8, v1 quad_perm:[1,0,3,2] row_mask:0xf bank_mask:0xf bound_ctrl:1
	v_mov_b32_dpp v6, v3 quad_perm:[1,0,3,2] row_mask:0xf bank_mask:0xf bound_ctrl:1
	;; [unrolled: 1-line block ×3, first 2 shown]
	v_cmp_ge_i32_e32 vcc, v8, v1
	s_and_saveexec_b64 s[8:9], vcc
; %bb.2:
	v_mov_b32_e32 v5, v6
	v_cmp_gt_i32_e32 vcc, v8, v1
	v_cmp_lt_i64_e64 s[0:1], v[4:5], v[2:3]
	s_or_b64 vcc, vcc, s[0:1]
	v_cndmask_b32_e32 v3, v3, v6, vcc
	v_cndmask_b32_e32 v2, v2, v4, vcc
	;; [unrolled: 1-line block ×3, first 2 shown]
; %bb.3:
	s_or_b64 exec, exec, s[8:9]
	s_nop 0
	v_mov_b32_dpp v8, v1 quad_perm:[2,3,0,1] row_mask:0xf bank_mask:0xf bound_ctrl:1
	v_mov_b32_dpp v4, v2 quad_perm:[2,3,0,1] row_mask:0xf bank_mask:0xf bound_ctrl:1
	;; [unrolled: 1-line block ×3, first 2 shown]
	v_cmp_ge_i32_e32 vcc, v8, v1
	s_and_saveexec_b64 s[8:9], vcc
; %bb.4:
	v_mov_b32_e32 v5, v6
	v_cmp_lt_i32_e32 vcc, v1, v8
	v_cmp_lt_i64_e64 s[0:1], v[4:5], v[2:3]
	s_or_b64 vcc, vcc, s[0:1]
	v_cndmask_b32_e32 v3, v3, v6, vcc
	v_cndmask_b32_e32 v2, v2, v4, vcc
	;; [unrolled: 1-line block ×3, first 2 shown]
; %bb.5:
	s_or_b64 exec, exec, s[8:9]
	s_nop 0
	v_mov_b32_dpp v8, v1 row_ror:4 row_mask:0xf bank_mask:0xf bound_ctrl:1
	v_mov_b32_dpp v4, v2 row_ror:4 row_mask:0xf bank_mask:0xf bound_ctrl:1
	;; [unrolled: 1-line block ×3, first 2 shown]
	v_cmp_ge_i32_e32 vcc, v8, v1
	s_and_saveexec_b64 s[8:9], vcc
; %bb.6:
	v_mov_b32_e32 v5, v6
	v_cmp_lt_i32_e32 vcc, v1, v8
	v_cmp_lt_i64_e64 s[0:1], v[4:5], v[2:3]
	s_or_b64 vcc, vcc, s[0:1]
	v_cndmask_b32_e32 v3, v3, v6, vcc
	v_cndmask_b32_e32 v2, v2, v4, vcc
	;; [unrolled: 1-line block ×3, first 2 shown]
; %bb.7:
	s_or_b64 exec, exec, s[8:9]
	s_nop 0
	v_mov_b32_dpp v8, v1 row_ror:8 row_mask:0xf bank_mask:0xf bound_ctrl:1
	v_mov_b32_dpp v4, v2 row_ror:8 row_mask:0xf bank_mask:0xf bound_ctrl:1
	;; [unrolled: 1-line block ×3, first 2 shown]
	v_cmp_ge_i32_e32 vcc, v8, v1
	s_and_saveexec_b64 s[8:9], vcc
; %bb.8:
	v_mov_b32_e32 v5, v6
	v_cmp_lt_i32_e32 vcc, v1, v8
	v_cmp_lt_i64_e64 s[0:1], v[4:5], v[2:3]
	s_or_b64 vcc, vcc, s[0:1]
	v_cndmask_b32_e32 v3, v3, v6, vcc
	v_cndmask_b32_e32 v2, v2, v4, vcc
	;; [unrolled: 1-line block ×3, first 2 shown]
; %bb.9:
	s_or_b64 exec, exec, s[8:9]
	s_nop 0
	v_mov_b32_dpp v8, v1 row_bcast:15 row_mask:0xf bank_mask:0xf bound_ctrl:1
	v_mov_b32_dpp v4, v2 row_bcast:15 row_mask:0xf bank_mask:0xf bound_ctrl:1
	v_mov_b32_dpp v6, v3 row_bcast:15 row_mask:0xf bank_mask:0xf bound_ctrl:1
	v_cmp_ge_i32_e32 vcc, v8, v1
	s_and_saveexec_b64 s[8:9], vcc
; %bb.10:
	v_mov_b32_e32 v5, v6
	v_cmp_lt_i32_e32 vcc, v1, v8
	v_cmp_lt_i64_e64 s[0:1], v[4:5], v[2:3]
	s_or_b64 vcc, vcc, s[0:1]
	v_cndmask_b32_e32 v3, v3, v6, vcc
	v_cndmask_b32_e32 v2, v2, v4, vcc
	;; [unrolled: 1-line block ×3, first 2 shown]
; %bb.11:
	s_or_b64 exec, exec, s[8:9]
	s_nop 0
	v_mov_b32_dpp v5, v1 row_bcast:31 row_mask:0xf bank_mask:0xf bound_ctrl:1
	v_mov_b32_dpp v8, v2 row_bcast:31 row_mask:0xf bank_mask:0xf bound_ctrl:1
	;; [unrolled: 1-line block ×3, first 2 shown]
	v_cmp_lt_i32_e32 vcc, v1, v5
	v_cmp_lt_i64_e64 s[0:1], v[8:9], v[2:3]
	v_mbcnt_lo_u32_b32 v4, -1, 0
	s_or_b64 vcc, vcc, s[0:1]
	v_mbcnt_hi_u32_b32 v4, -1, v4
	v_cndmask_b32_e32 v6, v1, v5, vcc
	v_cndmask_b32_e32 v8, v2, v8, vcc
	;; [unrolled: 1-line block ×3, first 2 shown]
	v_cmp_lt_i32_e32 vcc, v5, v1
	v_bfrev_b32_e32 v5, 0.5
	v_cndmask_b32_e32 v3, v9, v3, vcc
	v_cndmask_b32_e32 v2, v8, v2, vcc
	;; [unrolled: 1-line block ×3, first 2 shown]
	v_lshl_or_b32 v5, v4, 2, v5
	ds_bpermute_b32 v1, v5, v1
	ds_bpermute_b32 v2, v5, v2
	;; [unrolled: 1-line block ×3, first 2 shown]
	v_cmp_eq_u32_e32 vcc, 0, v4
	s_and_saveexec_b64 s[0:1], vcc
	s_cbranch_execz .LBB200_13
; %bb.12:
	v_lshrrev_b32_e32 v5, 2, v0
	v_and_b32_e32 v5, 48, v5
	s_waitcnt lgkmcnt(2)
	ds_write_b32 v5, v1
	s_waitcnt lgkmcnt(1)
	ds_write_b64 v5, v[2:3] offset:8
.LBB200_13:
	s_or_b64 exec, exec, s[0:1]
	v_cmp_gt_u32_e32 vcc, 64, v0
	s_waitcnt lgkmcnt(0)
	s_barrier
	s_and_saveexec_b64 s[8:9], vcc
	s_cbranch_execz .LBB200_15
; %bb.14:
	v_and_b32_e32 v1, 3, v4
	v_lshlrev_b32_e32 v2, 4, v1
	ds_read_b32 v5, v2
	ds_read_b64 v[2:3], v2 offset:8
	v_cmp_ne_u32_e32 vcc, 3, v1
	v_addc_co_u32_e32 v6, vcc, 0, v4, vcc
	v_lshlrev_b32_e32 v8, 2, v6
	s_waitcnt lgkmcnt(0)
	ds_bpermute_b32 v6, v8, v3
	ds_bpermute_b32 v10, v8, v5
	;; [unrolled: 1-line block ×3, first 2 shown]
	s_waitcnt lgkmcnt(2)
	v_mov_b32_e32 v9, v6
	s_waitcnt lgkmcnt(1)
	v_cmp_lt_i32_e32 vcc, v10, v5
	s_waitcnt lgkmcnt(0)
	v_cmp_gt_i64_e64 s[0:1], v[8:9], v[2:3]
	s_or_b64 vcc, vcc, s[0:1]
	v_cndmask_b32_e32 v9, v10, v5, vcc
	v_cndmask_b32_e32 v2, v8, v2, vcc
	;; [unrolled: 1-line block ×3, first 2 shown]
	v_cmp_gt_i32_e32 vcc, v10, v5
	v_cndmask_b32_e32 v3, v3, v6, vcc
	v_cndmask_b32_e32 v2, v2, v8, vcc
	;; [unrolled: 1-line block ×3, first 2 shown]
	v_cmp_gt_u32_e32 vcc, 2, v1
	v_cndmask_b32_e64 v1, 0, 1, vcc
	v_lshlrev_b32_e32 v1, 1, v1
	v_add_lshl_u32 v1, v1, v4, 2
	ds_bpermute_b32 v4, v1, v3
	ds_bpermute_b32 v6, v1, v5
	;; [unrolled: 1-line block ×3, first 2 shown]
	s_waitcnt lgkmcnt(2)
	v_mov_b32_e32 v9, v4
	s_waitcnt lgkmcnt(1)
	v_cmp_lt_i32_e32 vcc, v6, v5
	s_waitcnt lgkmcnt(0)
	v_cmp_lt_i64_e64 s[0:1], v[2:3], v[8:9]
	s_or_b64 vcc, vcc, s[0:1]
	v_cndmask_b32_e32 v1, v6, v5, vcc
	v_cndmask_b32_e32 v2, v8, v2, vcc
	;; [unrolled: 1-line block ×3, first 2 shown]
	v_cmp_lt_i32_e32 vcc, v5, v6
	v_cndmask_b32_e32 v3, v3, v4, vcc
	v_cndmask_b32_e32 v2, v2, v8, vcc
	;; [unrolled: 1-line block ×3, first 2 shown]
.LBB200_15:
	s_or_b64 exec, exec, s[8:9]
	s_load_dword s12, s[4:5], 0x38
	s_load_dwordx2 s[8:9], s[4:5], 0x40
	s_branch .LBB200_44
.LBB200_16:
                                        ; implicit-def: $vgpr1
                                        ; implicit-def: $vgpr2_vgpr3
	s_load_dword s12, s[4:5], 0x38
	s_load_dwordx2 s[8:9], s[4:5], 0x40
	s_cbranch_execz .LBB200_44
; %bb.17:
	s_sub_i32 s13, s14, s22
	v_pk_mov_b32 v[4:5], 0, 0
	v_cmp_gt_u32_e32 vcc, s13, v0
	v_mov_b32_e32 v6, 0
	v_pk_mov_b32 v[2:3], v[4:5], v[4:5] op_sel:[0,1]
	v_mov_b32_e32 v1, 0
	s_and_saveexec_b64 s[0:1], vcc
	s_cbranch_execz .LBB200_19
; %bb.18:
	global_load_dword v1, v7, s[20:21]
	v_mov_b32_e32 v3, s11
	v_add_co_u32_e32 v2, vcc, s10, v0
	v_addc_co_u32_e32 v3, vcc, 0, v3, vcc
.LBB200_19:
	s_or_b64 exec, exec, s[0:1]
	v_or_b32_e32 v8, 0x100, v0
	v_cmp_gt_u32_e32 vcc, s13, v8
	s_and_saveexec_b64 s[4:5], vcc
	s_cbranch_execz .LBB200_21
; %bb.20:
	global_load_dword v6, v7, s[20:21] offset:1024
	v_mov_b32_e32 v5, s11
	v_add_co_u32_e64 v4, s[0:1], s10, v8
	v_addc_co_u32_e64 v5, s[0:1], 0, v5, s[0:1]
.LBB200_21:
	s_or_b64 exec, exec, s[4:5]
	s_and_saveexec_b64 s[4:5], vcc
	s_cbranch_execz .LBB200_23
; %bb.22:
	s_waitcnt vmcnt(0)
	v_cmp_lt_i32_e32 vcc, v6, v1
	v_cmp_lt_i64_e64 s[0:1], v[2:3], v[4:5]
	s_or_b64 vcc, vcc, s[0:1]
	v_cndmask_b32_e32 v7, v6, v1, vcc
	v_cndmask_b32_e32 v2, v4, v2, vcc
	;; [unrolled: 1-line block ×3, first 2 shown]
	v_cmp_lt_i32_e32 vcc, v1, v6
	v_cndmask_b32_e32 v3, v3, v5, vcc
	v_cndmask_b32_e32 v2, v2, v4, vcc
	v_cndmask_b32_e32 v1, v7, v6, vcc
.LBB200_23:
	s_or_b64 exec, exec, s[4:5]
	v_mbcnt_lo_u32_b32 v4, -1, 0
	v_mbcnt_hi_u32_b32 v7, -1, v4
	v_and_b32_e32 v8, 63, v7
	v_cmp_ne_u32_e32 vcc, 63, v8
	v_addc_co_u32_e32 v4, vcc, 0, v7, vcc
	v_lshlrev_b32_e32 v5, 2, v4
	s_waitcnt vmcnt(0)
	ds_bpermute_b32 v10, v5, v1
	ds_bpermute_b32 v4, v5, v2
	;; [unrolled: 1-line block ×3, first 2 shown]
	s_min_u32 s10, s13, 0x100
	v_and_b32_e32 v5, 0xc0, v0
	v_sub_u32_e64 v9, s10, v5 clamp
	v_add_u32_e32 v5, 1, v8
	v_cmp_lt_u32_e32 vcc, v5, v9
	s_and_saveexec_b64 s[4:5], vcc
	s_cbranch_execz .LBB200_25
; %bb.24:
	s_waitcnt lgkmcnt(0)
	v_mov_b32_e32 v5, v6
	v_cmp_lt_i32_e32 vcc, v10, v1
	v_cmp_lt_i64_e64 s[0:1], v[2:3], v[4:5]
	s_or_b64 vcc, vcc, s[0:1]
	v_cndmask_b32_e32 v5, v10, v1, vcc
	v_cndmask_b32_e32 v2, v4, v2, vcc
	;; [unrolled: 1-line block ×3, first 2 shown]
	v_cmp_lt_i32_e32 vcc, v1, v10
	v_cndmask_b32_e32 v3, v3, v6, vcc
	v_cndmask_b32_e32 v2, v2, v4, vcc
	;; [unrolled: 1-line block ×3, first 2 shown]
.LBB200_25:
	s_or_b64 exec, exec, s[4:5]
	v_cmp_gt_u32_e32 vcc, 62, v8
	s_waitcnt lgkmcnt(0)
	v_cndmask_b32_e64 v4, 0, 1, vcc
	v_lshlrev_b32_e32 v4, 1, v4
	v_add_lshl_u32 v5, v4, v7, 2
	ds_bpermute_b32 v10, v5, v1
	ds_bpermute_b32 v4, v5, v2
	;; [unrolled: 1-line block ×3, first 2 shown]
	v_add_u32_e32 v5, 2, v8
	v_cmp_lt_u32_e32 vcc, v5, v9
	s_and_saveexec_b64 s[4:5], vcc
	s_cbranch_execz .LBB200_27
; %bb.26:
	s_waitcnt lgkmcnt(0)
	v_mov_b32_e32 v5, v6
	v_cmp_lt_i32_e32 vcc, v10, v1
	v_cmp_lt_i64_e64 s[0:1], v[2:3], v[4:5]
	s_or_b64 vcc, vcc, s[0:1]
	v_cndmask_b32_e32 v5, v10, v1, vcc
	v_cndmask_b32_e32 v2, v4, v2, vcc
	v_cndmask_b32_e32 v3, v6, v3, vcc
	v_cmp_lt_i32_e32 vcc, v1, v10
	v_cndmask_b32_e32 v3, v3, v6, vcc
	v_cndmask_b32_e32 v2, v2, v4, vcc
	v_cndmask_b32_e32 v1, v5, v10, vcc
.LBB200_27:
	s_or_b64 exec, exec, s[4:5]
	v_cmp_gt_u32_e32 vcc, 60, v8
	s_waitcnt lgkmcnt(1)
	v_cndmask_b32_e64 v4, 0, 1, vcc
	v_lshlrev_b32_e32 v4, 2, v4
	v_add_lshl_u32 v5, v4, v7, 2
	ds_bpermute_b32 v10, v5, v1
	ds_bpermute_b32 v4, v5, v2
	s_waitcnt lgkmcnt(2)
	ds_bpermute_b32 v6, v5, v3
	v_add_u32_e32 v5, 4, v8
	v_cmp_lt_u32_e32 vcc, v5, v9
	s_and_saveexec_b64 s[4:5], vcc
	s_cbranch_execz .LBB200_29
; %bb.28:
	s_waitcnt lgkmcnt(0)
	v_mov_b32_e32 v5, v6
	v_cmp_lt_i32_e32 vcc, v10, v1
	v_cmp_lt_i64_e64 s[0:1], v[2:3], v[4:5]
	s_or_b64 vcc, vcc, s[0:1]
	v_cndmask_b32_e32 v5, v10, v1, vcc
	v_cndmask_b32_e32 v2, v4, v2, vcc
	v_cndmask_b32_e32 v3, v6, v3, vcc
	v_cmp_lt_i32_e32 vcc, v1, v10
	v_cndmask_b32_e32 v3, v3, v6, vcc
	v_cndmask_b32_e32 v2, v2, v4, vcc
	v_cndmask_b32_e32 v1, v5, v10, vcc
.LBB200_29:
	s_or_b64 exec, exec, s[4:5]
	v_cmp_gt_u32_e32 vcc, 56, v8
	s_waitcnt lgkmcnt(1)
	v_cndmask_b32_e64 v4, 0, 1, vcc
	v_lshlrev_b32_e32 v4, 3, v4
	v_add_lshl_u32 v5, v4, v7, 2
	ds_bpermute_b32 v10, v5, v1
	ds_bpermute_b32 v4, v5, v2
	s_waitcnt lgkmcnt(2)
	ds_bpermute_b32 v6, v5, v3
	;; [unrolled: 28-line block ×3, first 2 shown]
	v_add_u32_e32 v5, 16, v8
	v_cmp_lt_u32_e32 vcc, v5, v9
	s_and_saveexec_b64 s[4:5], vcc
	s_cbranch_execz .LBB200_33
; %bb.32:
	s_waitcnt lgkmcnt(0)
	v_mov_b32_e32 v5, v6
	v_cmp_lt_i32_e32 vcc, v10, v1
	v_cmp_lt_i64_e64 s[0:1], v[2:3], v[4:5]
	s_or_b64 vcc, vcc, s[0:1]
	v_cndmask_b32_e32 v5, v10, v1, vcc
	v_cndmask_b32_e32 v2, v4, v2, vcc
	;; [unrolled: 1-line block ×3, first 2 shown]
	v_cmp_lt_i32_e32 vcc, v1, v10
	v_cndmask_b32_e32 v3, v3, v6, vcc
	v_cndmask_b32_e32 v2, v2, v4, vcc
	;; [unrolled: 1-line block ×3, first 2 shown]
.LBB200_33:
	s_or_b64 exec, exec, s[4:5]
	v_cmp_gt_u32_e32 vcc, 32, v8
	s_waitcnt lgkmcnt(1)
	v_cndmask_b32_e64 v4, 0, 1, vcc
	v_lshlrev_b32_e32 v4, 5, v4
	v_add_lshl_u32 v5, v4, v7, 2
	s_waitcnt lgkmcnt(0)
	ds_bpermute_b32 v6, v5, v1
	ds_bpermute_b32 v4, v5, v2
	;; [unrolled: 1-line block ×3, first 2 shown]
	v_add_u32_e32 v8, 32, v8
	v_cmp_lt_u32_e32 vcc, v8, v9
	s_and_saveexec_b64 s[4:5], vcc
	s_cbranch_execz .LBB200_35
; %bb.34:
	s_waitcnt lgkmcnt(2)
	v_cmp_lt_i32_e32 vcc, v6, v1
	s_waitcnt lgkmcnt(0)
	v_cmp_lt_i64_e64 s[0:1], v[2:3], v[4:5]
	s_or_b64 vcc, vcc, s[0:1]
	v_cndmask_b32_e32 v8, v6, v1, vcc
	v_cndmask_b32_e32 v2, v4, v2, vcc
	;; [unrolled: 1-line block ×3, first 2 shown]
	v_cmp_lt_i32_e32 vcc, v1, v6
	v_cndmask_b32_e32 v3, v3, v5, vcc
	v_cndmask_b32_e32 v2, v2, v4, vcc
	;; [unrolled: 1-line block ×3, first 2 shown]
.LBB200_35:
	s_or_b64 exec, exec, s[4:5]
	v_cmp_eq_u32_e32 vcc, 0, v7
	s_and_saveexec_b64 s[0:1], vcc
	s_cbranch_execz .LBB200_37
; %bb.36:
	s_waitcnt lgkmcnt(1)
	v_lshrrev_b32_e32 v4, 2, v0
	v_and_b32_e32 v4, 48, v4
	ds_write_b32 v4, v1 offset:64
	ds_write_b64 v4, v[2:3] offset:72
.LBB200_37:
	s_or_b64 exec, exec, s[0:1]
	v_cmp_gt_u32_e32 vcc, 4, v0
	s_waitcnt lgkmcnt(0)
	s_barrier
	s_and_saveexec_b64 s[4:5], vcc
	s_cbranch_execz .LBB200_43
; %bb.38:
	v_lshlrev_b32_e32 v2, 4, v7
	ds_read_b32 v1, v2 offset:64
	ds_read_b64 v[2:3], v2 offset:72
	v_and_b32_e32 v8, 3, v7
	v_cmp_ne_u32_e32 vcc, 3, v8
	v_addc_co_u32_e32 v4, vcc, 0, v7, vcc
	v_lshlrev_b32_e32 v5, 2, v4
	s_waitcnt lgkmcnt(1)
	ds_bpermute_b32 v9, v5, v1
	s_waitcnt lgkmcnt(1)
	ds_bpermute_b32 v4, v5, v2
	ds_bpermute_b32 v6, v5, v3
	s_add_i32 s10, s10, 63
	s_lshr_b32 s13, s10, 6
	v_add_u32_e32 v5, 1, v8
	v_cmp_gt_u32_e32 vcc, s13, v5
	s_and_saveexec_b64 s[10:11], vcc
	s_cbranch_execz .LBB200_40
; %bb.39:
	s_waitcnt lgkmcnt(0)
	v_mov_b32_e32 v5, v6
	v_cmp_lt_i32_e32 vcc, v9, v1
	v_cmp_lt_i64_e64 s[0:1], v[2:3], v[4:5]
	s_or_b64 vcc, vcc, s[0:1]
	v_cndmask_b32_e32 v5, v9, v1, vcc
	v_cndmask_b32_e32 v2, v4, v2, vcc
	;; [unrolled: 1-line block ×3, first 2 shown]
	v_cmp_lt_i32_e32 vcc, v1, v9
	v_cndmask_b32_e32 v3, v3, v6, vcc
	v_cndmask_b32_e32 v2, v2, v4, vcc
	;; [unrolled: 1-line block ×3, first 2 shown]
.LBB200_40:
	s_or_b64 exec, exec, s[10:11]
	v_cmp_gt_u32_e32 vcc, 2, v8
	s_waitcnt lgkmcnt(1)
	v_cndmask_b32_e64 v4, 0, 1, vcc
	v_lshlrev_b32_e32 v4, 1, v4
	v_add_lshl_u32 v5, v4, v7, 2
	s_waitcnt lgkmcnt(0)
	ds_bpermute_b32 v6, v5, v1
	ds_bpermute_b32 v4, v5, v2
	ds_bpermute_b32 v5, v5, v3
	v_add_u32_e32 v7, 2, v8
	v_cmp_gt_u32_e32 vcc, s13, v7
	s_and_saveexec_b64 s[10:11], vcc
	s_cbranch_execz .LBB200_42
; %bb.41:
	s_waitcnt lgkmcnt(2)
	v_cmp_lt_i32_e32 vcc, v6, v1
	s_waitcnt lgkmcnt(0)
	v_cmp_lt_i64_e64 s[0:1], v[2:3], v[4:5]
	s_or_b64 vcc, vcc, s[0:1]
	v_cndmask_b32_e32 v7, v6, v1, vcc
	v_cndmask_b32_e32 v2, v4, v2, vcc
	;; [unrolled: 1-line block ×3, first 2 shown]
	v_cmp_lt_i32_e32 vcc, v1, v6
	v_cndmask_b32_e32 v3, v3, v5, vcc
	v_cndmask_b32_e32 v2, v2, v4, vcc
	;; [unrolled: 1-line block ×3, first 2 shown]
.LBB200_42:
	s_or_b64 exec, exec, s[10:11]
.LBB200_43:
	s_or_b64 exec, exec, s[4:5]
.LBB200_44:
	v_cmp_eq_u32_e32 vcc, 0, v0
	s_and_saveexec_b64 s[0:1], vcc
	s_cbranch_execnz .LBB200_46
; %bb.45:
	s_endpgm
.LBB200_46:
	s_mul_i32 s0, s2, s19
	s_mul_hi_u32 s1, s2, s18
	s_add_i32 s0, s1, s0
	s_mul_i32 s1, s3, s18
	s_add_i32 s1, s0, s1
	s_mul_i32 s0, s2, s18
	s_lshl_b64 s[0:1], s[0:1], 4
	s_add_u32 s2, s16, s0
	s_addc_u32 s3, s17, s1
	s_cmp_eq_u64 s[14:15], 0
	s_waitcnt lgkmcnt(0)
	v_mov_b32_e32 v0, s9
	s_cselect_b64 vcc, -1, 0
	v_cndmask_b32_e32 v3, v3, v0, vcc
	v_mov_b32_e32 v0, s8
	s_lshl_b64 s[0:1], s[6:7], 4
	v_cndmask_b32_e32 v2, v2, v0, vcc
	v_mov_b32_e32 v0, s12
	s_add_u32 s0, s2, s0
	v_cndmask_b32_e32 v0, v1, v0, vcc
	s_addc_u32 s1, s3, s1
	v_mov_b32_e32 v1, 0
	global_store_dword v1, v0, s[0:1]
	global_store_dwordx2 v1, v[2:3], s[0:1] offset:8
	s_endpgm
	.section	.rodata,"a",@progbits
	.p2align	6, 0x0
	.amdhsa_kernel _ZN7rocprim17ROCPRIM_400000_NS6detail17trampoline_kernelINS0_14default_configENS1_22reduce_config_selectorIN6thrust23THRUST_200600_302600_NS5tupleIilNS6_9null_typeES8_S8_S8_S8_S8_S8_S8_EEEEZNS1_11reduce_implILb0ES3_NS6_12zip_iteratorINS7_IPiNS6_11hip_rocprim19counting_iterator_tIlEES8_S8_S8_S8_S8_S8_S8_S8_EEEEPS9_S9_NSE_9__extrema9arg_max_fIilNS6_4lessIiEEEEEE10hipError_tPvRmT1_T2_T3_mT4_P12ihipStream_tbEUlT_E0_NS1_11comp_targetILNS1_3genE4ELNS1_11target_archE910ELNS1_3gpuE8ELNS1_3repE0EEENS1_30default_config_static_selectorELNS0_4arch9wavefront6targetE1EEEvSS_
		.amdhsa_group_segment_fixed_size 128
		.amdhsa_private_segment_fixed_size 0
		.amdhsa_kernarg_size 80
		.amdhsa_user_sgpr_count 6
		.amdhsa_user_sgpr_private_segment_buffer 1
		.amdhsa_user_sgpr_dispatch_ptr 0
		.amdhsa_user_sgpr_queue_ptr 0
		.amdhsa_user_sgpr_kernarg_segment_ptr 1
		.amdhsa_user_sgpr_dispatch_id 0
		.amdhsa_user_sgpr_flat_scratch_init 0
		.amdhsa_user_sgpr_kernarg_preload_length 0
		.amdhsa_user_sgpr_kernarg_preload_offset 0
		.amdhsa_user_sgpr_private_segment_size 0
		.amdhsa_uses_dynamic_stack 0
		.amdhsa_system_sgpr_private_segment_wavefront_offset 0
		.amdhsa_system_sgpr_workgroup_id_x 1
		.amdhsa_system_sgpr_workgroup_id_y 0
		.amdhsa_system_sgpr_workgroup_id_z 0
		.amdhsa_system_sgpr_workgroup_info 0
		.amdhsa_system_vgpr_workitem_id 0
		.amdhsa_next_free_vgpr 11
		.amdhsa_next_free_sgpr 24
		.amdhsa_accum_offset 12
		.amdhsa_reserve_vcc 1
		.amdhsa_reserve_flat_scratch 0
		.amdhsa_float_round_mode_32 0
		.amdhsa_float_round_mode_16_64 0
		.amdhsa_float_denorm_mode_32 3
		.amdhsa_float_denorm_mode_16_64 3
		.amdhsa_dx10_clamp 1
		.amdhsa_ieee_mode 1
		.amdhsa_fp16_overflow 0
		.amdhsa_tg_split 0
		.amdhsa_exception_fp_ieee_invalid_op 0
		.amdhsa_exception_fp_denorm_src 0
		.amdhsa_exception_fp_ieee_div_zero 0
		.amdhsa_exception_fp_ieee_overflow 0
		.amdhsa_exception_fp_ieee_underflow 0
		.amdhsa_exception_fp_ieee_inexact 0
		.amdhsa_exception_int_div_zero 0
	.end_amdhsa_kernel
	.section	.text._ZN7rocprim17ROCPRIM_400000_NS6detail17trampoline_kernelINS0_14default_configENS1_22reduce_config_selectorIN6thrust23THRUST_200600_302600_NS5tupleIilNS6_9null_typeES8_S8_S8_S8_S8_S8_S8_EEEEZNS1_11reduce_implILb0ES3_NS6_12zip_iteratorINS7_IPiNS6_11hip_rocprim19counting_iterator_tIlEES8_S8_S8_S8_S8_S8_S8_S8_EEEEPS9_S9_NSE_9__extrema9arg_max_fIilNS6_4lessIiEEEEEE10hipError_tPvRmT1_T2_T3_mT4_P12ihipStream_tbEUlT_E0_NS1_11comp_targetILNS1_3genE4ELNS1_11target_archE910ELNS1_3gpuE8ELNS1_3repE0EEENS1_30default_config_static_selectorELNS0_4arch9wavefront6targetE1EEEvSS_,"axG",@progbits,_ZN7rocprim17ROCPRIM_400000_NS6detail17trampoline_kernelINS0_14default_configENS1_22reduce_config_selectorIN6thrust23THRUST_200600_302600_NS5tupleIilNS6_9null_typeES8_S8_S8_S8_S8_S8_S8_EEEEZNS1_11reduce_implILb0ES3_NS6_12zip_iteratorINS7_IPiNS6_11hip_rocprim19counting_iterator_tIlEES8_S8_S8_S8_S8_S8_S8_S8_EEEEPS9_S9_NSE_9__extrema9arg_max_fIilNS6_4lessIiEEEEEE10hipError_tPvRmT1_T2_T3_mT4_P12ihipStream_tbEUlT_E0_NS1_11comp_targetILNS1_3genE4ELNS1_11target_archE910ELNS1_3gpuE8ELNS1_3repE0EEENS1_30default_config_static_selectorELNS0_4arch9wavefront6targetE1EEEvSS_,comdat
.Lfunc_end200:
	.size	_ZN7rocprim17ROCPRIM_400000_NS6detail17trampoline_kernelINS0_14default_configENS1_22reduce_config_selectorIN6thrust23THRUST_200600_302600_NS5tupleIilNS6_9null_typeES8_S8_S8_S8_S8_S8_S8_EEEEZNS1_11reduce_implILb0ES3_NS6_12zip_iteratorINS7_IPiNS6_11hip_rocprim19counting_iterator_tIlEES8_S8_S8_S8_S8_S8_S8_S8_EEEEPS9_S9_NSE_9__extrema9arg_max_fIilNS6_4lessIiEEEEEE10hipError_tPvRmT1_T2_T3_mT4_P12ihipStream_tbEUlT_E0_NS1_11comp_targetILNS1_3genE4ELNS1_11target_archE910ELNS1_3gpuE8ELNS1_3repE0EEENS1_30default_config_static_selectorELNS0_4arch9wavefront6targetE1EEEvSS_, .Lfunc_end200-_ZN7rocprim17ROCPRIM_400000_NS6detail17trampoline_kernelINS0_14default_configENS1_22reduce_config_selectorIN6thrust23THRUST_200600_302600_NS5tupleIilNS6_9null_typeES8_S8_S8_S8_S8_S8_S8_EEEEZNS1_11reduce_implILb0ES3_NS6_12zip_iteratorINS7_IPiNS6_11hip_rocprim19counting_iterator_tIlEES8_S8_S8_S8_S8_S8_S8_S8_EEEEPS9_S9_NSE_9__extrema9arg_max_fIilNS6_4lessIiEEEEEE10hipError_tPvRmT1_T2_T3_mT4_P12ihipStream_tbEUlT_E0_NS1_11comp_targetILNS1_3genE4ELNS1_11target_archE910ELNS1_3gpuE8ELNS1_3repE0EEENS1_30default_config_static_selectorELNS0_4arch9wavefront6targetE1EEEvSS_
                                        ; -- End function
	.section	.AMDGPU.csdata,"",@progbits
; Kernel info:
; codeLenInByte = 2416
; NumSgprs: 28
; NumVgprs: 11
; NumAgprs: 0
; TotalNumVgprs: 11
; ScratchSize: 0
; MemoryBound: 0
; FloatMode: 240
; IeeeMode: 1
; LDSByteSize: 128 bytes/workgroup (compile time only)
; SGPRBlocks: 3
; VGPRBlocks: 1
; NumSGPRsForWavesPerEU: 28
; NumVGPRsForWavesPerEU: 11
; AccumOffset: 12
; Occupancy: 8
; WaveLimiterHint : 1
; COMPUTE_PGM_RSRC2:SCRATCH_EN: 0
; COMPUTE_PGM_RSRC2:USER_SGPR: 6
; COMPUTE_PGM_RSRC2:TRAP_HANDLER: 0
; COMPUTE_PGM_RSRC2:TGID_X_EN: 1
; COMPUTE_PGM_RSRC2:TGID_Y_EN: 0
; COMPUTE_PGM_RSRC2:TGID_Z_EN: 0
; COMPUTE_PGM_RSRC2:TIDIG_COMP_CNT: 0
; COMPUTE_PGM_RSRC3_GFX90A:ACCUM_OFFSET: 2
; COMPUTE_PGM_RSRC3_GFX90A:TG_SPLIT: 0
	.section	.text._ZN7rocprim17ROCPRIM_400000_NS6detail17trampoline_kernelINS0_14default_configENS1_22reduce_config_selectorIN6thrust23THRUST_200600_302600_NS5tupleIilNS6_9null_typeES8_S8_S8_S8_S8_S8_S8_EEEEZNS1_11reduce_implILb0ES3_NS6_12zip_iteratorINS7_IPiNS6_11hip_rocprim19counting_iterator_tIlEES8_S8_S8_S8_S8_S8_S8_S8_EEEEPS9_S9_NSE_9__extrema9arg_max_fIilNS6_4lessIiEEEEEE10hipError_tPvRmT1_T2_T3_mT4_P12ihipStream_tbEUlT_E0_NS1_11comp_targetILNS1_3genE3ELNS1_11target_archE908ELNS1_3gpuE7ELNS1_3repE0EEENS1_30default_config_static_selectorELNS0_4arch9wavefront6targetE1EEEvSS_,"axG",@progbits,_ZN7rocprim17ROCPRIM_400000_NS6detail17trampoline_kernelINS0_14default_configENS1_22reduce_config_selectorIN6thrust23THRUST_200600_302600_NS5tupleIilNS6_9null_typeES8_S8_S8_S8_S8_S8_S8_EEEEZNS1_11reduce_implILb0ES3_NS6_12zip_iteratorINS7_IPiNS6_11hip_rocprim19counting_iterator_tIlEES8_S8_S8_S8_S8_S8_S8_S8_EEEEPS9_S9_NSE_9__extrema9arg_max_fIilNS6_4lessIiEEEEEE10hipError_tPvRmT1_T2_T3_mT4_P12ihipStream_tbEUlT_E0_NS1_11comp_targetILNS1_3genE3ELNS1_11target_archE908ELNS1_3gpuE7ELNS1_3repE0EEENS1_30default_config_static_selectorELNS0_4arch9wavefront6targetE1EEEvSS_,comdat
	.protected	_ZN7rocprim17ROCPRIM_400000_NS6detail17trampoline_kernelINS0_14default_configENS1_22reduce_config_selectorIN6thrust23THRUST_200600_302600_NS5tupleIilNS6_9null_typeES8_S8_S8_S8_S8_S8_S8_EEEEZNS1_11reduce_implILb0ES3_NS6_12zip_iteratorINS7_IPiNS6_11hip_rocprim19counting_iterator_tIlEES8_S8_S8_S8_S8_S8_S8_S8_EEEEPS9_S9_NSE_9__extrema9arg_max_fIilNS6_4lessIiEEEEEE10hipError_tPvRmT1_T2_T3_mT4_P12ihipStream_tbEUlT_E0_NS1_11comp_targetILNS1_3genE3ELNS1_11target_archE908ELNS1_3gpuE7ELNS1_3repE0EEENS1_30default_config_static_selectorELNS0_4arch9wavefront6targetE1EEEvSS_ ; -- Begin function _ZN7rocprim17ROCPRIM_400000_NS6detail17trampoline_kernelINS0_14default_configENS1_22reduce_config_selectorIN6thrust23THRUST_200600_302600_NS5tupleIilNS6_9null_typeES8_S8_S8_S8_S8_S8_S8_EEEEZNS1_11reduce_implILb0ES3_NS6_12zip_iteratorINS7_IPiNS6_11hip_rocprim19counting_iterator_tIlEES8_S8_S8_S8_S8_S8_S8_S8_EEEEPS9_S9_NSE_9__extrema9arg_max_fIilNS6_4lessIiEEEEEE10hipError_tPvRmT1_T2_T3_mT4_P12ihipStream_tbEUlT_E0_NS1_11comp_targetILNS1_3genE3ELNS1_11target_archE908ELNS1_3gpuE7ELNS1_3repE0EEENS1_30default_config_static_selectorELNS0_4arch9wavefront6targetE1EEEvSS_
	.globl	_ZN7rocprim17ROCPRIM_400000_NS6detail17trampoline_kernelINS0_14default_configENS1_22reduce_config_selectorIN6thrust23THRUST_200600_302600_NS5tupleIilNS6_9null_typeES8_S8_S8_S8_S8_S8_S8_EEEEZNS1_11reduce_implILb0ES3_NS6_12zip_iteratorINS7_IPiNS6_11hip_rocprim19counting_iterator_tIlEES8_S8_S8_S8_S8_S8_S8_S8_EEEEPS9_S9_NSE_9__extrema9arg_max_fIilNS6_4lessIiEEEEEE10hipError_tPvRmT1_T2_T3_mT4_P12ihipStream_tbEUlT_E0_NS1_11comp_targetILNS1_3genE3ELNS1_11target_archE908ELNS1_3gpuE7ELNS1_3repE0EEENS1_30default_config_static_selectorELNS0_4arch9wavefront6targetE1EEEvSS_
	.p2align	8
	.type	_ZN7rocprim17ROCPRIM_400000_NS6detail17trampoline_kernelINS0_14default_configENS1_22reduce_config_selectorIN6thrust23THRUST_200600_302600_NS5tupleIilNS6_9null_typeES8_S8_S8_S8_S8_S8_S8_EEEEZNS1_11reduce_implILb0ES3_NS6_12zip_iteratorINS7_IPiNS6_11hip_rocprim19counting_iterator_tIlEES8_S8_S8_S8_S8_S8_S8_S8_EEEEPS9_S9_NSE_9__extrema9arg_max_fIilNS6_4lessIiEEEEEE10hipError_tPvRmT1_T2_T3_mT4_P12ihipStream_tbEUlT_E0_NS1_11comp_targetILNS1_3genE3ELNS1_11target_archE908ELNS1_3gpuE7ELNS1_3repE0EEENS1_30default_config_static_selectorELNS0_4arch9wavefront6targetE1EEEvSS_,@function
_ZN7rocprim17ROCPRIM_400000_NS6detail17trampoline_kernelINS0_14default_configENS1_22reduce_config_selectorIN6thrust23THRUST_200600_302600_NS5tupleIilNS6_9null_typeES8_S8_S8_S8_S8_S8_S8_EEEEZNS1_11reduce_implILb0ES3_NS6_12zip_iteratorINS7_IPiNS6_11hip_rocprim19counting_iterator_tIlEES8_S8_S8_S8_S8_S8_S8_S8_EEEEPS9_S9_NSE_9__extrema9arg_max_fIilNS6_4lessIiEEEEEE10hipError_tPvRmT1_T2_T3_mT4_P12ihipStream_tbEUlT_E0_NS1_11comp_targetILNS1_3genE3ELNS1_11target_archE908ELNS1_3gpuE7ELNS1_3repE0EEENS1_30default_config_static_selectorELNS0_4arch9wavefront6targetE1EEEvSS_: ; @_ZN7rocprim17ROCPRIM_400000_NS6detail17trampoline_kernelINS0_14default_configENS1_22reduce_config_selectorIN6thrust23THRUST_200600_302600_NS5tupleIilNS6_9null_typeES8_S8_S8_S8_S8_S8_S8_EEEEZNS1_11reduce_implILb0ES3_NS6_12zip_iteratorINS7_IPiNS6_11hip_rocprim19counting_iterator_tIlEES8_S8_S8_S8_S8_S8_S8_S8_EEEEPS9_S9_NSE_9__extrema9arg_max_fIilNS6_4lessIiEEEEEE10hipError_tPvRmT1_T2_T3_mT4_P12ihipStream_tbEUlT_E0_NS1_11comp_targetILNS1_3genE3ELNS1_11target_archE908ELNS1_3gpuE7ELNS1_3repE0EEENS1_30default_config_static_selectorELNS0_4arch9wavefront6targetE1EEEvSS_
; %bb.0:
	.section	.rodata,"a",@progbits
	.p2align	6, 0x0
	.amdhsa_kernel _ZN7rocprim17ROCPRIM_400000_NS6detail17trampoline_kernelINS0_14default_configENS1_22reduce_config_selectorIN6thrust23THRUST_200600_302600_NS5tupleIilNS6_9null_typeES8_S8_S8_S8_S8_S8_S8_EEEEZNS1_11reduce_implILb0ES3_NS6_12zip_iteratorINS7_IPiNS6_11hip_rocprim19counting_iterator_tIlEES8_S8_S8_S8_S8_S8_S8_S8_EEEEPS9_S9_NSE_9__extrema9arg_max_fIilNS6_4lessIiEEEEEE10hipError_tPvRmT1_T2_T3_mT4_P12ihipStream_tbEUlT_E0_NS1_11comp_targetILNS1_3genE3ELNS1_11target_archE908ELNS1_3gpuE7ELNS1_3repE0EEENS1_30default_config_static_selectorELNS0_4arch9wavefront6targetE1EEEvSS_
		.amdhsa_group_segment_fixed_size 0
		.amdhsa_private_segment_fixed_size 0
		.amdhsa_kernarg_size 80
		.amdhsa_user_sgpr_count 6
		.amdhsa_user_sgpr_private_segment_buffer 1
		.amdhsa_user_sgpr_dispatch_ptr 0
		.amdhsa_user_sgpr_queue_ptr 0
		.amdhsa_user_sgpr_kernarg_segment_ptr 1
		.amdhsa_user_sgpr_dispatch_id 0
		.amdhsa_user_sgpr_flat_scratch_init 0
		.amdhsa_user_sgpr_kernarg_preload_length 0
		.amdhsa_user_sgpr_kernarg_preload_offset 0
		.amdhsa_user_sgpr_private_segment_size 0
		.amdhsa_uses_dynamic_stack 0
		.amdhsa_system_sgpr_private_segment_wavefront_offset 0
		.amdhsa_system_sgpr_workgroup_id_x 1
		.amdhsa_system_sgpr_workgroup_id_y 0
		.amdhsa_system_sgpr_workgroup_id_z 0
		.amdhsa_system_sgpr_workgroup_info 0
		.amdhsa_system_vgpr_workitem_id 0
		.amdhsa_next_free_vgpr 1
		.amdhsa_next_free_sgpr 0
		.amdhsa_accum_offset 4
		.amdhsa_reserve_vcc 0
		.amdhsa_reserve_flat_scratch 0
		.amdhsa_float_round_mode_32 0
		.amdhsa_float_round_mode_16_64 0
		.amdhsa_float_denorm_mode_32 3
		.amdhsa_float_denorm_mode_16_64 3
		.amdhsa_dx10_clamp 1
		.amdhsa_ieee_mode 1
		.amdhsa_fp16_overflow 0
		.amdhsa_tg_split 0
		.amdhsa_exception_fp_ieee_invalid_op 0
		.amdhsa_exception_fp_denorm_src 0
		.amdhsa_exception_fp_ieee_div_zero 0
		.amdhsa_exception_fp_ieee_overflow 0
		.amdhsa_exception_fp_ieee_underflow 0
		.amdhsa_exception_fp_ieee_inexact 0
		.amdhsa_exception_int_div_zero 0
	.end_amdhsa_kernel
	.section	.text._ZN7rocprim17ROCPRIM_400000_NS6detail17trampoline_kernelINS0_14default_configENS1_22reduce_config_selectorIN6thrust23THRUST_200600_302600_NS5tupleIilNS6_9null_typeES8_S8_S8_S8_S8_S8_S8_EEEEZNS1_11reduce_implILb0ES3_NS6_12zip_iteratorINS7_IPiNS6_11hip_rocprim19counting_iterator_tIlEES8_S8_S8_S8_S8_S8_S8_S8_EEEEPS9_S9_NSE_9__extrema9arg_max_fIilNS6_4lessIiEEEEEE10hipError_tPvRmT1_T2_T3_mT4_P12ihipStream_tbEUlT_E0_NS1_11comp_targetILNS1_3genE3ELNS1_11target_archE908ELNS1_3gpuE7ELNS1_3repE0EEENS1_30default_config_static_selectorELNS0_4arch9wavefront6targetE1EEEvSS_,"axG",@progbits,_ZN7rocprim17ROCPRIM_400000_NS6detail17trampoline_kernelINS0_14default_configENS1_22reduce_config_selectorIN6thrust23THRUST_200600_302600_NS5tupleIilNS6_9null_typeES8_S8_S8_S8_S8_S8_S8_EEEEZNS1_11reduce_implILb0ES3_NS6_12zip_iteratorINS7_IPiNS6_11hip_rocprim19counting_iterator_tIlEES8_S8_S8_S8_S8_S8_S8_S8_EEEEPS9_S9_NSE_9__extrema9arg_max_fIilNS6_4lessIiEEEEEE10hipError_tPvRmT1_T2_T3_mT4_P12ihipStream_tbEUlT_E0_NS1_11comp_targetILNS1_3genE3ELNS1_11target_archE908ELNS1_3gpuE7ELNS1_3repE0EEENS1_30default_config_static_selectorELNS0_4arch9wavefront6targetE1EEEvSS_,comdat
.Lfunc_end201:
	.size	_ZN7rocprim17ROCPRIM_400000_NS6detail17trampoline_kernelINS0_14default_configENS1_22reduce_config_selectorIN6thrust23THRUST_200600_302600_NS5tupleIilNS6_9null_typeES8_S8_S8_S8_S8_S8_S8_EEEEZNS1_11reduce_implILb0ES3_NS6_12zip_iteratorINS7_IPiNS6_11hip_rocprim19counting_iterator_tIlEES8_S8_S8_S8_S8_S8_S8_S8_EEEEPS9_S9_NSE_9__extrema9arg_max_fIilNS6_4lessIiEEEEEE10hipError_tPvRmT1_T2_T3_mT4_P12ihipStream_tbEUlT_E0_NS1_11comp_targetILNS1_3genE3ELNS1_11target_archE908ELNS1_3gpuE7ELNS1_3repE0EEENS1_30default_config_static_selectorELNS0_4arch9wavefront6targetE1EEEvSS_, .Lfunc_end201-_ZN7rocprim17ROCPRIM_400000_NS6detail17trampoline_kernelINS0_14default_configENS1_22reduce_config_selectorIN6thrust23THRUST_200600_302600_NS5tupleIilNS6_9null_typeES8_S8_S8_S8_S8_S8_S8_EEEEZNS1_11reduce_implILb0ES3_NS6_12zip_iteratorINS7_IPiNS6_11hip_rocprim19counting_iterator_tIlEES8_S8_S8_S8_S8_S8_S8_S8_EEEEPS9_S9_NSE_9__extrema9arg_max_fIilNS6_4lessIiEEEEEE10hipError_tPvRmT1_T2_T3_mT4_P12ihipStream_tbEUlT_E0_NS1_11comp_targetILNS1_3genE3ELNS1_11target_archE908ELNS1_3gpuE7ELNS1_3repE0EEENS1_30default_config_static_selectorELNS0_4arch9wavefront6targetE1EEEvSS_
                                        ; -- End function
	.section	.AMDGPU.csdata,"",@progbits
; Kernel info:
; codeLenInByte = 0
; NumSgprs: 4
; NumVgprs: 0
; NumAgprs: 0
; TotalNumVgprs: 0
; ScratchSize: 0
; MemoryBound: 0
; FloatMode: 240
; IeeeMode: 1
; LDSByteSize: 0 bytes/workgroup (compile time only)
; SGPRBlocks: 0
; VGPRBlocks: 0
; NumSGPRsForWavesPerEU: 4
; NumVGPRsForWavesPerEU: 1
; AccumOffset: 4
; Occupancy: 8
; WaveLimiterHint : 0
; COMPUTE_PGM_RSRC2:SCRATCH_EN: 0
; COMPUTE_PGM_RSRC2:USER_SGPR: 6
; COMPUTE_PGM_RSRC2:TRAP_HANDLER: 0
; COMPUTE_PGM_RSRC2:TGID_X_EN: 1
; COMPUTE_PGM_RSRC2:TGID_Y_EN: 0
; COMPUTE_PGM_RSRC2:TGID_Z_EN: 0
; COMPUTE_PGM_RSRC2:TIDIG_COMP_CNT: 0
; COMPUTE_PGM_RSRC3_GFX90A:ACCUM_OFFSET: 0
; COMPUTE_PGM_RSRC3_GFX90A:TG_SPLIT: 0
	.section	.text._ZN7rocprim17ROCPRIM_400000_NS6detail17trampoline_kernelINS0_14default_configENS1_22reduce_config_selectorIN6thrust23THRUST_200600_302600_NS5tupleIilNS6_9null_typeES8_S8_S8_S8_S8_S8_S8_EEEEZNS1_11reduce_implILb0ES3_NS6_12zip_iteratorINS7_IPiNS6_11hip_rocprim19counting_iterator_tIlEES8_S8_S8_S8_S8_S8_S8_S8_EEEEPS9_S9_NSE_9__extrema9arg_max_fIilNS6_4lessIiEEEEEE10hipError_tPvRmT1_T2_T3_mT4_P12ihipStream_tbEUlT_E0_NS1_11comp_targetILNS1_3genE2ELNS1_11target_archE906ELNS1_3gpuE6ELNS1_3repE0EEENS1_30default_config_static_selectorELNS0_4arch9wavefront6targetE1EEEvSS_,"axG",@progbits,_ZN7rocprim17ROCPRIM_400000_NS6detail17trampoline_kernelINS0_14default_configENS1_22reduce_config_selectorIN6thrust23THRUST_200600_302600_NS5tupleIilNS6_9null_typeES8_S8_S8_S8_S8_S8_S8_EEEEZNS1_11reduce_implILb0ES3_NS6_12zip_iteratorINS7_IPiNS6_11hip_rocprim19counting_iterator_tIlEES8_S8_S8_S8_S8_S8_S8_S8_EEEEPS9_S9_NSE_9__extrema9arg_max_fIilNS6_4lessIiEEEEEE10hipError_tPvRmT1_T2_T3_mT4_P12ihipStream_tbEUlT_E0_NS1_11comp_targetILNS1_3genE2ELNS1_11target_archE906ELNS1_3gpuE6ELNS1_3repE0EEENS1_30default_config_static_selectorELNS0_4arch9wavefront6targetE1EEEvSS_,comdat
	.protected	_ZN7rocprim17ROCPRIM_400000_NS6detail17trampoline_kernelINS0_14default_configENS1_22reduce_config_selectorIN6thrust23THRUST_200600_302600_NS5tupleIilNS6_9null_typeES8_S8_S8_S8_S8_S8_S8_EEEEZNS1_11reduce_implILb0ES3_NS6_12zip_iteratorINS7_IPiNS6_11hip_rocprim19counting_iterator_tIlEES8_S8_S8_S8_S8_S8_S8_S8_EEEEPS9_S9_NSE_9__extrema9arg_max_fIilNS6_4lessIiEEEEEE10hipError_tPvRmT1_T2_T3_mT4_P12ihipStream_tbEUlT_E0_NS1_11comp_targetILNS1_3genE2ELNS1_11target_archE906ELNS1_3gpuE6ELNS1_3repE0EEENS1_30default_config_static_selectorELNS0_4arch9wavefront6targetE1EEEvSS_ ; -- Begin function _ZN7rocprim17ROCPRIM_400000_NS6detail17trampoline_kernelINS0_14default_configENS1_22reduce_config_selectorIN6thrust23THRUST_200600_302600_NS5tupleIilNS6_9null_typeES8_S8_S8_S8_S8_S8_S8_EEEEZNS1_11reduce_implILb0ES3_NS6_12zip_iteratorINS7_IPiNS6_11hip_rocprim19counting_iterator_tIlEES8_S8_S8_S8_S8_S8_S8_S8_EEEEPS9_S9_NSE_9__extrema9arg_max_fIilNS6_4lessIiEEEEEE10hipError_tPvRmT1_T2_T3_mT4_P12ihipStream_tbEUlT_E0_NS1_11comp_targetILNS1_3genE2ELNS1_11target_archE906ELNS1_3gpuE6ELNS1_3repE0EEENS1_30default_config_static_selectorELNS0_4arch9wavefront6targetE1EEEvSS_
	.globl	_ZN7rocprim17ROCPRIM_400000_NS6detail17trampoline_kernelINS0_14default_configENS1_22reduce_config_selectorIN6thrust23THRUST_200600_302600_NS5tupleIilNS6_9null_typeES8_S8_S8_S8_S8_S8_S8_EEEEZNS1_11reduce_implILb0ES3_NS6_12zip_iteratorINS7_IPiNS6_11hip_rocprim19counting_iterator_tIlEES8_S8_S8_S8_S8_S8_S8_S8_EEEEPS9_S9_NSE_9__extrema9arg_max_fIilNS6_4lessIiEEEEEE10hipError_tPvRmT1_T2_T3_mT4_P12ihipStream_tbEUlT_E0_NS1_11comp_targetILNS1_3genE2ELNS1_11target_archE906ELNS1_3gpuE6ELNS1_3repE0EEENS1_30default_config_static_selectorELNS0_4arch9wavefront6targetE1EEEvSS_
	.p2align	8
	.type	_ZN7rocprim17ROCPRIM_400000_NS6detail17trampoline_kernelINS0_14default_configENS1_22reduce_config_selectorIN6thrust23THRUST_200600_302600_NS5tupleIilNS6_9null_typeES8_S8_S8_S8_S8_S8_S8_EEEEZNS1_11reduce_implILb0ES3_NS6_12zip_iteratorINS7_IPiNS6_11hip_rocprim19counting_iterator_tIlEES8_S8_S8_S8_S8_S8_S8_S8_EEEEPS9_S9_NSE_9__extrema9arg_max_fIilNS6_4lessIiEEEEEE10hipError_tPvRmT1_T2_T3_mT4_P12ihipStream_tbEUlT_E0_NS1_11comp_targetILNS1_3genE2ELNS1_11target_archE906ELNS1_3gpuE6ELNS1_3repE0EEENS1_30default_config_static_selectorELNS0_4arch9wavefront6targetE1EEEvSS_,@function
_ZN7rocprim17ROCPRIM_400000_NS6detail17trampoline_kernelINS0_14default_configENS1_22reduce_config_selectorIN6thrust23THRUST_200600_302600_NS5tupleIilNS6_9null_typeES8_S8_S8_S8_S8_S8_S8_EEEEZNS1_11reduce_implILb0ES3_NS6_12zip_iteratorINS7_IPiNS6_11hip_rocprim19counting_iterator_tIlEES8_S8_S8_S8_S8_S8_S8_S8_EEEEPS9_S9_NSE_9__extrema9arg_max_fIilNS6_4lessIiEEEEEE10hipError_tPvRmT1_T2_T3_mT4_P12ihipStream_tbEUlT_E0_NS1_11comp_targetILNS1_3genE2ELNS1_11target_archE906ELNS1_3gpuE6ELNS1_3repE0EEENS1_30default_config_static_selectorELNS0_4arch9wavefront6targetE1EEEvSS_: ; @_ZN7rocprim17ROCPRIM_400000_NS6detail17trampoline_kernelINS0_14default_configENS1_22reduce_config_selectorIN6thrust23THRUST_200600_302600_NS5tupleIilNS6_9null_typeES8_S8_S8_S8_S8_S8_S8_EEEEZNS1_11reduce_implILb0ES3_NS6_12zip_iteratorINS7_IPiNS6_11hip_rocprim19counting_iterator_tIlEES8_S8_S8_S8_S8_S8_S8_S8_EEEEPS9_S9_NSE_9__extrema9arg_max_fIilNS6_4lessIiEEEEEE10hipError_tPvRmT1_T2_T3_mT4_P12ihipStream_tbEUlT_E0_NS1_11comp_targetILNS1_3genE2ELNS1_11target_archE906ELNS1_3gpuE6ELNS1_3repE0EEENS1_30default_config_static_selectorELNS0_4arch9wavefront6targetE1EEEvSS_
; %bb.0:
	.section	.rodata,"a",@progbits
	.p2align	6, 0x0
	.amdhsa_kernel _ZN7rocprim17ROCPRIM_400000_NS6detail17trampoline_kernelINS0_14default_configENS1_22reduce_config_selectorIN6thrust23THRUST_200600_302600_NS5tupleIilNS6_9null_typeES8_S8_S8_S8_S8_S8_S8_EEEEZNS1_11reduce_implILb0ES3_NS6_12zip_iteratorINS7_IPiNS6_11hip_rocprim19counting_iterator_tIlEES8_S8_S8_S8_S8_S8_S8_S8_EEEEPS9_S9_NSE_9__extrema9arg_max_fIilNS6_4lessIiEEEEEE10hipError_tPvRmT1_T2_T3_mT4_P12ihipStream_tbEUlT_E0_NS1_11comp_targetILNS1_3genE2ELNS1_11target_archE906ELNS1_3gpuE6ELNS1_3repE0EEENS1_30default_config_static_selectorELNS0_4arch9wavefront6targetE1EEEvSS_
		.amdhsa_group_segment_fixed_size 0
		.amdhsa_private_segment_fixed_size 0
		.amdhsa_kernarg_size 80
		.amdhsa_user_sgpr_count 6
		.amdhsa_user_sgpr_private_segment_buffer 1
		.amdhsa_user_sgpr_dispatch_ptr 0
		.amdhsa_user_sgpr_queue_ptr 0
		.amdhsa_user_sgpr_kernarg_segment_ptr 1
		.amdhsa_user_sgpr_dispatch_id 0
		.amdhsa_user_sgpr_flat_scratch_init 0
		.amdhsa_user_sgpr_kernarg_preload_length 0
		.amdhsa_user_sgpr_kernarg_preload_offset 0
		.amdhsa_user_sgpr_private_segment_size 0
		.amdhsa_uses_dynamic_stack 0
		.amdhsa_system_sgpr_private_segment_wavefront_offset 0
		.amdhsa_system_sgpr_workgroup_id_x 1
		.amdhsa_system_sgpr_workgroup_id_y 0
		.amdhsa_system_sgpr_workgroup_id_z 0
		.amdhsa_system_sgpr_workgroup_info 0
		.amdhsa_system_vgpr_workitem_id 0
		.amdhsa_next_free_vgpr 1
		.amdhsa_next_free_sgpr 0
		.amdhsa_accum_offset 4
		.amdhsa_reserve_vcc 0
		.amdhsa_reserve_flat_scratch 0
		.amdhsa_float_round_mode_32 0
		.amdhsa_float_round_mode_16_64 0
		.amdhsa_float_denorm_mode_32 3
		.amdhsa_float_denorm_mode_16_64 3
		.amdhsa_dx10_clamp 1
		.amdhsa_ieee_mode 1
		.amdhsa_fp16_overflow 0
		.amdhsa_tg_split 0
		.amdhsa_exception_fp_ieee_invalid_op 0
		.amdhsa_exception_fp_denorm_src 0
		.amdhsa_exception_fp_ieee_div_zero 0
		.amdhsa_exception_fp_ieee_overflow 0
		.amdhsa_exception_fp_ieee_underflow 0
		.amdhsa_exception_fp_ieee_inexact 0
		.amdhsa_exception_int_div_zero 0
	.end_amdhsa_kernel
	.section	.text._ZN7rocprim17ROCPRIM_400000_NS6detail17trampoline_kernelINS0_14default_configENS1_22reduce_config_selectorIN6thrust23THRUST_200600_302600_NS5tupleIilNS6_9null_typeES8_S8_S8_S8_S8_S8_S8_EEEEZNS1_11reduce_implILb0ES3_NS6_12zip_iteratorINS7_IPiNS6_11hip_rocprim19counting_iterator_tIlEES8_S8_S8_S8_S8_S8_S8_S8_EEEEPS9_S9_NSE_9__extrema9arg_max_fIilNS6_4lessIiEEEEEE10hipError_tPvRmT1_T2_T3_mT4_P12ihipStream_tbEUlT_E0_NS1_11comp_targetILNS1_3genE2ELNS1_11target_archE906ELNS1_3gpuE6ELNS1_3repE0EEENS1_30default_config_static_selectorELNS0_4arch9wavefront6targetE1EEEvSS_,"axG",@progbits,_ZN7rocprim17ROCPRIM_400000_NS6detail17trampoline_kernelINS0_14default_configENS1_22reduce_config_selectorIN6thrust23THRUST_200600_302600_NS5tupleIilNS6_9null_typeES8_S8_S8_S8_S8_S8_S8_EEEEZNS1_11reduce_implILb0ES3_NS6_12zip_iteratorINS7_IPiNS6_11hip_rocprim19counting_iterator_tIlEES8_S8_S8_S8_S8_S8_S8_S8_EEEEPS9_S9_NSE_9__extrema9arg_max_fIilNS6_4lessIiEEEEEE10hipError_tPvRmT1_T2_T3_mT4_P12ihipStream_tbEUlT_E0_NS1_11comp_targetILNS1_3genE2ELNS1_11target_archE906ELNS1_3gpuE6ELNS1_3repE0EEENS1_30default_config_static_selectorELNS0_4arch9wavefront6targetE1EEEvSS_,comdat
.Lfunc_end202:
	.size	_ZN7rocprim17ROCPRIM_400000_NS6detail17trampoline_kernelINS0_14default_configENS1_22reduce_config_selectorIN6thrust23THRUST_200600_302600_NS5tupleIilNS6_9null_typeES8_S8_S8_S8_S8_S8_S8_EEEEZNS1_11reduce_implILb0ES3_NS6_12zip_iteratorINS7_IPiNS6_11hip_rocprim19counting_iterator_tIlEES8_S8_S8_S8_S8_S8_S8_S8_EEEEPS9_S9_NSE_9__extrema9arg_max_fIilNS6_4lessIiEEEEEE10hipError_tPvRmT1_T2_T3_mT4_P12ihipStream_tbEUlT_E0_NS1_11comp_targetILNS1_3genE2ELNS1_11target_archE906ELNS1_3gpuE6ELNS1_3repE0EEENS1_30default_config_static_selectorELNS0_4arch9wavefront6targetE1EEEvSS_, .Lfunc_end202-_ZN7rocprim17ROCPRIM_400000_NS6detail17trampoline_kernelINS0_14default_configENS1_22reduce_config_selectorIN6thrust23THRUST_200600_302600_NS5tupleIilNS6_9null_typeES8_S8_S8_S8_S8_S8_S8_EEEEZNS1_11reduce_implILb0ES3_NS6_12zip_iteratorINS7_IPiNS6_11hip_rocprim19counting_iterator_tIlEES8_S8_S8_S8_S8_S8_S8_S8_EEEEPS9_S9_NSE_9__extrema9arg_max_fIilNS6_4lessIiEEEEEE10hipError_tPvRmT1_T2_T3_mT4_P12ihipStream_tbEUlT_E0_NS1_11comp_targetILNS1_3genE2ELNS1_11target_archE906ELNS1_3gpuE6ELNS1_3repE0EEENS1_30default_config_static_selectorELNS0_4arch9wavefront6targetE1EEEvSS_
                                        ; -- End function
	.section	.AMDGPU.csdata,"",@progbits
; Kernel info:
; codeLenInByte = 0
; NumSgprs: 4
; NumVgprs: 0
; NumAgprs: 0
; TotalNumVgprs: 0
; ScratchSize: 0
; MemoryBound: 0
; FloatMode: 240
; IeeeMode: 1
; LDSByteSize: 0 bytes/workgroup (compile time only)
; SGPRBlocks: 0
; VGPRBlocks: 0
; NumSGPRsForWavesPerEU: 4
; NumVGPRsForWavesPerEU: 1
; AccumOffset: 4
; Occupancy: 8
; WaveLimiterHint : 0
; COMPUTE_PGM_RSRC2:SCRATCH_EN: 0
; COMPUTE_PGM_RSRC2:USER_SGPR: 6
; COMPUTE_PGM_RSRC2:TRAP_HANDLER: 0
; COMPUTE_PGM_RSRC2:TGID_X_EN: 1
; COMPUTE_PGM_RSRC2:TGID_Y_EN: 0
; COMPUTE_PGM_RSRC2:TGID_Z_EN: 0
; COMPUTE_PGM_RSRC2:TIDIG_COMP_CNT: 0
; COMPUTE_PGM_RSRC3_GFX90A:ACCUM_OFFSET: 0
; COMPUTE_PGM_RSRC3_GFX90A:TG_SPLIT: 0
	.section	.text._ZN7rocprim17ROCPRIM_400000_NS6detail17trampoline_kernelINS0_14default_configENS1_22reduce_config_selectorIN6thrust23THRUST_200600_302600_NS5tupleIilNS6_9null_typeES8_S8_S8_S8_S8_S8_S8_EEEEZNS1_11reduce_implILb0ES3_NS6_12zip_iteratorINS7_IPiNS6_11hip_rocprim19counting_iterator_tIlEES8_S8_S8_S8_S8_S8_S8_S8_EEEEPS9_S9_NSE_9__extrema9arg_max_fIilNS6_4lessIiEEEEEE10hipError_tPvRmT1_T2_T3_mT4_P12ihipStream_tbEUlT_E0_NS1_11comp_targetILNS1_3genE10ELNS1_11target_archE1201ELNS1_3gpuE5ELNS1_3repE0EEENS1_30default_config_static_selectorELNS0_4arch9wavefront6targetE1EEEvSS_,"axG",@progbits,_ZN7rocprim17ROCPRIM_400000_NS6detail17trampoline_kernelINS0_14default_configENS1_22reduce_config_selectorIN6thrust23THRUST_200600_302600_NS5tupleIilNS6_9null_typeES8_S8_S8_S8_S8_S8_S8_EEEEZNS1_11reduce_implILb0ES3_NS6_12zip_iteratorINS7_IPiNS6_11hip_rocprim19counting_iterator_tIlEES8_S8_S8_S8_S8_S8_S8_S8_EEEEPS9_S9_NSE_9__extrema9arg_max_fIilNS6_4lessIiEEEEEE10hipError_tPvRmT1_T2_T3_mT4_P12ihipStream_tbEUlT_E0_NS1_11comp_targetILNS1_3genE10ELNS1_11target_archE1201ELNS1_3gpuE5ELNS1_3repE0EEENS1_30default_config_static_selectorELNS0_4arch9wavefront6targetE1EEEvSS_,comdat
	.protected	_ZN7rocprim17ROCPRIM_400000_NS6detail17trampoline_kernelINS0_14default_configENS1_22reduce_config_selectorIN6thrust23THRUST_200600_302600_NS5tupleIilNS6_9null_typeES8_S8_S8_S8_S8_S8_S8_EEEEZNS1_11reduce_implILb0ES3_NS6_12zip_iteratorINS7_IPiNS6_11hip_rocprim19counting_iterator_tIlEES8_S8_S8_S8_S8_S8_S8_S8_EEEEPS9_S9_NSE_9__extrema9arg_max_fIilNS6_4lessIiEEEEEE10hipError_tPvRmT1_T2_T3_mT4_P12ihipStream_tbEUlT_E0_NS1_11comp_targetILNS1_3genE10ELNS1_11target_archE1201ELNS1_3gpuE5ELNS1_3repE0EEENS1_30default_config_static_selectorELNS0_4arch9wavefront6targetE1EEEvSS_ ; -- Begin function _ZN7rocprim17ROCPRIM_400000_NS6detail17trampoline_kernelINS0_14default_configENS1_22reduce_config_selectorIN6thrust23THRUST_200600_302600_NS5tupleIilNS6_9null_typeES8_S8_S8_S8_S8_S8_S8_EEEEZNS1_11reduce_implILb0ES3_NS6_12zip_iteratorINS7_IPiNS6_11hip_rocprim19counting_iterator_tIlEES8_S8_S8_S8_S8_S8_S8_S8_EEEEPS9_S9_NSE_9__extrema9arg_max_fIilNS6_4lessIiEEEEEE10hipError_tPvRmT1_T2_T3_mT4_P12ihipStream_tbEUlT_E0_NS1_11comp_targetILNS1_3genE10ELNS1_11target_archE1201ELNS1_3gpuE5ELNS1_3repE0EEENS1_30default_config_static_selectorELNS0_4arch9wavefront6targetE1EEEvSS_
	.globl	_ZN7rocprim17ROCPRIM_400000_NS6detail17trampoline_kernelINS0_14default_configENS1_22reduce_config_selectorIN6thrust23THRUST_200600_302600_NS5tupleIilNS6_9null_typeES8_S8_S8_S8_S8_S8_S8_EEEEZNS1_11reduce_implILb0ES3_NS6_12zip_iteratorINS7_IPiNS6_11hip_rocprim19counting_iterator_tIlEES8_S8_S8_S8_S8_S8_S8_S8_EEEEPS9_S9_NSE_9__extrema9arg_max_fIilNS6_4lessIiEEEEEE10hipError_tPvRmT1_T2_T3_mT4_P12ihipStream_tbEUlT_E0_NS1_11comp_targetILNS1_3genE10ELNS1_11target_archE1201ELNS1_3gpuE5ELNS1_3repE0EEENS1_30default_config_static_selectorELNS0_4arch9wavefront6targetE1EEEvSS_
	.p2align	8
	.type	_ZN7rocprim17ROCPRIM_400000_NS6detail17trampoline_kernelINS0_14default_configENS1_22reduce_config_selectorIN6thrust23THRUST_200600_302600_NS5tupleIilNS6_9null_typeES8_S8_S8_S8_S8_S8_S8_EEEEZNS1_11reduce_implILb0ES3_NS6_12zip_iteratorINS7_IPiNS6_11hip_rocprim19counting_iterator_tIlEES8_S8_S8_S8_S8_S8_S8_S8_EEEEPS9_S9_NSE_9__extrema9arg_max_fIilNS6_4lessIiEEEEEE10hipError_tPvRmT1_T2_T3_mT4_P12ihipStream_tbEUlT_E0_NS1_11comp_targetILNS1_3genE10ELNS1_11target_archE1201ELNS1_3gpuE5ELNS1_3repE0EEENS1_30default_config_static_selectorELNS0_4arch9wavefront6targetE1EEEvSS_,@function
_ZN7rocprim17ROCPRIM_400000_NS6detail17trampoline_kernelINS0_14default_configENS1_22reduce_config_selectorIN6thrust23THRUST_200600_302600_NS5tupleIilNS6_9null_typeES8_S8_S8_S8_S8_S8_S8_EEEEZNS1_11reduce_implILb0ES3_NS6_12zip_iteratorINS7_IPiNS6_11hip_rocprim19counting_iterator_tIlEES8_S8_S8_S8_S8_S8_S8_S8_EEEEPS9_S9_NSE_9__extrema9arg_max_fIilNS6_4lessIiEEEEEE10hipError_tPvRmT1_T2_T3_mT4_P12ihipStream_tbEUlT_E0_NS1_11comp_targetILNS1_3genE10ELNS1_11target_archE1201ELNS1_3gpuE5ELNS1_3repE0EEENS1_30default_config_static_selectorELNS0_4arch9wavefront6targetE1EEEvSS_: ; @_ZN7rocprim17ROCPRIM_400000_NS6detail17trampoline_kernelINS0_14default_configENS1_22reduce_config_selectorIN6thrust23THRUST_200600_302600_NS5tupleIilNS6_9null_typeES8_S8_S8_S8_S8_S8_S8_EEEEZNS1_11reduce_implILb0ES3_NS6_12zip_iteratorINS7_IPiNS6_11hip_rocprim19counting_iterator_tIlEES8_S8_S8_S8_S8_S8_S8_S8_EEEEPS9_S9_NSE_9__extrema9arg_max_fIilNS6_4lessIiEEEEEE10hipError_tPvRmT1_T2_T3_mT4_P12ihipStream_tbEUlT_E0_NS1_11comp_targetILNS1_3genE10ELNS1_11target_archE1201ELNS1_3gpuE5ELNS1_3repE0EEENS1_30default_config_static_selectorELNS0_4arch9wavefront6targetE1EEEvSS_
; %bb.0:
	.section	.rodata,"a",@progbits
	.p2align	6, 0x0
	.amdhsa_kernel _ZN7rocprim17ROCPRIM_400000_NS6detail17trampoline_kernelINS0_14default_configENS1_22reduce_config_selectorIN6thrust23THRUST_200600_302600_NS5tupleIilNS6_9null_typeES8_S8_S8_S8_S8_S8_S8_EEEEZNS1_11reduce_implILb0ES3_NS6_12zip_iteratorINS7_IPiNS6_11hip_rocprim19counting_iterator_tIlEES8_S8_S8_S8_S8_S8_S8_S8_EEEEPS9_S9_NSE_9__extrema9arg_max_fIilNS6_4lessIiEEEEEE10hipError_tPvRmT1_T2_T3_mT4_P12ihipStream_tbEUlT_E0_NS1_11comp_targetILNS1_3genE10ELNS1_11target_archE1201ELNS1_3gpuE5ELNS1_3repE0EEENS1_30default_config_static_selectorELNS0_4arch9wavefront6targetE1EEEvSS_
		.amdhsa_group_segment_fixed_size 0
		.amdhsa_private_segment_fixed_size 0
		.amdhsa_kernarg_size 80
		.amdhsa_user_sgpr_count 6
		.amdhsa_user_sgpr_private_segment_buffer 1
		.amdhsa_user_sgpr_dispatch_ptr 0
		.amdhsa_user_sgpr_queue_ptr 0
		.amdhsa_user_sgpr_kernarg_segment_ptr 1
		.amdhsa_user_sgpr_dispatch_id 0
		.amdhsa_user_sgpr_flat_scratch_init 0
		.amdhsa_user_sgpr_kernarg_preload_length 0
		.amdhsa_user_sgpr_kernarg_preload_offset 0
		.amdhsa_user_sgpr_private_segment_size 0
		.amdhsa_uses_dynamic_stack 0
		.amdhsa_system_sgpr_private_segment_wavefront_offset 0
		.amdhsa_system_sgpr_workgroup_id_x 1
		.amdhsa_system_sgpr_workgroup_id_y 0
		.amdhsa_system_sgpr_workgroup_id_z 0
		.amdhsa_system_sgpr_workgroup_info 0
		.amdhsa_system_vgpr_workitem_id 0
		.amdhsa_next_free_vgpr 1
		.amdhsa_next_free_sgpr 0
		.amdhsa_accum_offset 4
		.amdhsa_reserve_vcc 0
		.amdhsa_reserve_flat_scratch 0
		.amdhsa_float_round_mode_32 0
		.amdhsa_float_round_mode_16_64 0
		.amdhsa_float_denorm_mode_32 3
		.amdhsa_float_denorm_mode_16_64 3
		.amdhsa_dx10_clamp 1
		.amdhsa_ieee_mode 1
		.amdhsa_fp16_overflow 0
		.amdhsa_tg_split 0
		.amdhsa_exception_fp_ieee_invalid_op 0
		.amdhsa_exception_fp_denorm_src 0
		.amdhsa_exception_fp_ieee_div_zero 0
		.amdhsa_exception_fp_ieee_overflow 0
		.amdhsa_exception_fp_ieee_underflow 0
		.amdhsa_exception_fp_ieee_inexact 0
		.amdhsa_exception_int_div_zero 0
	.end_amdhsa_kernel
	.section	.text._ZN7rocprim17ROCPRIM_400000_NS6detail17trampoline_kernelINS0_14default_configENS1_22reduce_config_selectorIN6thrust23THRUST_200600_302600_NS5tupleIilNS6_9null_typeES8_S8_S8_S8_S8_S8_S8_EEEEZNS1_11reduce_implILb0ES3_NS6_12zip_iteratorINS7_IPiNS6_11hip_rocprim19counting_iterator_tIlEES8_S8_S8_S8_S8_S8_S8_S8_EEEEPS9_S9_NSE_9__extrema9arg_max_fIilNS6_4lessIiEEEEEE10hipError_tPvRmT1_T2_T3_mT4_P12ihipStream_tbEUlT_E0_NS1_11comp_targetILNS1_3genE10ELNS1_11target_archE1201ELNS1_3gpuE5ELNS1_3repE0EEENS1_30default_config_static_selectorELNS0_4arch9wavefront6targetE1EEEvSS_,"axG",@progbits,_ZN7rocprim17ROCPRIM_400000_NS6detail17trampoline_kernelINS0_14default_configENS1_22reduce_config_selectorIN6thrust23THRUST_200600_302600_NS5tupleIilNS6_9null_typeES8_S8_S8_S8_S8_S8_S8_EEEEZNS1_11reduce_implILb0ES3_NS6_12zip_iteratorINS7_IPiNS6_11hip_rocprim19counting_iterator_tIlEES8_S8_S8_S8_S8_S8_S8_S8_EEEEPS9_S9_NSE_9__extrema9arg_max_fIilNS6_4lessIiEEEEEE10hipError_tPvRmT1_T2_T3_mT4_P12ihipStream_tbEUlT_E0_NS1_11comp_targetILNS1_3genE10ELNS1_11target_archE1201ELNS1_3gpuE5ELNS1_3repE0EEENS1_30default_config_static_selectorELNS0_4arch9wavefront6targetE1EEEvSS_,comdat
.Lfunc_end203:
	.size	_ZN7rocprim17ROCPRIM_400000_NS6detail17trampoline_kernelINS0_14default_configENS1_22reduce_config_selectorIN6thrust23THRUST_200600_302600_NS5tupleIilNS6_9null_typeES8_S8_S8_S8_S8_S8_S8_EEEEZNS1_11reduce_implILb0ES3_NS6_12zip_iteratorINS7_IPiNS6_11hip_rocprim19counting_iterator_tIlEES8_S8_S8_S8_S8_S8_S8_S8_EEEEPS9_S9_NSE_9__extrema9arg_max_fIilNS6_4lessIiEEEEEE10hipError_tPvRmT1_T2_T3_mT4_P12ihipStream_tbEUlT_E0_NS1_11comp_targetILNS1_3genE10ELNS1_11target_archE1201ELNS1_3gpuE5ELNS1_3repE0EEENS1_30default_config_static_selectorELNS0_4arch9wavefront6targetE1EEEvSS_, .Lfunc_end203-_ZN7rocprim17ROCPRIM_400000_NS6detail17trampoline_kernelINS0_14default_configENS1_22reduce_config_selectorIN6thrust23THRUST_200600_302600_NS5tupleIilNS6_9null_typeES8_S8_S8_S8_S8_S8_S8_EEEEZNS1_11reduce_implILb0ES3_NS6_12zip_iteratorINS7_IPiNS6_11hip_rocprim19counting_iterator_tIlEES8_S8_S8_S8_S8_S8_S8_S8_EEEEPS9_S9_NSE_9__extrema9arg_max_fIilNS6_4lessIiEEEEEE10hipError_tPvRmT1_T2_T3_mT4_P12ihipStream_tbEUlT_E0_NS1_11comp_targetILNS1_3genE10ELNS1_11target_archE1201ELNS1_3gpuE5ELNS1_3repE0EEENS1_30default_config_static_selectorELNS0_4arch9wavefront6targetE1EEEvSS_
                                        ; -- End function
	.section	.AMDGPU.csdata,"",@progbits
; Kernel info:
; codeLenInByte = 0
; NumSgprs: 4
; NumVgprs: 0
; NumAgprs: 0
; TotalNumVgprs: 0
; ScratchSize: 0
; MemoryBound: 0
; FloatMode: 240
; IeeeMode: 1
; LDSByteSize: 0 bytes/workgroup (compile time only)
; SGPRBlocks: 0
; VGPRBlocks: 0
; NumSGPRsForWavesPerEU: 4
; NumVGPRsForWavesPerEU: 1
; AccumOffset: 4
; Occupancy: 8
; WaveLimiterHint : 0
; COMPUTE_PGM_RSRC2:SCRATCH_EN: 0
; COMPUTE_PGM_RSRC2:USER_SGPR: 6
; COMPUTE_PGM_RSRC2:TRAP_HANDLER: 0
; COMPUTE_PGM_RSRC2:TGID_X_EN: 1
; COMPUTE_PGM_RSRC2:TGID_Y_EN: 0
; COMPUTE_PGM_RSRC2:TGID_Z_EN: 0
; COMPUTE_PGM_RSRC2:TIDIG_COMP_CNT: 0
; COMPUTE_PGM_RSRC3_GFX90A:ACCUM_OFFSET: 0
; COMPUTE_PGM_RSRC3_GFX90A:TG_SPLIT: 0
	.section	.text._ZN7rocprim17ROCPRIM_400000_NS6detail17trampoline_kernelINS0_14default_configENS1_22reduce_config_selectorIN6thrust23THRUST_200600_302600_NS5tupleIilNS6_9null_typeES8_S8_S8_S8_S8_S8_S8_EEEEZNS1_11reduce_implILb0ES3_NS6_12zip_iteratorINS7_IPiNS6_11hip_rocprim19counting_iterator_tIlEES8_S8_S8_S8_S8_S8_S8_S8_EEEEPS9_S9_NSE_9__extrema9arg_max_fIilNS6_4lessIiEEEEEE10hipError_tPvRmT1_T2_T3_mT4_P12ihipStream_tbEUlT_E0_NS1_11comp_targetILNS1_3genE10ELNS1_11target_archE1200ELNS1_3gpuE4ELNS1_3repE0EEENS1_30default_config_static_selectorELNS0_4arch9wavefront6targetE1EEEvSS_,"axG",@progbits,_ZN7rocprim17ROCPRIM_400000_NS6detail17trampoline_kernelINS0_14default_configENS1_22reduce_config_selectorIN6thrust23THRUST_200600_302600_NS5tupleIilNS6_9null_typeES8_S8_S8_S8_S8_S8_S8_EEEEZNS1_11reduce_implILb0ES3_NS6_12zip_iteratorINS7_IPiNS6_11hip_rocprim19counting_iterator_tIlEES8_S8_S8_S8_S8_S8_S8_S8_EEEEPS9_S9_NSE_9__extrema9arg_max_fIilNS6_4lessIiEEEEEE10hipError_tPvRmT1_T2_T3_mT4_P12ihipStream_tbEUlT_E0_NS1_11comp_targetILNS1_3genE10ELNS1_11target_archE1200ELNS1_3gpuE4ELNS1_3repE0EEENS1_30default_config_static_selectorELNS0_4arch9wavefront6targetE1EEEvSS_,comdat
	.protected	_ZN7rocprim17ROCPRIM_400000_NS6detail17trampoline_kernelINS0_14default_configENS1_22reduce_config_selectorIN6thrust23THRUST_200600_302600_NS5tupleIilNS6_9null_typeES8_S8_S8_S8_S8_S8_S8_EEEEZNS1_11reduce_implILb0ES3_NS6_12zip_iteratorINS7_IPiNS6_11hip_rocprim19counting_iterator_tIlEES8_S8_S8_S8_S8_S8_S8_S8_EEEEPS9_S9_NSE_9__extrema9arg_max_fIilNS6_4lessIiEEEEEE10hipError_tPvRmT1_T2_T3_mT4_P12ihipStream_tbEUlT_E0_NS1_11comp_targetILNS1_3genE10ELNS1_11target_archE1200ELNS1_3gpuE4ELNS1_3repE0EEENS1_30default_config_static_selectorELNS0_4arch9wavefront6targetE1EEEvSS_ ; -- Begin function _ZN7rocprim17ROCPRIM_400000_NS6detail17trampoline_kernelINS0_14default_configENS1_22reduce_config_selectorIN6thrust23THRUST_200600_302600_NS5tupleIilNS6_9null_typeES8_S8_S8_S8_S8_S8_S8_EEEEZNS1_11reduce_implILb0ES3_NS6_12zip_iteratorINS7_IPiNS6_11hip_rocprim19counting_iterator_tIlEES8_S8_S8_S8_S8_S8_S8_S8_EEEEPS9_S9_NSE_9__extrema9arg_max_fIilNS6_4lessIiEEEEEE10hipError_tPvRmT1_T2_T3_mT4_P12ihipStream_tbEUlT_E0_NS1_11comp_targetILNS1_3genE10ELNS1_11target_archE1200ELNS1_3gpuE4ELNS1_3repE0EEENS1_30default_config_static_selectorELNS0_4arch9wavefront6targetE1EEEvSS_
	.globl	_ZN7rocprim17ROCPRIM_400000_NS6detail17trampoline_kernelINS0_14default_configENS1_22reduce_config_selectorIN6thrust23THRUST_200600_302600_NS5tupleIilNS6_9null_typeES8_S8_S8_S8_S8_S8_S8_EEEEZNS1_11reduce_implILb0ES3_NS6_12zip_iteratorINS7_IPiNS6_11hip_rocprim19counting_iterator_tIlEES8_S8_S8_S8_S8_S8_S8_S8_EEEEPS9_S9_NSE_9__extrema9arg_max_fIilNS6_4lessIiEEEEEE10hipError_tPvRmT1_T2_T3_mT4_P12ihipStream_tbEUlT_E0_NS1_11comp_targetILNS1_3genE10ELNS1_11target_archE1200ELNS1_3gpuE4ELNS1_3repE0EEENS1_30default_config_static_selectorELNS0_4arch9wavefront6targetE1EEEvSS_
	.p2align	8
	.type	_ZN7rocprim17ROCPRIM_400000_NS6detail17trampoline_kernelINS0_14default_configENS1_22reduce_config_selectorIN6thrust23THRUST_200600_302600_NS5tupleIilNS6_9null_typeES8_S8_S8_S8_S8_S8_S8_EEEEZNS1_11reduce_implILb0ES3_NS6_12zip_iteratorINS7_IPiNS6_11hip_rocprim19counting_iterator_tIlEES8_S8_S8_S8_S8_S8_S8_S8_EEEEPS9_S9_NSE_9__extrema9arg_max_fIilNS6_4lessIiEEEEEE10hipError_tPvRmT1_T2_T3_mT4_P12ihipStream_tbEUlT_E0_NS1_11comp_targetILNS1_3genE10ELNS1_11target_archE1200ELNS1_3gpuE4ELNS1_3repE0EEENS1_30default_config_static_selectorELNS0_4arch9wavefront6targetE1EEEvSS_,@function
_ZN7rocprim17ROCPRIM_400000_NS6detail17trampoline_kernelINS0_14default_configENS1_22reduce_config_selectorIN6thrust23THRUST_200600_302600_NS5tupleIilNS6_9null_typeES8_S8_S8_S8_S8_S8_S8_EEEEZNS1_11reduce_implILb0ES3_NS6_12zip_iteratorINS7_IPiNS6_11hip_rocprim19counting_iterator_tIlEES8_S8_S8_S8_S8_S8_S8_S8_EEEEPS9_S9_NSE_9__extrema9arg_max_fIilNS6_4lessIiEEEEEE10hipError_tPvRmT1_T2_T3_mT4_P12ihipStream_tbEUlT_E0_NS1_11comp_targetILNS1_3genE10ELNS1_11target_archE1200ELNS1_3gpuE4ELNS1_3repE0EEENS1_30default_config_static_selectorELNS0_4arch9wavefront6targetE1EEEvSS_: ; @_ZN7rocprim17ROCPRIM_400000_NS6detail17trampoline_kernelINS0_14default_configENS1_22reduce_config_selectorIN6thrust23THRUST_200600_302600_NS5tupleIilNS6_9null_typeES8_S8_S8_S8_S8_S8_S8_EEEEZNS1_11reduce_implILb0ES3_NS6_12zip_iteratorINS7_IPiNS6_11hip_rocprim19counting_iterator_tIlEES8_S8_S8_S8_S8_S8_S8_S8_EEEEPS9_S9_NSE_9__extrema9arg_max_fIilNS6_4lessIiEEEEEE10hipError_tPvRmT1_T2_T3_mT4_P12ihipStream_tbEUlT_E0_NS1_11comp_targetILNS1_3genE10ELNS1_11target_archE1200ELNS1_3gpuE4ELNS1_3repE0EEENS1_30default_config_static_selectorELNS0_4arch9wavefront6targetE1EEEvSS_
; %bb.0:
	.section	.rodata,"a",@progbits
	.p2align	6, 0x0
	.amdhsa_kernel _ZN7rocprim17ROCPRIM_400000_NS6detail17trampoline_kernelINS0_14default_configENS1_22reduce_config_selectorIN6thrust23THRUST_200600_302600_NS5tupleIilNS6_9null_typeES8_S8_S8_S8_S8_S8_S8_EEEEZNS1_11reduce_implILb0ES3_NS6_12zip_iteratorINS7_IPiNS6_11hip_rocprim19counting_iterator_tIlEES8_S8_S8_S8_S8_S8_S8_S8_EEEEPS9_S9_NSE_9__extrema9arg_max_fIilNS6_4lessIiEEEEEE10hipError_tPvRmT1_T2_T3_mT4_P12ihipStream_tbEUlT_E0_NS1_11comp_targetILNS1_3genE10ELNS1_11target_archE1200ELNS1_3gpuE4ELNS1_3repE0EEENS1_30default_config_static_selectorELNS0_4arch9wavefront6targetE1EEEvSS_
		.amdhsa_group_segment_fixed_size 0
		.amdhsa_private_segment_fixed_size 0
		.amdhsa_kernarg_size 80
		.amdhsa_user_sgpr_count 6
		.amdhsa_user_sgpr_private_segment_buffer 1
		.amdhsa_user_sgpr_dispatch_ptr 0
		.amdhsa_user_sgpr_queue_ptr 0
		.amdhsa_user_sgpr_kernarg_segment_ptr 1
		.amdhsa_user_sgpr_dispatch_id 0
		.amdhsa_user_sgpr_flat_scratch_init 0
		.amdhsa_user_sgpr_kernarg_preload_length 0
		.amdhsa_user_sgpr_kernarg_preload_offset 0
		.amdhsa_user_sgpr_private_segment_size 0
		.amdhsa_uses_dynamic_stack 0
		.amdhsa_system_sgpr_private_segment_wavefront_offset 0
		.amdhsa_system_sgpr_workgroup_id_x 1
		.amdhsa_system_sgpr_workgroup_id_y 0
		.amdhsa_system_sgpr_workgroup_id_z 0
		.amdhsa_system_sgpr_workgroup_info 0
		.amdhsa_system_vgpr_workitem_id 0
		.amdhsa_next_free_vgpr 1
		.amdhsa_next_free_sgpr 0
		.amdhsa_accum_offset 4
		.amdhsa_reserve_vcc 0
		.amdhsa_reserve_flat_scratch 0
		.amdhsa_float_round_mode_32 0
		.amdhsa_float_round_mode_16_64 0
		.amdhsa_float_denorm_mode_32 3
		.amdhsa_float_denorm_mode_16_64 3
		.amdhsa_dx10_clamp 1
		.amdhsa_ieee_mode 1
		.amdhsa_fp16_overflow 0
		.amdhsa_tg_split 0
		.amdhsa_exception_fp_ieee_invalid_op 0
		.amdhsa_exception_fp_denorm_src 0
		.amdhsa_exception_fp_ieee_div_zero 0
		.amdhsa_exception_fp_ieee_overflow 0
		.amdhsa_exception_fp_ieee_underflow 0
		.amdhsa_exception_fp_ieee_inexact 0
		.amdhsa_exception_int_div_zero 0
	.end_amdhsa_kernel
	.section	.text._ZN7rocprim17ROCPRIM_400000_NS6detail17trampoline_kernelINS0_14default_configENS1_22reduce_config_selectorIN6thrust23THRUST_200600_302600_NS5tupleIilNS6_9null_typeES8_S8_S8_S8_S8_S8_S8_EEEEZNS1_11reduce_implILb0ES3_NS6_12zip_iteratorINS7_IPiNS6_11hip_rocprim19counting_iterator_tIlEES8_S8_S8_S8_S8_S8_S8_S8_EEEEPS9_S9_NSE_9__extrema9arg_max_fIilNS6_4lessIiEEEEEE10hipError_tPvRmT1_T2_T3_mT4_P12ihipStream_tbEUlT_E0_NS1_11comp_targetILNS1_3genE10ELNS1_11target_archE1200ELNS1_3gpuE4ELNS1_3repE0EEENS1_30default_config_static_selectorELNS0_4arch9wavefront6targetE1EEEvSS_,"axG",@progbits,_ZN7rocprim17ROCPRIM_400000_NS6detail17trampoline_kernelINS0_14default_configENS1_22reduce_config_selectorIN6thrust23THRUST_200600_302600_NS5tupleIilNS6_9null_typeES8_S8_S8_S8_S8_S8_S8_EEEEZNS1_11reduce_implILb0ES3_NS6_12zip_iteratorINS7_IPiNS6_11hip_rocprim19counting_iterator_tIlEES8_S8_S8_S8_S8_S8_S8_S8_EEEEPS9_S9_NSE_9__extrema9arg_max_fIilNS6_4lessIiEEEEEE10hipError_tPvRmT1_T2_T3_mT4_P12ihipStream_tbEUlT_E0_NS1_11comp_targetILNS1_3genE10ELNS1_11target_archE1200ELNS1_3gpuE4ELNS1_3repE0EEENS1_30default_config_static_selectorELNS0_4arch9wavefront6targetE1EEEvSS_,comdat
.Lfunc_end204:
	.size	_ZN7rocprim17ROCPRIM_400000_NS6detail17trampoline_kernelINS0_14default_configENS1_22reduce_config_selectorIN6thrust23THRUST_200600_302600_NS5tupleIilNS6_9null_typeES8_S8_S8_S8_S8_S8_S8_EEEEZNS1_11reduce_implILb0ES3_NS6_12zip_iteratorINS7_IPiNS6_11hip_rocprim19counting_iterator_tIlEES8_S8_S8_S8_S8_S8_S8_S8_EEEEPS9_S9_NSE_9__extrema9arg_max_fIilNS6_4lessIiEEEEEE10hipError_tPvRmT1_T2_T3_mT4_P12ihipStream_tbEUlT_E0_NS1_11comp_targetILNS1_3genE10ELNS1_11target_archE1200ELNS1_3gpuE4ELNS1_3repE0EEENS1_30default_config_static_selectorELNS0_4arch9wavefront6targetE1EEEvSS_, .Lfunc_end204-_ZN7rocprim17ROCPRIM_400000_NS6detail17trampoline_kernelINS0_14default_configENS1_22reduce_config_selectorIN6thrust23THRUST_200600_302600_NS5tupleIilNS6_9null_typeES8_S8_S8_S8_S8_S8_S8_EEEEZNS1_11reduce_implILb0ES3_NS6_12zip_iteratorINS7_IPiNS6_11hip_rocprim19counting_iterator_tIlEES8_S8_S8_S8_S8_S8_S8_S8_EEEEPS9_S9_NSE_9__extrema9arg_max_fIilNS6_4lessIiEEEEEE10hipError_tPvRmT1_T2_T3_mT4_P12ihipStream_tbEUlT_E0_NS1_11comp_targetILNS1_3genE10ELNS1_11target_archE1200ELNS1_3gpuE4ELNS1_3repE0EEENS1_30default_config_static_selectorELNS0_4arch9wavefront6targetE1EEEvSS_
                                        ; -- End function
	.section	.AMDGPU.csdata,"",@progbits
; Kernel info:
; codeLenInByte = 0
; NumSgprs: 4
; NumVgprs: 0
; NumAgprs: 0
; TotalNumVgprs: 0
; ScratchSize: 0
; MemoryBound: 0
; FloatMode: 240
; IeeeMode: 1
; LDSByteSize: 0 bytes/workgroup (compile time only)
; SGPRBlocks: 0
; VGPRBlocks: 0
; NumSGPRsForWavesPerEU: 4
; NumVGPRsForWavesPerEU: 1
; AccumOffset: 4
; Occupancy: 8
; WaveLimiterHint : 0
; COMPUTE_PGM_RSRC2:SCRATCH_EN: 0
; COMPUTE_PGM_RSRC2:USER_SGPR: 6
; COMPUTE_PGM_RSRC2:TRAP_HANDLER: 0
; COMPUTE_PGM_RSRC2:TGID_X_EN: 1
; COMPUTE_PGM_RSRC2:TGID_Y_EN: 0
; COMPUTE_PGM_RSRC2:TGID_Z_EN: 0
; COMPUTE_PGM_RSRC2:TIDIG_COMP_CNT: 0
; COMPUTE_PGM_RSRC3_GFX90A:ACCUM_OFFSET: 0
; COMPUTE_PGM_RSRC3_GFX90A:TG_SPLIT: 0
	.section	.text._ZN7rocprim17ROCPRIM_400000_NS6detail17trampoline_kernelINS0_14default_configENS1_22reduce_config_selectorIN6thrust23THRUST_200600_302600_NS5tupleIilNS6_9null_typeES8_S8_S8_S8_S8_S8_S8_EEEEZNS1_11reduce_implILb0ES3_NS6_12zip_iteratorINS7_IPiNS6_11hip_rocprim19counting_iterator_tIlEES8_S8_S8_S8_S8_S8_S8_S8_EEEEPS9_S9_NSE_9__extrema9arg_max_fIilNS6_4lessIiEEEEEE10hipError_tPvRmT1_T2_T3_mT4_P12ihipStream_tbEUlT_E0_NS1_11comp_targetILNS1_3genE9ELNS1_11target_archE1100ELNS1_3gpuE3ELNS1_3repE0EEENS1_30default_config_static_selectorELNS0_4arch9wavefront6targetE1EEEvSS_,"axG",@progbits,_ZN7rocprim17ROCPRIM_400000_NS6detail17trampoline_kernelINS0_14default_configENS1_22reduce_config_selectorIN6thrust23THRUST_200600_302600_NS5tupleIilNS6_9null_typeES8_S8_S8_S8_S8_S8_S8_EEEEZNS1_11reduce_implILb0ES3_NS6_12zip_iteratorINS7_IPiNS6_11hip_rocprim19counting_iterator_tIlEES8_S8_S8_S8_S8_S8_S8_S8_EEEEPS9_S9_NSE_9__extrema9arg_max_fIilNS6_4lessIiEEEEEE10hipError_tPvRmT1_T2_T3_mT4_P12ihipStream_tbEUlT_E0_NS1_11comp_targetILNS1_3genE9ELNS1_11target_archE1100ELNS1_3gpuE3ELNS1_3repE0EEENS1_30default_config_static_selectorELNS0_4arch9wavefront6targetE1EEEvSS_,comdat
	.protected	_ZN7rocprim17ROCPRIM_400000_NS6detail17trampoline_kernelINS0_14default_configENS1_22reduce_config_selectorIN6thrust23THRUST_200600_302600_NS5tupleIilNS6_9null_typeES8_S8_S8_S8_S8_S8_S8_EEEEZNS1_11reduce_implILb0ES3_NS6_12zip_iteratorINS7_IPiNS6_11hip_rocprim19counting_iterator_tIlEES8_S8_S8_S8_S8_S8_S8_S8_EEEEPS9_S9_NSE_9__extrema9arg_max_fIilNS6_4lessIiEEEEEE10hipError_tPvRmT1_T2_T3_mT4_P12ihipStream_tbEUlT_E0_NS1_11comp_targetILNS1_3genE9ELNS1_11target_archE1100ELNS1_3gpuE3ELNS1_3repE0EEENS1_30default_config_static_selectorELNS0_4arch9wavefront6targetE1EEEvSS_ ; -- Begin function _ZN7rocprim17ROCPRIM_400000_NS6detail17trampoline_kernelINS0_14default_configENS1_22reduce_config_selectorIN6thrust23THRUST_200600_302600_NS5tupleIilNS6_9null_typeES8_S8_S8_S8_S8_S8_S8_EEEEZNS1_11reduce_implILb0ES3_NS6_12zip_iteratorINS7_IPiNS6_11hip_rocprim19counting_iterator_tIlEES8_S8_S8_S8_S8_S8_S8_S8_EEEEPS9_S9_NSE_9__extrema9arg_max_fIilNS6_4lessIiEEEEEE10hipError_tPvRmT1_T2_T3_mT4_P12ihipStream_tbEUlT_E0_NS1_11comp_targetILNS1_3genE9ELNS1_11target_archE1100ELNS1_3gpuE3ELNS1_3repE0EEENS1_30default_config_static_selectorELNS0_4arch9wavefront6targetE1EEEvSS_
	.globl	_ZN7rocprim17ROCPRIM_400000_NS6detail17trampoline_kernelINS0_14default_configENS1_22reduce_config_selectorIN6thrust23THRUST_200600_302600_NS5tupleIilNS6_9null_typeES8_S8_S8_S8_S8_S8_S8_EEEEZNS1_11reduce_implILb0ES3_NS6_12zip_iteratorINS7_IPiNS6_11hip_rocprim19counting_iterator_tIlEES8_S8_S8_S8_S8_S8_S8_S8_EEEEPS9_S9_NSE_9__extrema9arg_max_fIilNS6_4lessIiEEEEEE10hipError_tPvRmT1_T2_T3_mT4_P12ihipStream_tbEUlT_E0_NS1_11comp_targetILNS1_3genE9ELNS1_11target_archE1100ELNS1_3gpuE3ELNS1_3repE0EEENS1_30default_config_static_selectorELNS0_4arch9wavefront6targetE1EEEvSS_
	.p2align	8
	.type	_ZN7rocprim17ROCPRIM_400000_NS6detail17trampoline_kernelINS0_14default_configENS1_22reduce_config_selectorIN6thrust23THRUST_200600_302600_NS5tupleIilNS6_9null_typeES8_S8_S8_S8_S8_S8_S8_EEEEZNS1_11reduce_implILb0ES3_NS6_12zip_iteratorINS7_IPiNS6_11hip_rocprim19counting_iterator_tIlEES8_S8_S8_S8_S8_S8_S8_S8_EEEEPS9_S9_NSE_9__extrema9arg_max_fIilNS6_4lessIiEEEEEE10hipError_tPvRmT1_T2_T3_mT4_P12ihipStream_tbEUlT_E0_NS1_11comp_targetILNS1_3genE9ELNS1_11target_archE1100ELNS1_3gpuE3ELNS1_3repE0EEENS1_30default_config_static_selectorELNS0_4arch9wavefront6targetE1EEEvSS_,@function
_ZN7rocprim17ROCPRIM_400000_NS6detail17trampoline_kernelINS0_14default_configENS1_22reduce_config_selectorIN6thrust23THRUST_200600_302600_NS5tupleIilNS6_9null_typeES8_S8_S8_S8_S8_S8_S8_EEEEZNS1_11reduce_implILb0ES3_NS6_12zip_iteratorINS7_IPiNS6_11hip_rocprim19counting_iterator_tIlEES8_S8_S8_S8_S8_S8_S8_S8_EEEEPS9_S9_NSE_9__extrema9arg_max_fIilNS6_4lessIiEEEEEE10hipError_tPvRmT1_T2_T3_mT4_P12ihipStream_tbEUlT_E0_NS1_11comp_targetILNS1_3genE9ELNS1_11target_archE1100ELNS1_3gpuE3ELNS1_3repE0EEENS1_30default_config_static_selectorELNS0_4arch9wavefront6targetE1EEEvSS_: ; @_ZN7rocprim17ROCPRIM_400000_NS6detail17trampoline_kernelINS0_14default_configENS1_22reduce_config_selectorIN6thrust23THRUST_200600_302600_NS5tupleIilNS6_9null_typeES8_S8_S8_S8_S8_S8_S8_EEEEZNS1_11reduce_implILb0ES3_NS6_12zip_iteratorINS7_IPiNS6_11hip_rocprim19counting_iterator_tIlEES8_S8_S8_S8_S8_S8_S8_S8_EEEEPS9_S9_NSE_9__extrema9arg_max_fIilNS6_4lessIiEEEEEE10hipError_tPvRmT1_T2_T3_mT4_P12ihipStream_tbEUlT_E0_NS1_11comp_targetILNS1_3genE9ELNS1_11target_archE1100ELNS1_3gpuE3ELNS1_3repE0EEENS1_30default_config_static_selectorELNS0_4arch9wavefront6targetE1EEEvSS_
; %bb.0:
	.section	.rodata,"a",@progbits
	.p2align	6, 0x0
	.amdhsa_kernel _ZN7rocprim17ROCPRIM_400000_NS6detail17trampoline_kernelINS0_14default_configENS1_22reduce_config_selectorIN6thrust23THRUST_200600_302600_NS5tupleIilNS6_9null_typeES8_S8_S8_S8_S8_S8_S8_EEEEZNS1_11reduce_implILb0ES3_NS6_12zip_iteratorINS7_IPiNS6_11hip_rocprim19counting_iterator_tIlEES8_S8_S8_S8_S8_S8_S8_S8_EEEEPS9_S9_NSE_9__extrema9arg_max_fIilNS6_4lessIiEEEEEE10hipError_tPvRmT1_T2_T3_mT4_P12ihipStream_tbEUlT_E0_NS1_11comp_targetILNS1_3genE9ELNS1_11target_archE1100ELNS1_3gpuE3ELNS1_3repE0EEENS1_30default_config_static_selectorELNS0_4arch9wavefront6targetE1EEEvSS_
		.amdhsa_group_segment_fixed_size 0
		.amdhsa_private_segment_fixed_size 0
		.amdhsa_kernarg_size 80
		.amdhsa_user_sgpr_count 6
		.amdhsa_user_sgpr_private_segment_buffer 1
		.amdhsa_user_sgpr_dispatch_ptr 0
		.amdhsa_user_sgpr_queue_ptr 0
		.amdhsa_user_sgpr_kernarg_segment_ptr 1
		.amdhsa_user_sgpr_dispatch_id 0
		.amdhsa_user_sgpr_flat_scratch_init 0
		.amdhsa_user_sgpr_kernarg_preload_length 0
		.amdhsa_user_sgpr_kernarg_preload_offset 0
		.amdhsa_user_sgpr_private_segment_size 0
		.amdhsa_uses_dynamic_stack 0
		.amdhsa_system_sgpr_private_segment_wavefront_offset 0
		.amdhsa_system_sgpr_workgroup_id_x 1
		.amdhsa_system_sgpr_workgroup_id_y 0
		.amdhsa_system_sgpr_workgroup_id_z 0
		.amdhsa_system_sgpr_workgroup_info 0
		.amdhsa_system_vgpr_workitem_id 0
		.amdhsa_next_free_vgpr 1
		.amdhsa_next_free_sgpr 0
		.amdhsa_accum_offset 4
		.amdhsa_reserve_vcc 0
		.amdhsa_reserve_flat_scratch 0
		.amdhsa_float_round_mode_32 0
		.amdhsa_float_round_mode_16_64 0
		.amdhsa_float_denorm_mode_32 3
		.amdhsa_float_denorm_mode_16_64 3
		.amdhsa_dx10_clamp 1
		.amdhsa_ieee_mode 1
		.amdhsa_fp16_overflow 0
		.amdhsa_tg_split 0
		.amdhsa_exception_fp_ieee_invalid_op 0
		.amdhsa_exception_fp_denorm_src 0
		.amdhsa_exception_fp_ieee_div_zero 0
		.amdhsa_exception_fp_ieee_overflow 0
		.amdhsa_exception_fp_ieee_underflow 0
		.amdhsa_exception_fp_ieee_inexact 0
		.amdhsa_exception_int_div_zero 0
	.end_amdhsa_kernel
	.section	.text._ZN7rocprim17ROCPRIM_400000_NS6detail17trampoline_kernelINS0_14default_configENS1_22reduce_config_selectorIN6thrust23THRUST_200600_302600_NS5tupleIilNS6_9null_typeES8_S8_S8_S8_S8_S8_S8_EEEEZNS1_11reduce_implILb0ES3_NS6_12zip_iteratorINS7_IPiNS6_11hip_rocprim19counting_iterator_tIlEES8_S8_S8_S8_S8_S8_S8_S8_EEEEPS9_S9_NSE_9__extrema9arg_max_fIilNS6_4lessIiEEEEEE10hipError_tPvRmT1_T2_T3_mT4_P12ihipStream_tbEUlT_E0_NS1_11comp_targetILNS1_3genE9ELNS1_11target_archE1100ELNS1_3gpuE3ELNS1_3repE0EEENS1_30default_config_static_selectorELNS0_4arch9wavefront6targetE1EEEvSS_,"axG",@progbits,_ZN7rocprim17ROCPRIM_400000_NS6detail17trampoline_kernelINS0_14default_configENS1_22reduce_config_selectorIN6thrust23THRUST_200600_302600_NS5tupleIilNS6_9null_typeES8_S8_S8_S8_S8_S8_S8_EEEEZNS1_11reduce_implILb0ES3_NS6_12zip_iteratorINS7_IPiNS6_11hip_rocprim19counting_iterator_tIlEES8_S8_S8_S8_S8_S8_S8_S8_EEEEPS9_S9_NSE_9__extrema9arg_max_fIilNS6_4lessIiEEEEEE10hipError_tPvRmT1_T2_T3_mT4_P12ihipStream_tbEUlT_E0_NS1_11comp_targetILNS1_3genE9ELNS1_11target_archE1100ELNS1_3gpuE3ELNS1_3repE0EEENS1_30default_config_static_selectorELNS0_4arch9wavefront6targetE1EEEvSS_,comdat
.Lfunc_end205:
	.size	_ZN7rocprim17ROCPRIM_400000_NS6detail17trampoline_kernelINS0_14default_configENS1_22reduce_config_selectorIN6thrust23THRUST_200600_302600_NS5tupleIilNS6_9null_typeES8_S8_S8_S8_S8_S8_S8_EEEEZNS1_11reduce_implILb0ES3_NS6_12zip_iteratorINS7_IPiNS6_11hip_rocprim19counting_iterator_tIlEES8_S8_S8_S8_S8_S8_S8_S8_EEEEPS9_S9_NSE_9__extrema9arg_max_fIilNS6_4lessIiEEEEEE10hipError_tPvRmT1_T2_T3_mT4_P12ihipStream_tbEUlT_E0_NS1_11comp_targetILNS1_3genE9ELNS1_11target_archE1100ELNS1_3gpuE3ELNS1_3repE0EEENS1_30default_config_static_selectorELNS0_4arch9wavefront6targetE1EEEvSS_, .Lfunc_end205-_ZN7rocprim17ROCPRIM_400000_NS6detail17trampoline_kernelINS0_14default_configENS1_22reduce_config_selectorIN6thrust23THRUST_200600_302600_NS5tupleIilNS6_9null_typeES8_S8_S8_S8_S8_S8_S8_EEEEZNS1_11reduce_implILb0ES3_NS6_12zip_iteratorINS7_IPiNS6_11hip_rocprim19counting_iterator_tIlEES8_S8_S8_S8_S8_S8_S8_S8_EEEEPS9_S9_NSE_9__extrema9arg_max_fIilNS6_4lessIiEEEEEE10hipError_tPvRmT1_T2_T3_mT4_P12ihipStream_tbEUlT_E0_NS1_11comp_targetILNS1_3genE9ELNS1_11target_archE1100ELNS1_3gpuE3ELNS1_3repE0EEENS1_30default_config_static_selectorELNS0_4arch9wavefront6targetE1EEEvSS_
                                        ; -- End function
	.section	.AMDGPU.csdata,"",@progbits
; Kernel info:
; codeLenInByte = 0
; NumSgprs: 4
; NumVgprs: 0
; NumAgprs: 0
; TotalNumVgprs: 0
; ScratchSize: 0
; MemoryBound: 0
; FloatMode: 240
; IeeeMode: 1
; LDSByteSize: 0 bytes/workgroup (compile time only)
; SGPRBlocks: 0
; VGPRBlocks: 0
; NumSGPRsForWavesPerEU: 4
; NumVGPRsForWavesPerEU: 1
; AccumOffset: 4
; Occupancy: 8
; WaveLimiterHint : 0
; COMPUTE_PGM_RSRC2:SCRATCH_EN: 0
; COMPUTE_PGM_RSRC2:USER_SGPR: 6
; COMPUTE_PGM_RSRC2:TRAP_HANDLER: 0
; COMPUTE_PGM_RSRC2:TGID_X_EN: 1
; COMPUTE_PGM_RSRC2:TGID_Y_EN: 0
; COMPUTE_PGM_RSRC2:TGID_Z_EN: 0
; COMPUTE_PGM_RSRC2:TIDIG_COMP_CNT: 0
; COMPUTE_PGM_RSRC3_GFX90A:ACCUM_OFFSET: 0
; COMPUTE_PGM_RSRC3_GFX90A:TG_SPLIT: 0
	.section	.text._ZN7rocprim17ROCPRIM_400000_NS6detail17trampoline_kernelINS0_14default_configENS1_22reduce_config_selectorIN6thrust23THRUST_200600_302600_NS5tupleIilNS6_9null_typeES8_S8_S8_S8_S8_S8_S8_EEEEZNS1_11reduce_implILb0ES3_NS6_12zip_iteratorINS7_IPiNS6_11hip_rocprim19counting_iterator_tIlEES8_S8_S8_S8_S8_S8_S8_S8_EEEEPS9_S9_NSE_9__extrema9arg_max_fIilNS6_4lessIiEEEEEE10hipError_tPvRmT1_T2_T3_mT4_P12ihipStream_tbEUlT_E0_NS1_11comp_targetILNS1_3genE8ELNS1_11target_archE1030ELNS1_3gpuE2ELNS1_3repE0EEENS1_30default_config_static_selectorELNS0_4arch9wavefront6targetE1EEEvSS_,"axG",@progbits,_ZN7rocprim17ROCPRIM_400000_NS6detail17trampoline_kernelINS0_14default_configENS1_22reduce_config_selectorIN6thrust23THRUST_200600_302600_NS5tupleIilNS6_9null_typeES8_S8_S8_S8_S8_S8_S8_EEEEZNS1_11reduce_implILb0ES3_NS6_12zip_iteratorINS7_IPiNS6_11hip_rocprim19counting_iterator_tIlEES8_S8_S8_S8_S8_S8_S8_S8_EEEEPS9_S9_NSE_9__extrema9arg_max_fIilNS6_4lessIiEEEEEE10hipError_tPvRmT1_T2_T3_mT4_P12ihipStream_tbEUlT_E0_NS1_11comp_targetILNS1_3genE8ELNS1_11target_archE1030ELNS1_3gpuE2ELNS1_3repE0EEENS1_30default_config_static_selectorELNS0_4arch9wavefront6targetE1EEEvSS_,comdat
	.protected	_ZN7rocprim17ROCPRIM_400000_NS6detail17trampoline_kernelINS0_14default_configENS1_22reduce_config_selectorIN6thrust23THRUST_200600_302600_NS5tupleIilNS6_9null_typeES8_S8_S8_S8_S8_S8_S8_EEEEZNS1_11reduce_implILb0ES3_NS6_12zip_iteratorINS7_IPiNS6_11hip_rocprim19counting_iterator_tIlEES8_S8_S8_S8_S8_S8_S8_S8_EEEEPS9_S9_NSE_9__extrema9arg_max_fIilNS6_4lessIiEEEEEE10hipError_tPvRmT1_T2_T3_mT4_P12ihipStream_tbEUlT_E0_NS1_11comp_targetILNS1_3genE8ELNS1_11target_archE1030ELNS1_3gpuE2ELNS1_3repE0EEENS1_30default_config_static_selectorELNS0_4arch9wavefront6targetE1EEEvSS_ ; -- Begin function _ZN7rocprim17ROCPRIM_400000_NS6detail17trampoline_kernelINS0_14default_configENS1_22reduce_config_selectorIN6thrust23THRUST_200600_302600_NS5tupleIilNS6_9null_typeES8_S8_S8_S8_S8_S8_S8_EEEEZNS1_11reduce_implILb0ES3_NS6_12zip_iteratorINS7_IPiNS6_11hip_rocprim19counting_iterator_tIlEES8_S8_S8_S8_S8_S8_S8_S8_EEEEPS9_S9_NSE_9__extrema9arg_max_fIilNS6_4lessIiEEEEEE10hipError_tPvRmT1_T2_T3_mT4_P12ihipStream_tbEUlT_E0_NS1_11comp_targetILNS1_3genE8ELNS1_11target_archE1030ELNS1_3gpuE2ELNS1_3repE0EEENS1_30default_config_static_selectorELNS0_4arch9wavefront6targetE1EEEvSS_
	.globl	_ZN7rocprim17ROCPRIM_400000_NS6detail17trampoline_kernelINS0_14default_configENS1_22reduce_config_selectorIN6thrust23THRUST_200600_302600_NS5tupleIilNS6_9null_typeES8_S8_S8_S8_S8_S8_S8_EEEEZNS1_11reduce_implILb0ES3_NS6_12zip_iteratorINS7_IPiNS6_11hip_rocprim19counting_iterator_tIlEES8_S8_S8_S8_S8_S8_S8_S8_EEEEPS9_S9_NSE_9__extrema9arg_max_fIilNS6_4lessIiEEEEEE10hipError_tPvRmT1_T2_T3_mT4_P12ihipStream_tbEUlT_E0_NS1_11comp_targetILNS1_3genE8ELNS1_11target_archE1030ELNS1_3gpuE2ELNS1_3repE0EEENS1_30default_config_static_selectorELNS0_4arch9wavefront6targetE1EEEvSS_
	.p2align	8
	.type	_ZN7rocprim17ROCPRIM_400000_NS6detail17trampoline_kernelINS0_14default_configENS1_22reduce_config_selectorIN6thrust23THRUST_200600_302600_NS5tupleIilNS6_9null_typeES8_S8_S8_S8_S8_S8_S8_EEEEZNS1_11reduce_implILb0ES3_NS6_12zip_iteratorINS7_IPiNS6_11hip_rocprim19counting_iterator_tIlEES8_S8_S8_S8_S8_S8_S8_S8_EEEEPS9_S9_NSE_9__extrema9arg_max_fIilNS6_4lessIiEEEEEE10hipError_tPvRmT1_T2_T3_mT4_P12ihipStream_tbEUlT_E0_NS1_11comp_targetILNS1_3genE8ELNS1_11target_archE1030ELNS1_3gpuE2ELNS1_3repE0EEENS1_30default_config_static_selectorELNS0_4arch9wavefront6targetE1EEEvSS_,@function
_ZN7rocprim17ROCPRIM_400000_NS6detail17trampoline_kernelINS0_14default_configENS1_22reduce_config_selectorIN6thrust23THRUST_200600_302600_NS5tupleIilNS6_9null_typeES8_S8_S8_S8_S8_S8_S8_EEEEZNS1_11reduce_implILb0ES3_NS6_12zip_iteratorINS7_IPiNS6_11hip_rocprim19counting_iterator_tIlEES8_S8_S8_S8_S8_S8_S8_S8_EEEEPS9_S9_NSE_9__extrema9arg_max_fIilNS6_4lessIiEEEEEE10hipError_tPvRmT1_T2_T3_mT4_P12ihipStream_tbEUlT_E0_NS1_11comp_targetILNS1_3genE8ELNS1_11target_archE1030ELNS1_3gpuE2ELNS1_3repE0EEENS1_30default_config_static_selectorELNS0_4arch9wavefront6targetE1EEEvSS_: ; @_ZN7rocprim17ROCPRIM_400000_NS6detail17trampoline_kernelINS0_14default_configENS1_22reduce_config_selectorIN6thrust23THRUST_200600_302600_NS5tupleIilNS6_9null_typeES8_S8_S8_S8_S8_S8_S8_EEEEZNS1_11reduce_implILb0ES3_NS6_12zip_iteratorINS7_IPiNS6_11hip_rocprim19counting_iterator_tIlEES8_S8_S8_S8_S8_S8_S8_S8_EEEEPS9_S9_NSE_9__extrema9arg_max_fIilNS6_4lessIiEEEEEE10hipError_tPvRmT1_T2_T3_mT4_P12ihipStream_tbEUlT_E0_NS1_11comp_targetILNS1_3genE8ELNS1_11target_archE1030ELNS1_3gpuE2ELNS1_3repE0EEENS1_30default_config_static_selectorELNS0_4arch9wavefront6targetE1EEEvSS_
; %bb.0:
	.section	.rodata,"a",@progbits
	.p2align	6, 0x0
	.amdhsa_kernel _ZN7rocprim17ROCPRIM_400000_NS6detail17trampoline_kernelINS0_14default_configENS1_22reduce_config_selectorIN6thrust23THRUST_200600_302600_NS5tupleIilNS6_9null_typeES8_S8_S8_S8_S8_S8_S8_EEEEZNS1_11reduce_implILb0ES3_NS6_12zip_iteratorINS7_IPiNS6_11hip_rocprim19counting_iterator_tIlEES8_S8_S8_S8_S8_S8_S8_S8_EEEEPS9_S9_NSE_9__extrema9arg_max_fIilNS6_4lessIiEEEEEE10hipError_tPvRmT1_T2_T3_mT4_P12ihipStream_tbEUlT_E0_NS1_11comp_targetILNS1_3genE8ELNS1_11target_archE1030ELNS1_3gpuE2ELNS1_3repE0EEENS1_30default_config_static_selectorELNS0_4arch9wavefront6targetE1EEEvSS_
		.amdhsa_group_segment_fixed_size 0
		.amdhsa_private_segment_fixed_size 0
		.amdhsa_kernarg_size 80
		.amdhsa_user_sgpr_count 6
		.amdhsa_user_sgpr_private_segment_buffer 1
		.amdhsa_user_sgpr_dispatch_ptr 0
		.amdhsa_user_sgpr_queue_ptr 0
		.amdhsa_user_sgpr_kernarg_segment_ptr 1
		.amdhsa_user_sgpr_dispatch_id 0
		.amdhsa_user_sgpr_flat_scratch_init 0
		.amdhsa_user_sgpr_kernarg_preload_length 0
		.amdhsa_user_sgpr_kernarg_preload_offset 0
		.amdhsa_user_sgpr_private_segment_size 0
		.amdhsa_uses_dynamic_stack 0
		.amdhsa_system_sgpr_private_segment_wavefront_offset 0
		.amdhsa_system_sgpr_workgroup_id_x 1
		.amdhsa_system_sgpr_workgroup_id_y 0
		.amdhsa_system_sgpr_workgroup_id_z 0
		.amdhsa_system_sgpr_workgroup_info 0
		.amdhsa_system_vgpr_workitem_id 0
		.amdhsa_next_free_vgpr 1
		.amdhsa_next_free_sgpr 0
		.amdhsa_accum_offset 4
		.amdhsa_reserve_vcc 0
		.amdhsa_reserve_flat_scratch 0
		.amdhsa_float_round_mode_32 0
		.amdhsa_float_round_mode_16_64 0
		.amdhsa_float_denorm_mode_32 3
		.amdhsa_float_denorm_mode_16_64 3
		.amdhsa_dx10_clamp 1
		.amdhsa_ieee_mode 1
		.amdhsa_fp16_overflow 0
		.amdhsa_tg_split 0
		.amdhsa_exception_fp_ieee_invalid_op 0
		.amdhsa_exception_fp_denorm_src 0
		.amdhsa_exception_fp_ieee_div_zero 0
		.amdhsa_exception_fp_ieee_overflow 0
		.amdhsa_exception_fp_ieee_underflow 0
		.amdhsa_exception_fp_ieee_inexact 0
		.amdhsa_exception_int_div_zero 0
	.end_amdhsa_kernel
	.section	.text._ZN7rocprim17ROCPRIM_400000_NS6detail17trampoline_kernelINS0_14default_configENS1_22reduce_config_selectorIN6thrust23THRUST_200600_302600_NS5tupleIilNS6_9null_typeES8_S8_S8_S8_S8_S8_S8_EEEEZNS1_11reduce_implILb0ES3_NS6_12zip_iteratorINS7_IPiNS6_11hip_rocprim19counting_iterator_tIlEES8_S8_S8_S8_S8_S8_S8_S8_EEEEPS9_S9_NSE_9__extrema9arg_max_fIilNS6_4lessIiEEEEEE10hipError_tPvRmT1_T2_T3_mT4_P12ihipStream_tbEUlT_E0_NS1_11comp_targetILNS1_3genE8ELNS1_11target_archE1030ELNS1_3gpuE2ELNS1_3repE0EEENS1_30default_config_static_selectorELNS0_4arch9wavefront6targetE1EEEvSS_,"axG",@progbits,_ZN7rocprim17ROCPRIM_400000_NS6detail17trampoline_kernelINS0_14default_configENS1_22reduce_config_selectorIN6thrust23THRUST_200600_302600_NS5tupleIilNS6_9null_typeES8_S8_S8_S8_S8_S8_S8_EEEEZNS1_11reduce_implILb0ES3_NS6_12zip_iteratorINS7_IPiNS6_11hip_rocprim19counting_iterator_tIlEES8_S8_S8_S8_S8_S8_S8_S8_EEEEPS9_S9_NSE_9__extrema9arg_max_fIilNS6_4lessIiEEEEEE10hipError_tPvRmT1_T2_T3_mT4_P12ihipStream_tbEUlT_E0_NS1_11comp_targetILNS1_3genE8ELNS1_11target_archE1030ELNS1_3gpuE2ELNS1_3repE0EEENS1_30default_config_static_selectorELNS0_4arch9wavefront6targetE1EEEvSS_,comdat
.Lfunc_end206:
	.size	_ZN7rocprim17ROCPRIM_400000_NS6detail17trampoline_kernelINS0_14default_configENS1_22reduce_config_selectorIN6thrust23THRUST_200600_302600_NS5tupleIilNS6_9null_typeES8_S8_S8_S8_S8_S8_S8_EEEEZNS1_11reduce_implILb0ES3_NS6_12zip_iteratorINS7_IPiNS6_11hip_rocprim19counting_iterator_tIlEES8_S8_S8_S8_S8_S8_S8_S8_EEEEPS9_S9_NSE_9__extrema9arg_max_fIilNS6_4lessIiEEEEEE10hipError_tPvRmT1_T2_T3_mT4_P12ihipStream_tbEUlT_E0_NS1_11comp_targetILNS1_3genE8ELNS1_11target_archE1030ELNS1_3gpuE2ELNS1_3repE0EEENS1_30default_config_static_selectorELNS0_4arch9wavefront6targetE1EEEvSS_, .Lfunc_end206-_ZN7rocprim17ROCPRIM_400000_NS6detail17trampoline_kernelINS0_14default_configENS1_22reduce_config_selectorIN6thrust23THRUST_200600_302600_NS5tupleIilNS6_9null_typeES8_S8_S8_S8_S8_S8_S8_EEEEZNS1_11reduce_implILb0ES3_NS6_12zip_iteratorINS7_IPiNS6_11hip_rocprim19counting_iterator_tIlEES8_S8_S8_S8_S8_S8_S8_S8_EEEEPS9_S9_NSE_9__extrema9arg_max_fIilNS6_4lessIiEEEEEE10hipError_tPvRmT1_T2_T3_mT4_P12ihipStream_tbEUlT_E0_NS1_11comp_targetILNS1_3genE8ELNS1_11target_archE1030ELNS1_3gpuE2ELNS1_3repE0EEENS1_30default_config_static_selectorELNS0_4arch9wavefront6targetE1EEEvSS_
                                        ; -- End function
	.section	.AMDGPU.csdata,"",@progbits
; Kernel info:
; codeLenInByte = 0
; NumSgprs: 4
; NumVgprs: 0
; NumAgprs: 0
; TotalNumVgprs: 0
; ScratchSize: 0
; MemoryBound: 0
; FloatMode: 240
; IeeeMode: 1
; LDSByteSize: 0 bytes/workgroup (compile time only)
; SGPRBlocks: 0
; VGPRBlocks: 0
; NumSGPRsForWavesPerEU: 4
; NumVGPRsForWavesPerEU: 1
; AccumOffset: 4
; Occupancy: 8
; WaveLimiterHint : 0
; COMPUTE_PGM_RSRC2:SCRATCH_EN: 0
; COMPUTE_PGM_RSRC2:USER_SGPR: 6
; COMPUTE_PGM_RSRC2:TRAP_HANDLER: 0
; COMPUTE_PGM_RSRC2:TGID_X_EN: 1
; COMPUTE_PGM_RSRC2:TGID_Y_EN: 0
; COMPUTE_PGM_RSRC2:TGID_Z_EN: 0
; COMPUTE_PGM_RSRC2:TIDIG_COMP_CNT: 0
; COMPUTE_PGM_RSRC3_GFX90A:ACCUM_OFFSET: 0
; COMPUTE_PGM_RSRC3_GFX90A:TG_SPLIT: 0
	.section	.text._ZN7rocprim17ROCPRIM_400000_NS6detail17trampoline_kernelINS0_14default_configENS1_22reduce_config_selectorIN6thrust23THRUST_200600_302600_NS5tupleIilNS6_9null_typeES8_S8_S8_S8_S8_S8_S8_EEEEZNS1_11reduce_implILb0ES3_NS6_12zip_iteratorINS7_IPiNS6_11hip_rocprim19counting_iterator_tIlEES8_S8_S8_S8_S8_S8_S8_S8_EEEEPS9_S9_NSE_9__extrema9arg_max_fIilNS6_4lessIiEEEEEE10hipError_tPvRmT1_T2_T3_mT4_P12ihipStream_tbEUlT_E1_NS1_11comp_targetILNS1_3genE0ELNS1_11target_archE4294967295ELNS1_3gpuE0ELNS1_3repE0EEENS1_30default_config_static_selectorELNS0_4arch9wavefront6targetE1EEEvSS_,"axG",@progbits,_ZN7rocprim17ROCPRIM_400000_NS6detail17trampoline_kernelINS0_14default_configENS1_22reduce_config_selectorIN6thrust23THRUST_200600_302600_NS5tupleIilNS6_9null_typeES8_S8_S8_S8_S8_S8_S8_EEEEZNS1_11reduce_implILb0ES3_NS6_12zip_iteratorINS7_IPiNS6_11hip_rocprim19counting_iterator_tIlEES8_S8_S8_S8_S8_S8_S8_S8_EEEEPS9_S9_NSE_9__extrema9arg_max_fIilNS6_4lessIiEEEEEE10hipError_tPvRmT1_T2_T3_mT4_P12ihipStream_tbEUlT_E1_NS1_11comp_targetILNS1_3genE0ELNS1_11target_archE4294967295ELNS1_3gpuE0ELNS1_3repE0EEENS1_30default_config_static_selectorELNS0_4arch9wavefront6targetE1EEEvSS_,comdat
	.protected	_ZN7rocprim17ROCPRIM_400000_NS6detail17trampoline_kernelINS0_14default_configENS1_22reduce_config_selectorIN6thrust23THRUST_200600_302600_NS5tupleIilNS6_9null_typeES8_S8_S8_S8_S8_S8_S8_EEEEZNS1_11reduce_implILb0ES3_NS6_12zip_iteratorINS7_IPiNS6_11hip_rocprim19counting_iterator_tIlEES8_S8_S8_S8_S8_S8_S8_S8_EEEEPS9_S9_NSE_9__extrema9arg_max_fIilNS6_4lessIiEEEEEE10hipError_tPvRmT1_T2_T3_mT4_P12ihipStream_tbEUlT_E1_NS1_11comp_targetILNS1_3genE0ELNS1_11target_archE4294967295ELNS1_3gpuE0ELNS1_3repE0EEENS1_30default_config_static_selectorELNS0_4arch9wavefront6targetE1EEEvSS_ ; -- Begin function _ZN7rocprim17ROCPRIM_400000_NS6detail17trampoline_kernelINS0_14default_configENS1_22reduce_config_selectorIN6thrust23THRUST_200600_302600_NS5tupleIilNS6_9null_typeES8_S8_S8_S8_S8_S8_S8_EEEEZNS1_11reduce_implILb0ES3_NS6_12zip_iteratorINS7_IPiNS6_11hip_rocprim19counting_iterator_tIlEES8_S8_S8_S8_S8_S8_S8_S8_EEEEPS9_S9_NSE_9__extrema9arg_max_fIilNS6_4lessIiEEEEEE10hipError_tPvRmT1_T2_T3_mT4_P12ihipStream_tbEUlT_E1_NS1_11comp_targetILNS1_3genE0ELNS1_11target_archE4294967295ELNS1_3gpuE0ELNS1_3repE0EEENS1_30default_config_static_selectorELNS0_4arch9wavefront6targetE1EEEvSS_
	.globl	_ZN7rocprim17ROCPRIM_400000_NS6detail17trampoline_kernelINS0_14default_configENS1_22reduce_config_selectorIN6thrust23THRUST_200600_302600_NS5tupleIilNS6_9null_typeES8_S8_S8_S8_S8_S8_S8_EEEEZNS1_11reduce_implILb0ES3_NS6_12zip_iteratorINS7_IPiNS6_11hip_rocprim19counting_iterator_tIlEES8_S8_S8_S8_S8_S8_S8_S8_EEEEPS9_S9_NSE_9__extrema9arg_max_fIilNS6_4lessIiEEEEEE10hipError_tPvRmT1_T2_T3_mT4_P12ihipStream_tbEUlT_E1_NS1_11comp_targetILNS1_3genE0ELNS1_11target_archE4294967295ELNS1_3gpuE0ELNS1_3repE0EEENS1_30default_config_static_selectorELNS0_4arch9wavefront6targetE1EEEvSS_
	.p2align	8
	.type	_ZN7rocprim17ROCPRIM_400000_NS6detail17trampoline_kernelINS0_14default_configENS1_22reduce_config_selectorIN6thrust23THRUST_200600_302600_NS5tupleIilNS6_9null_typeES8_S8_S8_S8_S8_S8_S8_EEEEZNS1_11reduce_implILb0ES3_NS6_12zip_iteratorINS7_IPiNS6_11hip_rocprim19counting_iterator_tIlEES8_S8_S8_S8_S8_S8_S8_S8_EEEEPS9_S9_NSE_9__extrema9arg_max_fIilNS6_4lessIiEEEEEE10hipError_tPvRmT1_T2_T3_mT4_P12ihipStream_tbEUlT_E1_NS1_11comp_targetILNS1_3genE0ELNS1_11target_archE4294967295ELNS1_3gpuE0ELNS1_3repE0EEENS1_30default_config_static_selectorELNS0_4arch9wavefront6targetE1EEEvSS_,@function
_ZN7rocprim17ROCPRIM_400000_NS6detail17trampoline_kernelINS0_14default_configENS1_22reduce_config_selectorIN6thrust23THRUST_200600_302600_NS5tupleIilNS6_9null_typeES8_S8_S8_S8_S8_S8_S8_EEEEZNS1_11reduce_implILb0ES3_NS6_12zip_iteratorINS7_IPiNS6_11hip_rocprim19counting_iterator_tIlEES8_S8_S8_S8_S8_S8_S8_S8_EEEEPS9_S9_NSE_9__extrema9arg_max_fIilNS6_4lessIiEEEEEE10hipError_tPvRmT1_T2_T3_mT4_P12ihipStream_tbEUlT_E1_NS1_11comp_targetILNS1_3genE0ELNS1_11target_archE4294967295ELNS1_3gpuE0ELNS1_3repE0EEENS1_30default_config_static_selectorELNS0_4arch9wavefront6targetE1EEEvSS_: ; @_ZN7rocprim17ROCPRIM_400000_NS6detail17trampoline_kernelINS0_14default_configENS1_22reduce_config_selectorIN6thrust23THRUST_200600_302600_NS5tupleIilNS6_9null_typeES8_S8_S8_S8_S8_S8_S8_EEEEZNS1_11reduce_implILb0ES3_NS6_12zip_iteratorINS7_IPiNS6_11hip_rocprim19counting_iterator_tIlEES8_S8_S8_S8_S8_S8_S8_S8_EEEEPS9_S9_NSE_9__extrema9arg_max_fIilNS6_4lessIiEEEEEE10hipError_tPvRmT1_T2_T3_mT4_P12ihipStream_tbEUlT_E1_NS1_11comp_targetILNS1_3genE0ELNS1_11target_archE4294967295ELNS1_3gpuE0ELNS1_3repE0EEENS1_30default_config_static_selectorELNS0_4arch9wavefront6targetE1EEEvSS_
; %bb.0:
	.section	.rodata,"a",@progbits
	.p2align	6, 0x0
	.amdhsa_kernel _ZN7rocprim17ROCPRIM_400000_NS6detail17trampoline_kernelINS0_14default_configENS1_22reduce_config_selectorIN6thrust23THRUST_200600_302600_NS5tupleIilNS6_9null_typeES8_S8_S8_S8_S8_S8_S8_EEEEZNS1_11reduce_implILb0ES3_NS6_12zip_iteratorINS7_IPiNS6_11hip_rocprim19counting_iterator_tIlEES8_S8_S8_S8_S8_S8_S8_S8_EEEEPS9_S9_NSE_9__extrema9arg_max_fIilNS6_4lessIiEEEEEE10hipError_tPvRmT1_T2_T3_mT4_P12ihipStream_tbEUlT_E1_NS1_11comp_targetILNS1_3genE0ELNS1_11target_archE4294967295ELNS1_3gpuE0ELNS1_3repE0EEENS1_30default_config_static_selectorELNS0_4arch9wavefront6targetE1EEEvSS_
		.amdhsa_group_segment_fixed_size 0
		.amdhsa_private_segment_fixed_size 0
		.amdhsa_kernarg_size 64
		.amdhsa_user_sgpr_count 6
		.amdhsa_user_sgpr_private_segment_buffer 1
		.amdhsa_user_sgpr_dispatch_ptr 0
		.amdhsa_user_sgpr_queue_ptr 0
		.amdhsa_user_sgpr_kernarg_segment_ptr 1
		.amdhsa_user_sgpr_dispatch_id 0
		.amdhsa_user_sgpr_flat_scratch_init 0
		.amdhsa_user_sgpr_kernarg_preload_length 0
		.amdhsa_user_sgpr_kernarg_preload_offset 0
		.amdhsa_user_sgpr_private_segment_size 0
		.amdhsa_uses_dynamic_stack 0
		.amdhsa_system_sgpr_private_segment_wavefront_offset 0
		.amdhsa_system_sgpr_workgroup_id_x 1
		.amdhsa_system_sgpr_workgroup_id_y 0
		.amdhsa_system_sgpr_workgroup_id_z 0
		.amdhsa_system_sgpr_workgroup_info 0
		.amdhsa_system_vgpr_workitem_id 0
		.amdhsa_next_free_vgpr 1
		.amdhsa_next_free_sgpr 0
		.amdhsa_accum_offset 4
		.amdhsa_reserve_vcc 0
		.amdhsa_reserve_flat_scratch 0
		.amdhsa_float_round_mode_32 0
		.amdhsa_float_round_mode_16_64 0
		.amdhsa_float_denorm_mode_32 3
		.amdhsa_float_denorm_mode_16_64 3
		.amdhsa_dx10_clamp 1
		.amdhsa_ieee_mode 1
		.amdhsa_fp16_overflow 0
		.amdhsa_tg_split 0
		.amdhsa_exception_fp_ieee_invalid_op 0
		.amdhsa_exception_fp_denorm_src 0
		.amdhsa_exception_fp_ieee_div_zero 0
		.amdhsa_exception_fp_ieee_overflow 0
		.amdhsa_exception_fp_ieee_underflow 0
		.amdhsa_exception_fp_ieee_inexact 0
		.amdhsa_exception_int_div_zero 0
	.end_amdhsa_kernel
	.section	.text._ZN7rocprim17ROCPRIM_400000_NS6detail17trampoline_kernelINS0_14default_configENS1_22reduce_config_selectorIN6thrust23THRUST_200600_302600_NS5tupleIilNS6_9null_typeES8_S8_S8_S8_S8_S8_S8_EEEEZNS1_11reduce_implILb0ES3_NS6_12zip_iteratorINS7_IPiNS6_11hip_rocprim19counting_iterator_tIlEES8_S8_S8_S8_S8_S8_S8_S8_EEEEPS9_S9_NSE_9__extrema9arg_max_fIilNS6_4lessIiEEEEEE10hipError_tPvRmT1_T2_T3_mT4_P12ihipStream_tbEUlT_E1_NS1_11comp_targetILNS1_3genE0ELNS1_11target_archE4294967295ELNS1_3gpuE0ELNS1_3repE0EEENS1_30default_config_static_selectorELNS0_4arch9wavefront6targetE1EEEvSS_,"axG",@progbits,_ZN7rocprim17ROCPRIM_400000_NS6detail17trampoline_kernelINS0_14default_configENS1_22reduce_config_selectorIN6thrust23THRUST_200600_302600_NS5tupleIilNS6_9null_typeES8_S8_S8_S8_S8_S8_S8_EEEEZNS1_11reduce_implILb0ES3_NS6_12zip_iteratorINS7_IPiNS6_11hip_rocprim19counting_iterator_tIlEES8_S8_S8_S8_S8_S8_S8_S8_EEEEPS9_S9_NSE_9__extrema9arg_max_fIilNS6_4lessIiEEEEEE10hipError_tPvRmT1_T2_T3_mT4_P12ihipStream_tbEUlT_E1_NS1_11comp_targetILNS1_3genE0ELNS1_11target_archE4294967295ELNS1_3gpuE0ELNS1_3repE0EEENS1_30default_config_static_selectorELNS0_4arch9wavefront6targetE1EEEvSS_,comdat
.Lfunc_end207:
	.size	_ZN7rocprim17ROCPRIM_400000_NS6detail17trampoline_kernelINS0_14default_configENS1_22reduce_config_selectorIN6thrust23THRUST_200600_302600_NS5tupleIilNS6_9null_typeES8_S8_S8_S8_S8_S8_S8_EEEEZNS1_11reduce_implILb0ES3_NS6_12zip_iteratorINS7_IPiNS6_11hip_rocprim19counting_iterator_tIlEES8_S8_S8_S8_S8_S8_S8_S8_EEEEPS9_S9_NSE_9__extrema9arg_max_fIilNS6_4lessIiEEEEEE10hipError_tPvRmT1_T2_T3_mT4_P12ihipStream_tbEUlT_E1_NS1_11comp_targetILNS1_3genE0ELNS1_11target_archE4294967295ELNS1_3gpuE0ELNS1_3repE0EEENS1_30default_config_static_selectorELNS0_4arch9wavefront6targetE1EEEvSS_, .Lfunc_end207-_ZN7rocprim17ROCPRIM_400000_NS6detail17trampoline_kernelINS0_14default_configENS1_22reduce_config_selectorIN6thrust23THRUST_200600_302600_NS5tupleIilNS6_9null_typeES8_S8_S8_S8_S8_S8_S8_EEEEZNS1_11reduce_implILb0ES3_NS6_12zip_iteratorINS7_IPiNS6_11hip_rocprim19counting_iterator_tIlEES8_S8_S8_S8_S8_S8_S8_S8_EEEEPS9_S9_NSE_9__extrema9arg_max_fIilNS6_4lessIiEEEEEE10hipError_tPvRmT1_T2_T3_mT4_P12ihipStream_tbEUlT_E1_NS1_11comp_targetILNS1_3genE0ELNS1_11target_archE4294967295ELNS1_3gpuE0ELNS1_3repE0EEENS1_30default_config_static_selectorELNS0_4arch9wavefront6targetE1EEEvSS_
                                        ; -- End function
	.section	.AMDGPU.csdata,"",@progbits
; Kernel info:
; codeLenInByte = 0
; NumSgprs: 4
; NumVgprs: 0
; NumAgprs: 0
; TotalNumVgprs: 0
; ScratchSize: 0
; MemoryBound: 0
; FloatMode: 240
; IeeeMode: 1
; LDSByteSize: 0 bytes/workgroup (compile time only)
; SGPRBlocks: 0
; VGPRBlocks: 0
; NumSGPRsForWavesPerEU: 4
; NumVGPRsForWavesPerEU: 1
; AccumOffset: 4
; Occupancy: 8
; WaveLimiterHint : 0
; COMPUTE_PGM_RSRC2:SCRATCH_EN: 0
; COMPUTE_PGM_RSRC2:USER_SGPR: 6
; COMPUTE_PGM_RSRC2:TRAP_HANDLER: 0
; COMPUTE_PGM_RSRC2:TGID_X_EN: 1
; COMPUTE_PGM_RSRC2:TGID_Y_EN: 0
; COMPUTE_PGM_RSRC2:TGID_Z_EN: 0
; COMPUTE_PGM_RSRC2:TIDIG_COMP_CNT: 0
; COMPUTE_PGM_RSRC3_GFX90A:ACCUM_OFFSET: 0
; COMPUTE_PGM_RSRC3_GFX90A:TG_SPLIT: 0
	.section	.text._ZN7rocprim17ROCPRIM_400000_NS6detail17trampoline_kernelINS0_14default_configENS1_22reduce_config_selectorIN6thrust23THRUST_200600_302600_NS5tupleIilNS6_9null_typeES8_S8_S8_S8_S8_S8_S8_EEEEZNS1_11reduce_implILb0ES3_NS6_12zip_iteratorINS7_IPiNS6_11hip_rocprim19counting_iterator_tIlEES8_S8_S8_S8_S8_S8_S8_S8_EEEEPS9_S9_NSE_9__extrema9arg_max_fIilNS6_4lessIiEEEEEE10hipError_tPvRmT1_T2_T3_mT4_P12ihipStream_tbEUlT_E1_NS1_11comp_targetILNS1_3genE5ELNS1_11target_archE942ELNS1_3gpuE9ELNS1_3repE0EEENS1_30default_config_static_selectorELNS0_4arch9wavefront6targetE1EEEvSS_,"axG",@progbits,_ZN7rocprim17ROCPRIM_400000_NS6detail17trampoline_kernelINS0_14default_configENS1_22reduce_config_selectorIN6thrust23THRUST_200600_302600_NS5tupleIilNS6_9null_typeES8_S8_S8_S8_S8_S8_S8_EEEEZNS1_11reduce_implILb0ES3_NS6_12zip_iteratorINS7_IPiNS6_11hip_rocprim19counting_iterator_tIlEES8_S8_S8_S8_S8_S8_S8_S8_EEEEPS9_S9_NSE_9__extrema9arg_max_fIilNS6_4lessIiEEEEEE10hipError_tPvRmT1_T2_T3_mT4_P12ihipStream_tbEUlT_E1_NS1_11comp_targetILNS1_3genE5ELNS1_11target_archE942ELNS1_3gpuE9ELNS1_3repE0EEENS1_30default_config_static_selectorELNS0_4arch9wavefront6targetE1EEEvSS_,comdat
	.protected	_ZN7rocprim17ROCPRIM_400000_NS6detail17trampoline_kernelINS0_14default_configENS1_22reduce_config_selectorIN6thrust23THRUST_200600_302600_NS5tupleIilNS6_9null_typeES8_S8_S8_S8_S8_S8_S8_EEEEZNS1_11reduce_implILb0ES3_NS6_12zip_iteratorINS7_IPiNS6_11hip_rocprim19counting_iterator_tIlEES8_S8_S8_S8_S8_S8_S8_S8_EEEEPS9_S9_NSE_9__extrema9arg_max_fIilNS6_4lessIiEEEEEE10hipError_tPvRmT1_T2_T3_mT4_P12ihipStream_tbEUlT_E1_NS1_11comp_targetILNS1_3genE5ELNS1_11target_archE942ELNS1_3gpuE9ELNS1_3repE0EEENS1_30default_config_static_selectorELNS0_4arch9wavefront6targetE1EEEvSS_ ; -- Begin function _ZN7rocprim17ROCPRIM_400000_NS6detail17trampoline_kernelINS0_14default_configENS1_22reduce_config_selectorIN6thrust23THRUST_200600_302600_NS5tupleIilNS6_9null_typeES8_S8_S8_S8_S8_S8_S8_EEEEZNS1_11reduce_implILb0ES3_NS6_12zip_iteratorINS7_IPiNS6_11hip_rocprim19counting_iterator_tIlEES8_S8_S8_S8_S8_S8_S8_S8_EEEEPS9_S9_NSE_9__extrema9arg_max_fIilNS6_4lessIiEEEEEE10hipError_tPvRmT1_T2_T3_mT4_P12ihipStream_tbEUlT_E1_NS1_11comp_targetILNS1_3genE5ELNS1_11target_archE942ELNS1_3gpuE9ELNS1_3repE0EEENS1_30default_config_static_selectorELNS0_4arch9wavefront6targetE1EEEvSS_
	.globl	_ZN7rocprim17ROCPRIM_400000_NS6detail17trampoline_kernelINS0_14default_configENS1_22reduce_config_selectorIN6thrust23THRUST_200600_302600_NS5tupleIilNS6_9null_typeES8_S8_S8_S8_S8_S8_S8_EEEEZNS1_11reduce_implILb0ES3_NS6_12zip_iteratorINS7_IPiNS6_11hip_rocprim19counting_iterator_tIlEES8_S8_S8_S8_S8_S8_S8_S8_EEEEPS9_S9_NSE_9__extrema9arg_max_fIilNS6_4lessIiEEEEEE10hipError_tPvRmT1_T2_T3_mT4_P12ihipStream_tbEUlT_E1_NS1_11comp_targetILNS1_3genE5ELNS1_11target_archE942ELNS1_3gpuE9ELNS1_3repE0EEENS1_30default_config_static_selectorELNS0_4arch9wavefront6targetE1EEEvSS_
	.p2align	8
	.type	_ZN7rocprim17ROCPRIM_400000_NS6detail17trampoline_kernelINS0_14default_configENS1_22reduce_config_selectorIN6thrust23THRUST_200600_302600_NS5tupleIilNS6_9null_typeES8_S8_S8_S8_S8_S8_S8_EEEEZNS1_11reduce_implILb0ES3_NS6_12zip_iteratorINS7_IPiNS6_11hip_rocprim19counting_iterator_tIlEES8_S8_S8_S8_S8_S8_S8_S8_EEEEPS9_S9_NSE_9__extrema9arg_max_fIilNS6_4lessIiEEEEEE10hipError_tPvRmT1_T2_T3_mT4_P12ihipStream_tbEUlT_E1_NS1_11comp_targetILNS1_3genE5ELNS1_11target_archE942ELNS1_3gpuE9ELNS1_3repE0EEENS1_30default_config_static_selectorELNS0_4arch9wavefront6targetE1EEEvSS_,@function
_ZN7rocprim17ROCPRIM_400000_NS6detail17trampoline_kernelINS0_14default_configENS1_22reduce_config_selectorIN6thrust23THRUST_200600_302600_NS5tupleIilNS6_9null_typeES8_S8_S8_S8_S8_S8_S8_EEEEZNS1_11reduce_implILb0ES3_NS6_12zip_iteratorINS7_IPiNS6_11hip_rocprim19counting_iterator_tIlEES8_S8_S8_S8_S8_S8_S8_S8_EEEEPS9_S9_NSE_9__extrema9arg_max_fIilNS6_4lessIiEEEEEE10hipError_tPvRmT1_T2_T3_mT4_P12ihipStream_tbEUlT_E1_NS1_11comp_targetILNS1_3genE5ELNS1_11target_archE942ELNS1_3gpuE9ELNS1_3repE0EEENS1_30default_config_static_selectorELNS0_4arch9wavefront6targetE1EEEvSS_: ; @_ZN7rocprim17ROCPRIM_400000_NS6detail17trampoline_kernelINS0_14default_configENS1_22reduce_config_selectorIN6thrust23THRUST_200600_302600_NS5tupleIilNS6_9null_typeES8_S8_S8_S8_S8_S8_S8_EEEEZNS1_11reduce_implILb0ES3_NS6_12zip_iteratorINS7_IPiNS6_11hip_rocprim19counting_iterator_tIlEES8_S8_S8_S8_S8_S8_S8_S8_EEEEPS9_S9_NSE_9__extrema9arg_max_fIilNS6_4lessIiEEEEEE10hipError_tPvRmT1_T2_T3_mT4_P12ihipStream_tbEUlT_E1_NS1_11comp_targetILNS1_3genE5ELNS1_11target_archE942ELNS1_3gpuE9ELNS1_3repE0EEENS1_30default_config_static_selectorELNS0_4arch9wavefront6targetE1EEEvSS_
; %bb.0:
	.section	.rodata,"a",@progbits
	.p2align	6, 0x0
	.amdhsa_kernel _ZN7rocprim17ROCPRIM_400000_NS6detail17trampoline_kernelINS0_14default_configENS1_22reduce_config_selectorIN6thrust23THRUST_200600_302600_NS5tupleIilNS6_9null_typeES8_S8_S8_S8_S8_S8_S8_EEEEZNS1_11reduce_implILb0ES3_NS6_12zip_iteratorINS7_IPiNS6_11hip_rocprim19counting_iterator_tIlEES8_S8_S8_S8_S8_S8_S8_S8_EEEEPS9_S9_NSE_9__extrema9arg_max_fIilNS6_4lessIiEEEEEE10hipError_tPvRmT1_T2_T3_mT4_P12ihipStream_tbEUlT_E1_NS1_11comp_targetILNS1_3genE5ELNS1_11target_archE942ELNS1_3gpuE9ELNS1_3repE0EEENS1_30default_config_static_selectorELNS0_4arch9wavefront6targetE1EEEvSS_
		.amdhsa_group_segment_fixed_size 0
		.amdhsa_private_segment_fixed_size 0
		.amdhsa_kernarg_size 64
		.amdhsa_user_sgpr_count 6
		.amdhsa_user_sgpr_private_segment_buffer 1
		.amdhsa_user_sgpr_dispatch_ptr 0
		.amdhsa_user_sgpr_queue_ptr 0
		.amdhsa_user_sgpr_kernarg_segment_ptr 1
		.amdhsa_user_sgpr_dispatch_id 0
		.amdhsa_user_sgpr_flat_scratch_init 0
		.amdhsa_user_sgpr_kernarg_preload_length 0
		.amdhsa_user_sgpr_kernarg_preload_offset 0
		.amdhsa_user_sgpr_private_segment_size 0
		.amdhsa_uses_dynamic_stack 0
		.amdhsa_system_sgpr_private_segment_wavefront_offset 0
		.amdhsa_system_sgpr_workgroup_id_x 1
		.amdhsa_system_sgpr_workgroup_id_y 0
		.amdhsa_system_sgpr_workgroup_id_z 0
		.amdhsa_system_sgpr_workgroup_info 0
		.amdhsa_system_vgpr_workitem_id 0
		.amdhsa_next_free_vgpr 1
		.amdhsa_next_free_sgpr 0
		.amdhsa_accum_offset 4
		.amdhsa_reserve_vcc 0
		.amdhsa_reserve_flat_scratch 0
		.amdhsa_float_round_mode_32 0
		.amdhsa_float_round_mode_16_64 0
		.amdhsa_float_denorm_mode_32 3
		.amdhsa_float_denorm_mode_16_64 3
		.amdhsa_dx10_clamp 1
		.amdhsa_ieee_mode 1
		.amdhsa_fp16_overflow 0
		.amdhsa_tg_split 0
		.amdhsa_exception_fp_ieee_invalid_op 0
		.amdhsa_exception_fp_denorm_src 0
		.amdhsa_exception_fp_ieee_div_zero 0
		.amdhsa_exception_fp_ieee_overflow 0
		.amdhsa_exception_fp_ieee_underflow 0
		.amdhsa_exception_fp_ieee_inexact 0
		.amdhsa_exception_int_div_zero 0
	.end_amdhsa_kernel
	.section	.text._ZN7rocprim17ROCPRIM_400000_NS6detail17trampoline_kernelINS0_14default_configENS1_22reduce_config_selectorIN6thrust23THRUST_200600_302600_NS5tupleIilNS6_9null_typeES8_S8_S8_S8_S8_S8_S8_EEEEZNS1_11reduce_implILb0ES3_NS6_12zip_iteratorINS7_IPiNS6_11hip_rocprim19counting_iterator_tIlEES8_S8_S8_S8_S8_S8_S8_S8_EEEEPS9_S9_NSE_9__extrema9arg_max_fIilNS6_4lessIiEEEEEE10hipError_tPvRmT1_T2_T3_mT4_P12ihipStream_tbEUlT_E1_NS1_11comp_targetILNS1_3genE5ELNS1_11target_archE942ELNS1_3gpuE9ELNS1_3repE0EEENS1_30default_config_static_selectorELNS0_4arch9wavefront6targetE1EEEvSS_,"axG",@progbits,_ZN7rocprim17ROCPRIM_400000_NS6detail17trampoline_kernelINS0_14default_configENS1_22reduce_config_selectorIN6thrust23THRUST_200600_302600_NS5tupleIilNS6_9null_typeES8_S8_S8_S8_S8_S8_S8_EEEEZNS1_11reduce_implILb0ES3_NS6_12zip_iteratorINS7_IPiNS6_11hip_rocprim19counting_iterator_tIlEES8_S8_S8_S8_S8_S8_S8_S8_EEEEPS9_S9_NSE_9__extrema9arg_max_fIilNS6_4lessIiEEEEEE10hipError_tPvRmT1_T2_T3_mT4_P12ihipStream_tbEUlT_E1_NS1_11comp_targetILNS1_3genE5ELNS1_11target_archE942ELNS1_3gpuE9ELNS1_3repE0EEENS1_30default_config_static_selectorELNS0_4arch9wavefront6targetE1EEEvSS_,comdat
.Lfunc_end208:
	.size	_ZN7rocprim17ROCPRIM_400000_NS6detail17trampoline_kernelINS0_14default_configENS1_22reduce_config_selectorIN6thrust23THRUST_200600_302600_NS5tupleIilNS6_9null_typeES8_S8_S8_S8_S8_S8_S8_EEEEZNS1_11reduce_implILb0ES3_NS6_12zip_iteratorINS7_IPiNS6_11hip_rocprim19counting_iterator_tIlEES8_S8_S8_S8_S8_S8_S8_S8_EEEEPS9_S9_NSE_9__extrema9arg_max_fIilNS6_4lessIiEEEEEE10hipError_tPvRmT1_T2_T3_mT4_P12ihipStream_tbEUlT_E1_NS1_11comp_targetILNS1_3genE5ELNS1_11target_archE942ELNS1_3gpuE9ELNS1_3repE0EEENS1_30default_config_static_selectorELNS0_4arch9wavefront6targetE1EEEvSS_, .Lfunc_end208-_ZN7rocprim17ROCPRIM_400000_NS6detail17trampoline_kernelINS0_14default_configENS1_22reduce_config_selectorIN6thrust23THRUST_200600_302600_NS5tupleIilNS6_9null_typeES8_S8_S8_S8_S8_S8_S8_EEEEZNS1_11reduce_implILb0ES3_NS6_12zip_iteratorINS7_IPiNS6_11hip_rocprim19counting_iterator_tIlEES8_S8_S8_S8_S8_S8_S8_S8_EEEEPS9_S9_NSE_9__extrema9arg_max_fIilNS6_4lessIiEEEEEE10hipError_tPvRmT1_T2_T3_mT4_P12ihipStream_tbEUlT_E1_NS1_11comp_targetILNS1_3genE5ELNS1_11target_archE942ELNS1_3gpuE9ELNS1_3repE0EEENS1_30default_config_static_selectorELNS0_4arch9wavefront6targetE1EEEvSS_
                                        ; -- End function
	.section	.AMDGPU.csdata,"",@progbits
; Kernel info:
; codeLenInByte = 0
; NumSgprs: 4
; NumVgprs: 0
; NumAgprs: 0
; TotalNumVgprs: 0
; ScratchSize: 0
; MemoryBound: 0
; FloatMode: 240
; IeeeMode: 1
; LDSByteSize: 0 bytes/workgroup (compile time only)
; SGPRBlocks: 0
; VGPRBlocks: 0
; NumSGPRsForWavesPerEU: 4
; NumVGPRsForWavesPerEU: 1
; AccumOffset: 4
; Occupancy: 8
; WaveLimiterHint : 0
; COMPUTE_PGM_RSRC2:SCRATCH_EN: 0
; COMPUTE_PGM_RSRC2:USER_SGPR: 6
; COMPUTE_PGM_RSRC2:TRAP_HANDLER: 0
; COMPUTE_PGM_RSRC2:TGID_X_EN: 1
; COMPUTE_PGM_RSRC2:TGID_Y_EN: 0
; COMPUTE_PGM_RSRC2:TGID_Z_EN: 0
; COMPUTE_PGM_RSRC2:TIDIG_COMP_CNT: 0
; COMPUTE_PGM_RSRC3_GFX90A:ACCUM_OFFSET: 0
; COMPUTE_PGM_RSRC3_GFX90A:TG_SPLIT: 0
	.section	.text._ZN7rocprim17ROCPRIM_400000_NS6detail17trampoline_kernelINS0_14default_configENS1_22reduce_config_selectorIN6thrust23THRUST_200600_302600_NS5tupleIilNS6_9null_typeES8_S8_S8_S8_S8_S8_S8_EEEEZNS1_11reduce_implILb0ES3_NS6_12zip_iteratorINS7_IPiNS6_11hip_rocprim19counting_iterator_tIlEES8_S8_S8_S8_S8_S8_S8_S8_EEEEPS9_S9_NSE_9__extrema9arg_max_fIilNS6_4lessIiEEEEEE10hipError_tPvRmT1_T2_T3_mT4_P12ihipStream_tbEUlT_E1_NS1_11comp_targetILNS1_3genE4ELNS1_11target_archE910ELNS1_3gpuE8ELNS1_3repE0EEENS1_30default_config_static_selectorELNS0_4arch9wavefront6targetE1EEEvSS_,"axG",@progbits,_ZN7rocprim17ROCPRIM_400000_NS6detail17trampoline_kernelINS0_14default_configENS1_22reduce_config_selectorIN6thrust23THRUST_200600_302600_NS5tupleIilNS6_9null_typeES8_S8_S8_S8_S8_S8_S8_EEEEZNS1_11reduce_implILb0ES3_NS6_12zip_iteratorINS7_IPiNS6_11hip_rocprim19counting_iterator_tIlEES8_S8_S8_S8_S8_S8_S8_S8_EEEEPS9_S9_NSE_9__extrema9arg_max_fIilNS6_4lessIiEEEEEE10hipError_tPvRmT1_T2_T3_mT4_P12ihipStream_tbEUlT_E1_NS1_11comp_targetILNS1_3genE4ELNS1_11target_archE910ELNS1_3gpuE8ELNS1_3repE0EEENS1_30default_config_static_selectorELNS0_4arch9wavefront6targetE1EEEvSS_,comdat
	.protected	_ZN7rocprim17ROCPRIM_400000_NS6detail17trampoline_kernelINS0_14default_configENS1_22reduce_config_selectorIN6thrust23THRUST_200600_302600_NS5tupleIilNS6_9null_typeES8_S8_S8_S8_S8_S8_S8_EEEEZNS1_11reduce_implILb0ES3_NS6_12zip_iteratorINS7_IPiNS6_11hip_rocprim19counting_iterator_tIlEES8_S8_S8_S8_S8_S8_S8_S8_EEEEPS9_S9_NSE_9__extrema9arg_max_fIilNS6_4lessIiEEEEEE10hipError_tPvRmT1_T2_T3_mT4_P12ihipStream_tbEUlT_E1_NS1_11comp_targetILNS1_3genE4ELNS1_11target_archE910ELNS1_3gpuE8ELNS1_3repE0EEENS1_30default_config_static_selectorELNS0_4arch9wavefront6targetE1EEEvSS_ ; -- Begin function _ZN7rocprim17ROCPRIM_400000_NS6detail17trampoline_kernelINS0_14default_configENS1_22reduce_config_selectorIN6thrust23THRUST_200600_302600_NS5tupleIilNS6_9null_typeES8_S8_S8_S8_S8_S8_S8_EEEEZNS1_11reduce_implILb0ES3_NS6_12zip_iteratorINS7_IPiNS6_11hip_rocprim19counting_iterator_tIlEES8_S8_S8_S8_S8_S8_S8_S8_EEEEPS9_S9_NSE_9__extrema9arg_max_fIilNS6_4lessIiEEEEEE10hipError_tPvRmT1_T2_T3_mT4_P12ihipStream_tbEUlT_E1_NS1_11comp_targetILNS1_3genE4ELNS1_11target_archE910ELNS1_3gpuE8ELNS1_3repE0EEENS1_30default_config_static_selectorELNS0_4arch9wavefront6targetE1EEEvSS_
	.globl	_ZN7rocprim17ROCPRIM_400000_NS6detail17trampoline_kernelINS0_14default_configENS1_22reduce_config_selectorIN6thrust23THRUST_200600_302600_NS5tupleIilNS6_9null_typeES8_S8_S8_S8_S8_S8_S8_EEEEZNS1_11reduce_implILb0ES3_NS6_12zip_iteratorINS7_IPiNS6_11hip_rocprim19counting_iterator_tIlEES8_S8_S8_S8_S8_S8_S8_S8_EEEEPS9_S9_NSE_9__extrema9arg_max_fIilNS6_4lessIiEEEEEE10hipError_tPvRmT1_T2_T3_mT4_P12ihipStream_tbEUlT_E1_NS1_11comp_targetILNS1_3genE4ELNS1_11target_archE910ELNS1_3gpuE8ELNS1_3repE0EEENS1_30default_config_static_selectorELNS0_4arch9wavefront6targetE1EEEvSS_
	.p2align	8
	.type	_ZN7rocprim17ROCPRIM_400000_NS6detail17trampoline_kernelINS0_14default_configENS1_22reduce_config_selectorIN6thrust23THRUST_200600_302600_NS5tupleIilNS6_9null_typeES8_S8_S8_S8_S8_S8_S8_EEEEZNS1_11reduce_implILb0ES3_NS6_12zip_iteratorINS7_IPiNS6_11hip_rocprim19counting_iterator_tIlEES8_S8_S8_S8_S8_S8_S8_S8_EEEEPS9_S9_NSE_9__extrema9arg_max_fIilNS6_4lessIiEEEEEE10hipError_tPvRmT1_T2_T3_mT4_P12ihipStream_tbEUlT_E1_NS1_11comp_targetILNS1_3genE4ELNS1_11target_archE910ELNS1_3gpuE8ELNS1_3repE0EEENS1_30default_config_static_selectorELNS0_4arch9wavefront6targetE1EEEvSS_,@function
_ZN7rocprim17ROCPRIM_400000_NS6detail17trampoline_kernelINS0_14default_configENS1_22reduce_config_selectorIN6thrust23THRUST_200600_302600_NS5tupleIilNS6_9null_typeES8_S8_S8_S8_S8_S8_S8_EEEEZNS1_11reduce_implILb0ES3_NS6_12zip_iteratorINS7_IPiNS6_11hip_rocprim19counting_iterator_tIlEES8_S8_S8_S8_S8_S8_S8_S8_EEEEPS9_S9_NSE_9__extrema9arg_max_fIilNS6_4lessIiEEEEEE10hipError_tPvRmT1_T2_T3_mT4_P12ihipStream_tbEUlT_E1_NS1_11comp_targetILNS1_3genE4ELNS1_11target_archE910ELNS1_3gpuE8ELNS1_3repE0EEENS1_30default_config_static_selectorELNS0_4arch9wavefront6targetE1EEEvSS_: ; @_ZN7rocprim17ROCPRIM_400000_NS6detail17trampoline_kernelINS0_14default_configENS1_22reduce_config_selectorIN6thrust23THRUST_200600_302600_NS5tupleIilNS6_9null_typeES8_S8_S8_S8_S8_S8_S8_EEEEZNS1_11reduce_implILb0ES3_NS6_12zip_iteratorINS7_IPiNS6_11hip_rocprim19counting_iterator_tIlEES8_S8_S8_S8_S8_S8_S8_S8_EEEEPS9_S9_NSE_9__extrema9arg_max_fIilNS6_4lessIiEEEEEE10hipError_tPvRmT1_T2_T3_mT4_P12ihipStream_tbEUlT_E1_NS1_11comp_targetILNS1_3genE4ELNS1_11target_archE910ELNS1_3gpuE8ELNS1_3repE0EEENS1_30default_config_static_selectorELNS0_4arch9wavefront6targetE1EEEvSS_
; %bb.0:
	s_load_dword s30, s[4:5], 0x4
	s_load_dwordx8 s[20:27], s[4:5], 0x8
	s_waitcnt lgkmcnt(0)
	s_cmp_lt_i32 s30, 4
	s_cbranch_scc1 .LBB209_20
; %bb.1:
	s_cmp_gt_i32 s30, 7
	s_cbranch_scc0 .LBB209_21
; %bb.2:
	s_cmp_eq_u32 s30, 8
	s_mov_b64 s[18:19], 0
	s_cbranch_scc0 .LBB209_22
; %bb.3:
	s_mov_b32 s7, 0
	s_lshl_b32 s12, s6, 11
	s_mov_b32 s13, s7
	s_lshr_b64 s[0:1], s[24:25], 11
	s_lshl_b64 s[2:3], s[12:13], 2
	s_add_u32 s16, s20, s2
	s_addc_u32 s17, s21, s3
	s_add_u32 s31, s22, s12
	s_addc_u32 s33, s23, 0
	s_cmp_lg_u64 s[0:1], s[6:7]
	s_cbranch_scc0 .LBB209_41
; %bb.4:
	v_mov_b32_e32 v1, 0
	v_lshlrev_b64 v[2:3], 2, v[0:1]
	v_mov_b32_e32 v1, s17
	v_add_co_u32_e32 v2, vcc, s16, v2
	v_addc_co_u32_e32 v3, vcc, v1, v3, vcc
	v_mov_b32_e32 v1, s33
	v_add_co_u32_e32 v8, vcc, s31, v0
	v_addc_co_u32_e32 v1, vcc, 0, v1, vcc
	v_add_co_u32_e32 v9, vcc, 0x100, v8
	s_mov_b64 s[0:1], vcc
	v_add_co_u32_e32 v10, vcc, 0x200, v8
	s_mov_b64 s[2:3], vcc
	v_add_co_u32_e32 v11, vcc, 0x300, v8
	global_load_dword v12, v[2:3], off
	global_load_dword v13, v[2:3], off offset:1024
	global_load_dword v14, v[2:3], off offset:2048
	;; [unrolled: 1-line block ×3, first 2 shown]
	s_mov_b64 s[8:9], vcc
	v_add_co_u32_e32 v16, vcc, 0x400, v8
	s_mov_b64 s[10:11], vcc
	v_add_co_u32_e32 v2, vcc, 0x1000, v2
	v_addc_co_u32_e32 v3, vcc, 0, v3, vcc
	global_load_dword v17, v[2:3], off
	global_load_dword v18, v[2:3], off offset:1024
	global_load_dword v19, v[2:3], off offset:2048
	;; [unrolled: 1-line block ×3, first 2 shown]
	v_addc_co_u32_e64 v21, vcc, 0, v1, s[0:1]
	v_addc_co_u32_e64 v22, vcc, 0, v1, s[2:3]
	;; [unrolled: 1-line block ×4, first 2 shown]
	v_add_co_u32_e32 v2, vcc, 0x500, v8
	v_addc_co_u32_e32 v3, vcc, 0, v1, vcc
	v_add_co_u32_e32 v4, vcc, 0x600, v8
	v_addc_co_u32_e32 v5, vcc, 0, v1, vcc
	;; [unrolled: 2-line block ×3, first 2 shown]
	s_waitcnt vmcnt(6)
	v_max_i32_e32 v25, v12, v13
	v_cmp_lt_i32_e32 vcc, v12, v13
	v_cndmask_b32_e32 v8, v8, v9, vcc
	v_cndmask_b32_e32 v1, v1, v21, vcc
	s_waitcnt vmcnt(5)
	v_max_i32_e32 v9, v25, v14
	v_cmp_lt_i32_e32 vcc, v25, v14
	v_cndmask_b32_e32 v1, v1, v22, vcc
	v_cndmask_b32_e32 v8, v8, v10, vcc
	;; [unrolled: 5-line block ×3, first 2 shown]
	s_waitcnt vmcnt(3)
	v_cmp_lt_i32_e32 vcc, v10, v17
	v_cndmask_b32_e32 v9, v1, v24, vcc
	v_max_i32_e32 v1, v10, v17
	v_cndmask_b32_e32 v8, v8, v16, vcc
	s_waitcnt vmcnt(2)
	v_cmp_lt_i32_e32 vcc, v18, v1
	v_cmp_lt_i64_e64 s[0:1], v[8:9], v[2:3]
	s_or_b64 vcc, vcc, s[0:1]
	v_cndmask_b32_e32 v10, v18, v1, vcc
	v_cndmask_b32_e32 v8, v2, v8, vcc
	v_cndmask_b32_e32 v9, v3, v9, vcc
	v_cmp_lt_i32_e32 vcc, v1, v18
	v_cndmask_b32_e32 v3, v9, v3, vcc
	v_cndmask_b32_e32 v2, v8, v2, vcc
	v_cndmask_b32_e32 v1, v10, v18, vcc
	s_waitcnt vmcnt(1)
	v_cmp_lt_i32_e32 vcc, v19, v1
	v_cmp_lt_i64_e64 s[0:1], v[2:3], v[4:5]
	s_or_b64 vcc, vcc, s[0:1]
	v_cndmask_b32_e32 v8, v19, v1, vcc
	v_cndmask_b32_e32 v2, v4, v2, vcc
	v_cndmask_b32_e32 v3, v5, v3, vcc
	v_cmp_lt_i32_e32 vcc, v1, v19
	v_cndmask_b32_e32 v3, v3, v5, vcc
	v_cndmask_b32_e32 v2, v2, v4, vcc
	;; [unrolled: 11-line block ×3, first 2 shown]
	v_cndmask_b32_e32 v2, v2, v6, vcc
	v_mov_b32_dpp v7, v1 quad_perm:[1,0,3,2] row_mask:0xf bank_mask:0xf bound_ctrl:1
	v_mov_b32_dpp v6, v3 quad_perm:[1,0,3,2] row_mask:0xf bank_mask:0xf bound_ctrl:1
	;; [unrolled: 1-line block ×3, first 2 shown]
	v_cmp_ge_i32_e32 vcc, v7, v1
	s_and_saveexec_b64 s[2:3], vcc
; %bb.5:
	v_mov_b32_e32 v5, v6
	v_cmp_gt_i32_e32 vcc, v7, v1
	v_cmp_lt_i64_e64 s[0:1], v[4:5], v[2:3]
	s_or_b64 vcc, vcc, s[0:1]
	v_cndmask_b32_e32 v3, v3, v6, vcc
	v_cndmask_b32_e32 v2, v2, v4, vcc
	;; [unrolled: 1-line block ×3, first 2 shown]
; %bb.6:
	s_or_b64 exec, exec, s[2:3]
	s_nop 0
	v_mov_b32_dpp v7, v1 quad_perm:[2,3,0,1] row_mask:0xf bank_mask:0xf bound_ctrl:1
	v_mov_b32_dpp v4, v2 quad_perm:[2,3,0,1] row_mask:0xf bank_mask:0xf bound_ctrl:1
	;; [unrolled: 1-line block ×3, first 2 shown]
	v_cmp_ge_i32_e32 vcc, v7, v1
	s_and_saveexec_b64 s[2:3], vcc
; %bb.7:
	v_mov_b32_e32 v5, v6
	v_cmp_lt_i32_e32 vcc, v1, v7
	v_cmp_lt_i64_e64 s[0:1], v[4:5], v[2:3]
	s_or_b64 vcc, vcc, s[0:1]
	v_cndmask_b32_e32 v3, v3, v6, vcc
	v_cndmask_b32_e32 v2, v2, v4, vcc
	;; [unrolled: 1-line block ×3, first 2 shown]
; %bb.8:
	s_or_b64 exec, exec, s[2:3]
	s_nop 0
	v_mov_b32_dpp v7, v1 row_ror:4 row_mask:0xf bank_mask:0xf bound_ctrl:1
	v_mov_b32_dpp v4, v2 row_ror:4 row_mask:0xf bank_mask:0xf bound_ctrl:1
	;; [unrolled: 1-line block ×3, first 2 shown]
	v_cmp_ge_i32_e32 vcc, v7, v1
	s_and_saveexec_b64 s[2:3], vcc
; %bb.9:
	v_mov_b32_e32 v5, v6
	v_cmp_lt_i32_e32 vcc, v1, v7
	v_cmp_lt_i64_e64 s[0:1], v[4:5], v[2:3]
	s_or_b64 vcc, vcc, s[0:1]
	v_cndmask_b32_e32 v3, v3, v6, vcc
	v_cndmask_b32_e32 v2, v2, v4, vcc
	;; [unrolled: 1-line block ×3, first 2 shown]
; %bb.10:
	s_or_b64 exec, exec, s[2:3]
	s_nop 0
	v_mov_b32_dpp v7, v1 row_ror:8 row_mask:0xf bank_mask:0xf bound_ctrl:1
	v_mov_b32_dpp v4, v2 row_ror:8 row_mask:0xf bank_mask:0xf bound_ctrl:1
	;; [unrolled: 1-line block ×3, first 2 shown]
	v_cmp_ge_i32_e32 vcc, v7, v1
	s_and_saveexec_b64 s[2:3], vcc
; %bb.11:
	v_mov_b32_e32 v5, v6
	v_cmp_lt_i32_e32 vcc, v1, v7
	v_cmp_lt_i64_e64 s[0:1], v[4:5], v[2:3]
	s_or_b64 vcc, vcc, s[0:1]
	v_cndmask_b32_e32 v3, v3, v6, vcc
	v_cndmask_b32_e32 v2, v2, v4, vcc
	;; [unrolled: 1-line block ×3, first 2 shown]
; %bb.12:
	s_or_b64 exec, exec, s[2:3]
	s_nop 0
	v_mov_b32_dpp v7, v1 row_bcast:15 row_mask:0xf bank_mask:0xf bound_ctrl:1
	v_mov_b32_dpp v4, v2 row_bcast:15 row_mask:0xf bank_mask:0xf bound_ctrl:1
	;; [unrolled: 1-line block ×3, first 2 shown]
	v_cmp_ge_i32_e32 vcc, v7, v1
	s_and_saveexec_b64 s[2:3], vcc
; %bb.13:
	v_mov_b32_e32 v5, v6
	v_cmp_lt_i32_e32 vcc, v1, v7
	v_cmp_lt_i64_e64 s[0:1], v[4:5], v[2:3]
	s_or_b64 vcc, vcc, s[0:1]
	v_cndmask_b32_e32 v3, v3, v6, vcc
	v_cndmask_b32_e32 v2, v2, v4, vcc
	;; [unrolled: 1-line block ×3, first 2 shown]
; %bb.14:
	s_or_b64 exec, exec, s[2:3]
	s_nop 0
	v_mov_b32_dpp v5, v1 row_bcast:31 row_mask:0xf bank_mask:0xf bound_ctrl:1
	v_mov_b32_dpp v6, v2 row_bcast:31 row_mask:0xf bank_mask:0xf bound_ctrl:1
	;; [unrolled: 1-line block ×3, first 2 shown]
	v_cmp_lt_i32_e32 vcc, v1, v5
	v_cmp_lt_i64_e64 s[0:1], v[6:7], v[2:3]
	v_mbcnt_lo_u32_b32 v4, -1, 0
	s_or_b64 vcc, vcc, s[0:1]
	v_mbcnt_hi_u32_b32 v4, -1, v4
	v_cndmask_b32_e32 v8, v1, v5, vcc
	v_cndmask_b32_e32 v6, v2, v6, vcc
	;; [unrolled: 1-line block ×3, first 2 shown]
	v_cmp_lt_i32_e32 vcc, v5, v1
	v_bfrev_b32_e32 v5, 0.5
	v_cndmask_b32_e32 v3, v7, v3, vcc
	v_cndmask_b32_e32 v2, v6, v2, vcc
	;; [unrolled: 1-line block ×3, first 2 shown]
	v_lshl_or_b32 v5, v4, 2, v5
	ds_bpermute_b32 v1, v5, v1
	ds_bpermute_b32 v2, v5, v2
	;; [unrolled: 1-line block ×3, first 2 shown]
	v_cmp_eq_u32_e32 vcc, 0, v4
	s_and_saveexec_b64 s[0:1], vcc
	s_cbranch_execz .LBB209_16
; %bb.15:
	v_lshrrev_b32_e32 v5, 2, v0
	v_and_b32_e32 v5, 48, v5
	s_waitcnt lgkmcnt(2)
	ds_write_b32 v5, v1 offset:192
	s_waitcnt lgkmcnt(1)
	ds_write_b64 v5, v[2:3] offset:200
.LBB209_16:
	s_or_b64 exec, exec, s[0:1]
	v_cmp_gt_u32_e32 vcc, 64, v0
	s_waitcnt lgkmcnt(0)
	s_barrier
	s_and_saveexec_b64 s[2:3], vcc
	s_cbranch_execz .LBB209_18
; %bb.17:
	v_and_b32_e32 v1, 3, v4
	v_lshlrev_b32_e32 v2, 4, v1
	ds_read_b32 v5, v2 offset:192
	ds_read_b64 v[2:3], v2 offset:200
	v_cmp_ne_u32_e32 vcc, 3, v1
	v_addc_co_u32_e32 v6, vcc, 0, v4, vcc
	v_lshlrev_b32_e32 v7, 2, v6
	s_waitcnt lgkmcnt(0)
	ds_bpermute_b32 v6, v7, v3
	ds_bpermute_b32 v10, v7, v5
	;; [unrolled: 1-line block ×3, first 2 shown]
	s_waitcnt lgkmcnt(2)
	v_mov_b32_e32 v9, v6
	s_waitcnt lgkmcnt(1)
	v_cmp_lt_i32_e32 vcc, v10, v5
	s_waitcnt lgkmcnt(0)
	v_cmp_gt_i64_e64 s[0:1], v[8:9], v[2:3]
	s_or_b64 vcc, vcc, s[0:1]
	v_cndmask_b32_e32 v7, v10, v5, vcc
	v_cndmask_b32_e32 v2, v8, v2, vcc
	;; [unrolled: 1-line block ×3, first 2 shown]
	v_cmp_gt_i32_e32 vcc, v10, v5
	v_cndmask_b32_e32 v3, v3, v6, vcc
	v_cndmask_b32_e32 v2, v2, v8, vcc
	;; [unrolled: 1-line block ×3, first 2 shown]
	v_cmp_gt_u32_e32 vcc, 2, v1
	v_cndmask_b32_e64 v1, 0, 1, vcc
	v_lshlrev_b32_e32 v1, 1, v1
	v_add_lshl_u32 v1, v1, v4, 2
	ds_bpermute_b32 v4, v1, v3
	ds_bpermute_b32 v8, v1, v5
	ds_bpermute_b32 v6, v1, v2
	s_waitcnt lgkmcnt(2)
	v_mov_b32_e32 v7, v4
	s_waitcnt lgkmcnt(1)
	v_cmp_lt_i32_e32 vcc, v8, v5
	s_waitcnt lgkmcnt(0)
	v_cmp_lt_i64_e64 s[0:1], v[2:3], v[6:7]
	s_or_b64 vcc, vcc, s[0:1]
	v_cndmask_b32_e32 v1, v8, v5, vcc
	v_cndmask_b32_e32 v2, v6, v2, vcc
	v_cndmask_b32_e32 v3, v4, v3, vcc
	v_cmp_lt_i32_e32 vcc, v5, v8
	v_cndmask_b32_e32 v3, v3, v4, vcc
	v_cndmask_b32_e32 v2, v2, v6, vcc
	;; [unrolled: 1-line block ×3, first 2 shown]
.LBB209_18:
	s_or_b64 exec, exec, s[2:3]
.LBB209_19:
	v_cmp_eq_u32_e64 s[0:1], 0, v0
	s_and_b64 vcc, exec, s[18:19]
	s_cbranch_vccnz .LBB209_23
	s_branch .LBB209_86
.LBB209_20:
	s_mov_b64 s[0:1], 0
                                        ; implicit-def: $vgpr2_vgpr3
                                        ; implicit-def: $vgpr1
	s_cbranch_execnz .LBB209_121
	s_branch .LBB209_189
.LBB209_21:
	s_mov_b64 s[18:19], -1
.LBB209_22:
	s_mov_b64 s[0:1], 0
                                        ; implicit-def: $vgpr2_vgpr3
                                        ; implicit-def: $vgpr1
	s_and_b64 vcc, exec, s[18:19]
	s_cbranch_vccz .LBB209_86
.LBB209_23:
	s_cmp_eq_u32 s30, 4
	s_cbranch_scc0 .LBB209_40
; %bb.24:
	s_mov_b32 s7, 0
	s_lshl_b32 s2, s6, 10
	s_mov_b32 s3, s7
	s_lshr_b64 s[0:1], s[24:25], 10
	s_lshl_b64 s[8:9], s[2:3], 2
	s_add_u32 s8, s20, s8
	s_addc_u32 s9, s21, s9
	s_add_u32 s12, s22, s2
	s_addc_u32 s13, s23, 0
	s_cmp_lg_u64 s[0:1], s[6:7]
	s_cbranch_scc0 .LBB209_87
; %bb.25:
	v_lshlrev_b32_e32 v1, 2, v0
	global_load_dword v2, v1, s[8:9]
	global_load_dword v3, v1, s[8:9] offset:1024
	s_waitcnt lgkmcnt(1)
	global_load_dword v4, v1, s[8:9] offset:2048
	s_waitcnt lgkmcnt(0)
	global_load_dword v5, v1, s[8:9] offset:3072
	v_mov_b32_e32 v1, s13
	v_add_co_u32_e32 v6, vcc, s12, v0
	v_addc_co_u32_e32 v1, vcc, 0, v1, vcc
	v_add_co_u32_e32 v7, vcc, 0x100, v6
	v_addc_co_u32_e32 v8, vcc, 0, v1, vcc
	;; [unrolled: 2-line block ×4, first 2 shown]
	s_waitcnt vmcnt(2)
	v_max_i32_e32 v13, v2, v3
	v_cmp_lt_i32_e32 vcc, v2, v3
	v_cndmask_b32_e32 v1, v1, v8, vcc
	v_cndmask_b32_e32 v2, v6, v7, vcc
	s_waitcnt vmcnt(1)
	v_max_i32_e32 v3, v13, v4
	v_cmp_lt_i32_e32 vcc, v13, v4
	v_cndmask_b32_e32 v2, v2, v9, vcc
	v_cndmask_b32_e32 v4, v1, v10, vcc
	;; [unrolled: 5-line block ×3, first 2 shown]
	v_mov_b32_dpp v7, v1 quad_perm:[1,0,3,2] row_mask:0xf bank_mask:0xf bound_ctrl:1
	v_mov_b32_dpp v6, v3 quad_perm:[1,0,3,2] row_mask:0xf bank_mask:0xf bound_ctrl:1
	;; [unrolled: 1-line block ×3, first 2 shown]
	v_cmp_ge_i32_e32 vcc, v7, v1
	s_and_saveexec_b64 s[10:11], vcc
; %bb.26:
	v_mov_b32_e32 v5, v6
	v_cmp_gt_i32_e32 vcc, v7, v1
	v_cmp_lt_i64_e64 s[0:1], v[4:5], v[2:3]
	s_or_b64 vcc, vcc, s[0:1]
	v_cndmask_b32_e32 v3, v3, v6, vcc
	v_cndmask_b32_e32 v2, v2, v4, vcc
	v_cndmask_b32_e32 v1, v1, v7, vcc
; %bb.27:
	s_or_b64 exec, exec, s[10:11]
	s_nop 0
	v_mov_b32_dpp v7, v1 quad_perm:[2,3,0,1] row_mask:0xf bank_mask:0xf bound_ctrl:1
	v_mov_b32_dpp v4, v2 quad_perm:[2,3,0,1] row_mask:0xf bank_mask:0xf bound_ctrl:1
	;; [unrolled: 1-line block ×3, first 2 shown]
	v_cmp_ge_i32_e32 vcc, v7, v1
	s_and_saveexec_b64 s[10:11], vcc
; %bb.28:
	v_mov_b32_e32 v5, v6
	v_cmp_lt_i32_e32 vcc, v1, v7
	v_cmp_lt_i64_e64 s[0:1], v[4:5], v[2:3]
	s_or_b64 vcc, vcc, s[0:1]
	v_cndmask_b32_e32 v3, v3, v6, vcc
	v_cndmask_b32_e32 v2, v2, v4, vcc
	;; [unrolled: 1-line block ×3, first 2 shown]
; %bb.29:
	s_or_b64 exec, exec, s[10:11]
	s_nop 0
	v_mov_b32_dpp v7, v1 row_ror:4 row_mask:0xf bank_mask:0xf bound_ctrl:1
	v_mov_b32_dpp v4, v2 row_ror:4 row_mask:0xf bank_mask:0xf bound_ctrl:1
	v_mov_b32_dpp v6, v3 row_ror:4 row_mask:0xf bank_mask:0xf bound_ctrl:1
	v_cmp_ge_i32_e32 vcc, v7, v1
	s_and_saveexec_b64 s[10:11], vcc
; %bb.30:
	v_mov_b32_e32 v5, v6
	v_cmp_lt_i32_e32 vcc, v1, v7
	v_cmp_lt_i64_e64 s[0:1], v[4:5], v[2:3]
	s_or_b64 vcc, vcc, s[0:1]
	v_cndmask_b32_e32 v3, v3, v6, vcc
	v_cndmask_b32_e32 v2, v2, v4, vcc
	;; [unrolled: 1-line block ×3, first 2 shown]
; %bb.31:
	s_or_b64 exec, exec, s[10:11]
	s_nop 0
	v_mov_b32_dpp v7, v1 row_ror:8 row_mask:0xf bank_mask:0xf bound_ctrl:1
	v_mov_b32_dpp v4, v2 row_ror:8 row_mask:0xf bank_mask:0xf bound_ctrl:1
	;; [unrolled: 1-line block ×3, first 2 shown]
	v_cmp_ge_i32_e32 vcc, v7, v1
	s_and_saveexec_b64 s[10:11], vcc
; %bb.32:
	v_mov_b32_e32 v5, v6
	v_cmp_lt_i32_e32 vcc, v1, v7
	v_cmp_lt_i64_e64 s[0:1], v[4:5], v[2:3]
	s_or_b64 vcc, vcc, s[0:1]
	v_cndmask_b32_e32 v3, v3, v6, vcc
	v_cndmask_b32_e32 v2, v2, v4, vcc
	;; [unrolled: 1-line block ×3, first 2 shown]
; %bb.33:
	s_or_b64 exec, exec, s[10:11]
	s_nop 0
	v_mov_b32_dpp v7, v1 row_bcast:15 row_mask:0xf bank_mask:0xf bound_ctrl:1
	v_mov_b32_dpp v4, v2 row_bcast:15 row_mask:0xf bank_mask:0xf bound_ctrl:1
	;; [unrolled: 1-line block ×3, first 2 shown]
	v_cmp_ge_i32_e32 vcc, v7, v1
	s_and_saveexec_b64 s[10:11], vcc
; %bb.34:
	v_mov_b32_e32 v5, v6
	v_cmp_lt_i32_e32 vcc, v1, v7
	v_cmp_lt_i64_e64 s[0:1], v[4:5], v[2:3]
	s_or_b64 vcc, vcc, s[0:1]
	v_cndmask_b32_e32 v3, v3, v6, vcc
	v_cndmask_b32_e32 v2, v2, v4, vcc
	;; [unrolled: 1-line block ×3, first 2 shown]
; %bb.35:
	s_or_b64 exec, exec, s[10:11]
	s_nop 0
	v_mov_b32_dpp v5, v1 row_bcast:31 row_mask:0xf bank_mask:0xf bound_ctrl:1
	v_mov_b32_dpp v6, v2 row_bcast:31 row_mask:0xf bank_mask:0xf bound_ctrl:1
	;; [unrolled: 1-line block ×3, first 2 shown]
	v_cmp_lt_i32_e32 vcc, v1, v5
	v_cmp_lt_i64_e64 s[0:1], v[6:7], v[2:3]
	v_mbcnt_lo_u32_b32 v4, -1, 0
	s_or_b64 vcc, vcc, s[0:1]
	v_mbcnt_hi_u32_b32 v4, -1, v4
	v_cndmask_b32_e32 v8, v1, v5, vcc
	v_cndmask_b32_e32 v6, v2, v6, vcc
	v_cndmask_b32_e32 v7, v3, v7, vcc
	v_cmp_lt_i32_e32 vcc, v5, v1
	v_bfrev_b32_e32 v5, 0.5
	v_cndmask_b32_e32 v3, v7, v3, vcc
	v_cndmask_b32_e32 v2, v6, v2, vcc
	;; [unrolled: 1-line block ×3, first 2 shown]
	v_lshl_or_b32 v5, v4, 2, v5
	ds_bpermute_b32 v1, v5, v1
	ds_bpermute_b32 v2, v5, v2
	ds_bpermute_b32 v3, v5, v3
	v_cmp_eq_u32_e32 vcc, 0, v4
	s_and_saveexec_b64 s[0:1], vcc
	s_cbranch_execz .LBB209_37
; %bb.36:
	v_lshrrev_b32_e32 v5, 2, v0
	v_and_b32_e32 v5, 48, v5
	s_waitcnt lgkmcnt(2)
	ds_write_b32 v5, v1 offset:128
	s_waitcnt lgkmcnt(1)
	ds_write_b64 v5, v[2:3] offset:136
.LBB209_37:
	s_or_b64 exec, exec, s[0:1]
	v_cmp_gt_u32_e32 vcc, 64, v0
	s_waitcnt lgkmcnt(0)
	s_barrier
	s_and_saveexec_b64 s[10:11], vcc
	s_cbranch_execz .LBB209_39
; %bb.38:
	v_and_b32_e32 v1, 3, v4
	v_lshlrev_b32_e32 v2, 4, v1
	ds_read_b32 v5, v2 offset:128
	ds_read_b64 v[2:3], v2 offset:136
	v_cmp_ne_u32_e32 vcc, 3, v1
	v_addc_co_u32_e32 v6, vcc, 0, v4, vcc
	v_lshlrev_b32_e32 v7, 2, v6
	s_waitcnt lgkmcnt(0)
	ds_bpermute_b32 v6, v7, v3
	ds_bpermute_b32 v10, v7, v5
	;; [unrolled: 1-line block ×3, first 2 shown]
	s_waitcnt lgkmcnt(2)
	v_mov_b32_e32 v9, v6
	s_waitcnt lgkmcnt(1)
	v_cmp_lt_i32_e32 vcc, v10, v5
	s_waitcnt lgkmcnt(0)
	v_cmp_gt_i64_e64 s[0:1], v[8:9], v[2:3]
	s_or_b64 vcc, vcc, s[0:1]
	v_cndmask_b32_e32 v7, v10, v5, vcc
	v_cndmask_b32_e32 v2, v8, v2, vcc
	v_cndmask_b32_e32 v3, v6, v3, vcc
	v_cmp_gt_i32_e32 vcc, v10, v5
	v_cndmask_b32_e32 v3, v3, v6, vcc
	v_cndmask_b32_e32 v2, v2, v8, vcc
	;; [unrolled: 1-line block ×3, first 2 shown]
	v_cmp_gt_u32_e32 vcc, 2, v1
	v_cndmask_b32_e64 v1, 0, 1, vcc
	v_lshlrev_b32_e32 v1, 1, v1
	v_add_lshl_u32 v1, v1, v4, 2
	ds_bpermute_b32 v4, v1, v3
	ds_bpermute_b32 v8, v1, v5
	;; [unrolled: 1-line block ×3, first 2 shown]
	s_waitcnt lgkmcnt(2)
	v_mov_b32_e32 v7, v4
	s_waitcnt lgkmcnt(1)
	v_cmp_lt_i32_e32 vcc, v8, v5
	s_waitcnt lgkmcnt(0)
	v_cmp_lt_i64_e64 s[0:1], v[2:3], v[6:7]
	s_or_b64 vcc, vcc, s[0:1]
	v_cndmask_b32_e32 v1, v8, v5, vcc
	v_cndmask_b32_e32 v2, v6, v2, vcc
	;; [unrolled: 1-line block ×3, first 2 shown]
	v_cmp_lt_i32_e32 vcc, v5, v8
	v_cndmask_b32_e32 v3, v3, v4, vcc
	v_cndmask_b32_e32 v2, v2, v6, vcc
	;; [unrolled: 1-line block ×3, first 2 shown]
.LBB209_39:
	s_or_b64 exec, exec, s[10:11]
	s_branch .LBB209_120
.LBB209_40:
                                        ; implicit-def: $vgpr2_vgpr3
                                        ; implicit-def: $vgpr1
	s_branch .LBB209_189
.LBB209_41:
                                        ; implicit-def: $vgpr1
                                        ; implicit-def: $vgpr2_vgpr3
	s_cbranch_execz .LBB209_19
; %bb.42:
	s_sub_i32 s34, s24, s12
	v_pk_mov_b32 v[10:11], 0, 0
	v_cmp_gt_u32_e32 vcc, s34, v0
	v_mov_b32_e32 v21, 0
	v_pk_mov_b32 v[2:3], v[10:11], v[10:11] op_sel:[0,1]
	v_mov_b32_e32 v1, 0
	s_and_saveexec_b64 s[0:1], vcc
	s_cbranch_execz .LBB209_44
; %bb.43:
	v_lshlrev_b32_e32 v1, 2, v0
	global_load_dword v1, v1, s[16:17]
	v_mov_b32_e32 v3, s33
	v_add_co_u32_e32 v2, vcc, s31, v0
	v_addc_co_u32_e32 v3, vcc, 0, v3, vcc
.LBB209_44:
	s_or_b64 exec, exec, s[0:1]
	v_or_b32_e32 v4, 0x100, v0
	v_cmp_gt_u32_e64 s[14:15], s34, v4
	s_and_saveexec_b64 s[0:1], s[14:15]
	s_cbranch_execz .LBB209_46
; %bb.45:
	v_lshlrev_b32_e32 v5, 2, v0
	global_load_dword v21, v5, s[16:17] offset:1024
	v_mov_b32_e32 v5, s33
	v_add_co_u32_e32 v10, vcc, s31, v4
	v_addc_co_u32_e32 v11, vcc, 0, v5, vcc
.LBB209_46:
	s_or_b64 exec, exec, s[0:1]
	v_or_b32_e32 v4, 0x200, v0
	v_pk_mov_b32 v[8:9], 0, 0
	v_cmp_gt_u32_e64 s[10:11], s34, v4
	v_mov_b32_e32 v20, 0
	v_pk_mov_b32 v[16:17], v[8:9], v[8:9] op_sel:[0,1]
	v_mov_b32_e32 v24, 0
	s_and_saveexec_b64 s[0:1], s[10:11]
	s_cbranch_execz .LBB209_48
; %bb.47:
	v_lshlrev_b32_e32 v5, 2, v0
	global_load_dword v24, v5, s[16:17] offset:2048
	v_mov_b32_e32 v5, s33
	v_add_co_u32_e32 v16, vcc, s31, v4
	v_addc_co_u32_e32 v17, vcc, 0, v5, vcc
.LBB209_48:
	s_or_b64 exec, exec, s[0:1]
	v_or_b32_e32 v4, 0x300, v0
	v_cmp_gt_u32_e64 s[12:13], s34, v4
	s_and_saveexec_b64 s[0:1], s[12:13]
	s_cbranch_execz .LBB209_50
; %bb.49:
	v_lshlrev_b32_e32 v5, 2, v0
	global_load_dword v20, v5, s[16:17] offset:3072
	v_mov_b32_e32 v5, s33
	v_add_co_u32_e32 v8, vcc, s31, v4
	v_addc_co_u32_e32 v9, vcc, 0, v5, vcc
.LBB209_50:
	s_or_b64 exec, exec, s[0:1]
	v_or_b32_e32 v4, 0x400, v0
	v_pk_mov_b32 v[6:7], 0, 0
	v_cmp_gt_u32_e64 s[2:3], s34, v4
	v_mov_b32_e32 v19, 0
	v_pk_mov_b32 v[14:15], v[6:7], v[6:7] op_sel:[0,1]
	v_mov_b32_e32 v23, 0
	s_and_saveexec_b64 s[0:1], s[2:3]
	s_cbranch_execz .LBB209_52
; %bb.51:
	v_lshlrev_b32_e32 v5, 2, v4
	global_load_dword v23, v5, s[16:17]
	v_mov_b32_e32 v5, s33
	v_add_co_u32_e32 v14, vcc, s31, v4
	v_addc_co_u32_e32 v15, vcc, 0, v5, vcc
.LBB209_52:
	s_or_b64 exec, exec, s[0:1]
	v_or_b32_e32 v4, 0x500, v0
	v_cmp_gt_u32_e64 s[8:9], s34, v4
	s_and_saveexec_b64 s[0:1], s[8:9]
	s_cbranch_execz .LBB209_54
; %bb.53:
	v_lshlrev_b32_e32 v5, 2, v4
	global_load_dword v19, v5, s[16:17]
	v_mov_b32_e32 v5, s33
	v_add_co_u32_e32 v6, vcc, s31, v4
	v_addc_co_u32_e32 v7, vcc, 0, v5, vcc
.LBB209_54:
	s_or_b64 exec, exec, s[0:1]
	v_or_b32_e32 v25, 0x600, v0
	v_pk_mov_b32 v[4:5], 0, 0
	v_cmp_gt_u32_e32 vcc, s34, v25
	v_mov_b32_e32 v18, 0
	v_pk_mov_b32 v[12:13], v[4:5], v[4:5] op_sel:[0,1]
	v_mov_b32_e32 v22, 0
	s_and_saveexec_b64 s[28:29], vcc
	s_cbranch_execz .LBB209_56
; %bb.55:
	v_lshlrev_b32_e32 v12, 2, v25
	global_load_dword v22, v12, s[16:17]
	v_mov_b32_e32 v13, s33
	v_add_co_u32_e64 v12, s[0:1], s31, v25
	v_addc_co_u32_e64 v13, s[0:1], 0, v13, s[0:1]
.LBB209_56:
	s_or_b64 exec, exec, s[28:29]
	v_or_b32_e32 v25, 0x700, v0
	v_cmp_gt_u32_e64 s[0:1], s34, v25
	s_and_saveexec_b64 s[28:29], s[0:1]
	s_cbranch_execnz .LBB209_216
; %bb.57:
	s_or_b64 exec, exec, s[28:29]
	s_and_saveexec_b64 s[28:29], s[14:15]
	s_cbranch_execnz .LBB209_217
.LBB209_58:
	s_or_b64 exec, exec, s[28:29]
	s_and_saveexec_b64 s[16:17], s[10:11]
	s_cbranch_execnz .LBB209_218
.LBB209_59:
	s_or_b64 exec, exec, s[16:17]
	s_and_saveexec_b64 s[14:15], s[12:13]
	s_cbranch_execnz .LBB209_219
.LBB209_60:
	s_or_b64 exec, exec, s[14:15]
	s_and_saveexec_b64 s[12:13], s[2:3]
	s_cbranch_execnz .LBB209_220
.LBB209_61:
	s_or_b64 exec, exec, s[12:13]
	s_and_saveexec_b64 s[10:11], s[8:9]
	s_cbranch_execnz .LBB209_221
.LBB209_62:
	s_or_b64 exec, exec, s[10:11]
	s_and_saveexec_b64 s[8:9], vcc
	s_cbranch_execnz .LBB209_222
.LBB209_63:
	s_or_b64 exec, exec, s[8:9]
	s_and_saveexec_b64 s[2:3], s[0:1]
	s_cbranch_execz .LBB209_65
.LBB209_64:
	s_waitcnt vmcnt(0)
	v_cmp_lt_i32_e32 vcc, v18, v1
	v_cmp_lt_i64_e64 s[0:1], v[2:3], v[4:5]
	s_or_b64 vcc, vcc, s[0:1]
	v_cndmask_b32_e32 v6, v18, v1, vcc
	v_cndmask_b32_e32 v2, v4, v2, vcc
	;; [unrolled: 1-line block ×3, first 2 shown]
	v_cmp_lt_i32_e32 vcc, v1, v18
	v_cndmask_b32_e32 v3, v3, v5, vcc
	v_cndmask_b32_e32 v2, v2, v4, vcc
	;; [unrolled: 1-line block ×3, first 2 shown]
.LBB209_65:
	s_or_b64 exec, exec, s[2:3]
	v_mbcnt_lo_u32_b32 v4, -1, 0
	v_mbcnt_hi_u32_b32 v7, -1, v4
	v_and_b32_e32 v8, 63, v7
	v_cmp_ne_u32_e32 vcc, 63, v8
	v_addc_co_u32_e32 v4, vcc, 0, v7, vcc
	v_lshlrev_b32_e32 v5, 2, v4
	s_waitcnt vmcnt(0)
	ds_bpermute_b32 v10, v5, v1
	ds_bpermute_b32 v4, v5, v2
	;; [unrolled: 1-line block ×3, first 2 shown]
	s_min_u32 s8, s34, 0x100
	v_and_b32_e32 v5, 0xc0, v0
	v_sub_u32_e64 v9, s8, v5 clamp
	v_add_u32_e32 v5, 1, v8
	v_cmp_lt_u32_e32 vcc, v5, v9
	s_and_saveexec_b64 s[0:1], vcc
	s_xor_b64 s[2:3], exec, s[0:1]
	s_cbranch_execz .LBB209_67
; %bb.66:
	s_waitcnt lgkmcnt(0)
	v_mov_b32_e32 v5, v6
	v_cmp_lt_i32_e32 vcc, v10, v1
	v_cmp_lt_i64_e64 s[0:1], v[2:3], v[4:5]
	s_or_b64 vcc, vcc, s[0:1]
	v_cndmask_b32_e32 v5, v10, v1, vcc
	v_cndmask_b32_e32 v2, v4, v2, vcc
	v_cndmask_b32_e32 v3, v6, v3, vcc
	v_cmp_lt_i32_e32 vcc, v1, v10
	v_cndmask_b32_e32 v3, v3, v6, vcc
	v_cndmask_b32_e32 v2, v2, v4, vcc
	v_cndmask_b32_e32 v1, v5, v10, vcc
.LBB209_67:
	s_or_b64 exec, exec, s[2:3]
	v_cmp_gt_u32_e32 vcc, 62, v8
	s_waitcnt lgkmcnt(1)
	v_cndmask_b32_e64 v4, 0, 1, vcc
	v_lshlrev_b32_e32 v4, 1, v4
	v_add_lshl_u32 v5, v4, v7, 2
	ds_bpermute_b32 v10, v5, v1
	ds_bpermute_b32 v4, v5, v2
	s_waitcnt lgkmcnt(2)
	ds_bpermute_b32 v6, v5, v3
	v_add_u32_e32 v5, 2, v8
	v_cmp_lt_u32_e32 vcc, v5, v9
	s_and_saveexec_b64 s[2:3], vcc
	s_cbranch_execz .LBB209_69
; %bb.68:
	s_waitcnt lgkmcnt(0)
	v_mov_b32_e32 v5, v6
	v_cmp_lt_i32_e32 vcc, v10, v1
	v_cmp_lt_i64_e64 s[0:1], v[2:3], v[4:5]
	s_or_b64 vcc, vcc, s[0:1]
	v_cndmask_b32_e32 v5, v10, v1, vcc
	v_cndmask_b32_e32 v2, v4, v2, vcc
	v_cndmask_b32_e32 v3, v6, v3, vcc
	v_cmp_lt_i32_e32 vcc, v1, v10
	v_cndmask_b32_e32 v3, v3, v6, vcc
	v_cndmask_b32_e32 v2, v2, v4, vcc
	v_cndmask_b32_e32 v1, v5, v10, vcc
.LBB209_69:
	s_or_b64 exec, exec, s[2:3]
	v_cmp_gt_u32_e32 vcc, 60, v8
	s_waitcnt lgkmcnt(1)
	v_cndmask_b32_e64 v4, 0, 1, vcc
	v_lshlrev_b32_e32 v4, 2, v4
	v_add_lshl_u32 v5, v4, v7, 2
	ds_bpermute_b32 v10, v5, v1
	ds_bpermute_b32 v4, v5, v2
	s_waitcnt lgkmcnt(2)
	ds_bpermute_b32 v6, v5, v3
	v_add_u32_e32 v5, 4, v8
	v_cmp_lt_u32_e32 vcc, v5, v9
	s_and_saveexec_b64 s[2:3], vcc
	;; [unrolled: 28-line block ×4, first 2 shown]
	s_cbranch_execz .LBB209_75
; %bb.74:
	s_waitcnt lgkmcnt(0)
	v_mov_b32_e32 v5, v6
	v_cmp_lt_i32_e32 vcc, v10, v1
	v_cmp_lt_i64_e64 s[0:1], v[2:3], v[4:5]
	s_or_b64 vcc, vcc, s[0:1]
	v_cndmask_b32_e32 v5, v10, v1, vcc
	v_cndmask_b32_e32 v2, v4, v2, vcc
	;; [unrolled: 1-line block ×3, first 2 shown]
	v_cmp_lt_i32_e32 vcc, v1, v10
	v_cndmask_b32_e32 v3, v3, v6, vcc
	v_cndmask_b32_e32 v2, v2, v4, vcc
	;; [unrolled: 1-line block ×3, first 2 shown]
.LBB209_75:
	s_or_b64 exec, exec, s[2:3]
	v_cmp_gt_u32_e32 vcc, 32, v8
	s_waitcnt lgkmcnt(1)
	v_cndmask_b32_e64 v4, 0, 1, vcc
	v_lshlrev_b32_e32 v4, 5, v4
	v_add_lshl_u32 v5, v4, v7, 2
	s_waitcnt lgkmcnt(0)
	ds_bpermute_b32 v6, v5, v1
	ds_bpermute_b32 v4, v5, v2
	;; [unrolled: 1-line block ×3, first 2 shown]
	v_add_u32_e32 v8, 32, v8
	v_cmp_lt_u32_e32 vcc, v8, v9
	s_and_saveexec_b64 s[2:3], vcc
	s_cbranch_execz .LBB209_77
; %bb.76:
	s_waitcnt lgkmcnt(2)
	v_cmp_lt_i32_e32 vcc, v6, v1
	s_waitcnt lgkmcnt(0)
	v_cmp_lt_i64_e64 s[0:1], v[2:3], v[4:5]
	s_or_b64 vcc, vcc, s[0:1]
	v_cndmask_b32_e32 v8, v6, v1, vcc
	v_cndmask_b32_e32 v2, v4, v2, vcc
	;; [unrolled: 1-line block ×3, first 2 shown]
	v_cmp_lt_i32_e32 vcc, v1, v6
	v_cndmask_b32_e32 v3, v3, v5, vcc
	v_cndmask_b32_e32 v2, v2, v4, vcc
	;; [unrolled: 1-line block ×3, first 2 shown]
.LBB209_77:
	s_or_b64 exec, exec, s[2:3]
	v_cmp_eq_u32_e32 vcc, 0, v7
	s_and_saveexec_b64 s[0:1], vcc
	s_cbranch_execz .LBB209_79
; %bb.78:
	s_waitcnt lgkmcnt(1)
	v_lshrrev_b32_e32 v4, 2, v0
	v_and_b32_e32 v4, 48, v4
	ds_write_b32 v4, v1 offset:256
	ds_write_b64 v4, v[2:3] offset:264
.LBB209_79:
	s_or_b64 exec, exec, s[0:1]
	v_cmp_gt_u32_e32 vcc, 4, v0
	s_waitcnt lgkmcnt(0)
	s_barrier
	s_and_saveexec_b64 s[2:3], vcc
	s_cbranch_execz .LBB209_85
; %bb.80:
	v_lshlrev_b32_e32 v2, 4, v7
	ds_read_b32 v1, v2 offset:256
	ds_read_b64 v[2:3], v2 offset:264
	v_and_b32_e32 v8, 3, v7
	v_cmp_ne_u32_e32 vcc, 3, v8
	v_addc_co_u32_e32 v4, vcc, 0, v7, vcc
	v_lshlrev_b32_e32 v5, 2, v4
	s_waitcnt lgkmcnt(1)
	ds_bpermute_b32 v9, v5, v1
	s_waitcnt lgkmcnt(1)
	ds_bpermute_b32 v4, v5, v2
	ds_bpermute_b32 v6, v5, v3
	s_add_i32 s8, s8, 63
	s_lshr_b32 s10, s8, 6
	v_add_u32_e32 v5, 1, v8
	v_cmp_gt_u32_e32 vcc, s10, v5
	s_and_saveexec_b64 s[8:9], vcc
	s_cbranch_execz .LBB209_82
; %bb.81:
	s_waitcnt lgkmcnt(0)
	v_mov_b32_e32 v5, v6
	v_cmp_lt_i32_e32 vcc, v9, v1
	v_cmp_lt_i64_e64 s[0:1], v[2:3], v[4:5]
	s_or_b64 vcc, vcc, s[0:1]
	v_cndmask_b32_e32 v5, v9, v1, vcc
	v_cndmask_b32_e32 v2, v4, v2, vcc
	;; [unrolled: 1-line block ×3, first 2 shown]
	v_cmp_lt_i32_e32 vcc, v1, v9
	v_cndmask_b32_e32 v3, v3, v6, vcc
	v_cndmask_b32_e32 v2, v2, v4, vcc
	;; [unrolled: 1-line block ×3, first 2 shown]
.LBB209_82:
	s_or_b64 exec, exec, s[8:9]
	v_cmp_gt_u32_e32 vcc, 2, v8
	s_waitcnt lgkmcnt(1)
	v_cndmask_b32_e64 v4, 0, 1, vcc
	v_lshlrev_b32_e32 v4, 1, v4
	v_add_lshl_u32 v5, v4, v7, 2
	s_waitcnt lgkmcnt(0)
	ds_bpermute_b32 v6, v5, v1
	ds_bpermute_b32 v4, v5, v2
	;; [unrolled: 1-line block ×3, first 2 shown]
	v_add_u32_e32 v7, 2, v8
	v_cmp_gt_u32_e32 vcc, s10, v7
	s_and_saveexec_b64 s[8:9], vcc
	s_cbranch_execz .LBB209_84
; %bb.83:
	s_waitcnt lgkmcnt(2)
	v_cmp_lt_i32_e32 vcc, v6, v1
	s_waitcnt lgkmcnt(0)
	v_cmp_lt_i64_e64 s[0:1], v[2:3], v[4:5]
	s_or_b64 vcc, vcc, s[0:1]
	v_cndmask_b32_e32 v7, v6, v1, vcc
	v_cndmask_b32_e32 v2, v4, v2, vcc
	;; [unrolled: 1-line block ×3, first 2 shown]
	v_cmp_lt_i32_e32 vcc, v1, v6
	v_cndmask_b32_e32 v3, v3, v5, vcc
	v_cndmask_b32_e32 v2, v2, v4, vcc
	v_cndmask_b32_e32 v1, v7, v6, vcc
.LBB209_84:
	s_or_b64 exec, exec, s[8:9]
.LBB209_85:
	s_or_b64 exec, exec, s[2:3]
	v_cmp_eq_u32_e64 s[0:1], 0, v0
	s_and_b64 vcc, exec, s[18:19]
	s_cbranch_vccnz .LBB209_23
.LBB209_86:
	s_branch .LBB209_189
.LBB209_87:
                                        ; implicit-def: $vgpr1
                                        ; implicit-def: $vgpr2_vgpr3
	s_cbranch_execz .LBB209_120
; %bb.88:
	s_sub_i32 s14, s24, s2
	s_waitcnt lgkmcnt(2)
	v_pk_mov_b32 v[6:7], 0, 0
	v_cmp_gt_u32_e32 vcc, s14, v0
	v_mov_b32_e32 v11, 0
	v_pk_mov_b32 v[2:3], v[6:7], v[6:7] op_sel:[0,1]
	v_mov_b32_e32 v1, 0
	s_and_saveexec_b64 s[0:1], vcc
	s_cbranch_execz .LBB209_90
; %bb.89:
	v_lshlrev_b32_e32 v1, 2, v0
	global_load_dword v1, v1, s[8:9]
	v_mov_b32_e32 v3, s13
	v_add_co_u32_e32 v2, vcc, s12, v0
	v_addc_co_u32_e32 v3, vcc, 0, v3, vcc
.LBB209_90:
	s_or_b64 exec, exec, s[0:1]
	s_waitcnt lgkmcnt(1)
	v_or_b32_e32 v4, 0x100, v0
	v_cmp_gt_u32_e64 s[2:3], s14, v4
	s_and_saveexec_b64 s[0:1], s[2:3]
	s_cbranch_execz .LBB209_92
; %bb.91:
	s_waitcnt lgkmcnt(0)
	v_lshlrev_b32_e32 v5, 2, v0
	global_load_dword v11, v5, s[8:9] offset:1024
	v_mov_b32_e32 v5, s13
	v_add_co_u32_e32 v6, vcc, s12, v4
	v_addc_co_u32_e32 v7, vcc, 0, v5, vcc
.LBB209_92:
	s_or_b64 exec, exec, s[0:1]
	v_or_b32_e32 v13, 0x200, v0
	s_waitcnt lgkmcnt(0)
	v_pk_mov_b32 v[4:5], 0, 0
	v_cmp_gt_u32_e32 vcc, s14, v13
	v_mov_b32_e32 v10, 0
	v_pk_mov_b32 v[8:9], v[4:5], v[4:5] op_sel:[0,1]
	v_mov_b32_e32 v12, 0
	s_and_saveexec_b64 s[10:11], vcc
	s_cbranch_execz .LBB209_94
; %bb.93:
	v_lshlrev_b32_e32 v8, 2, v0
	global_load_dword v12, v8, s[8:9] offset:2048
	v_mov_b32_e32 v9, s13
	v_add_co_u32_e64 v8, s[0:1], s12, v13
	v_addc_co_u32_e64 v9, s[0:1], 0, v9, s[0:1]
.LBB209_94:
	s_or_b64 exec, exec, s[10:11]
	v_or_b32_e32 v13, 0x300, v0
	v_cmp_gt_u32_e64 s[0:1], s14, v13
	s_and_saveexec_b64 s[10:11], s[0:1]
	s_cbranch_execnz .LBB209_223
; %bb.95:
	s_or_b64 exec, exec, s[10:11]
	s_and_saveexec_b64 s[10:11], s[2:3]
	s_cbranch_execnz .LBB209_224
.LBB209_96:
	s_or_b64 exec, exec, s[10:11]
	s_and_saveexec_b64 s[8:9], vcc
	s_cbranch_execnz .LBB209_225
.LBB209_97:
	s_or_b64 exec, exec, s[8:9]
	s_and_saveexec_b64 s[2:3], s[0:1]
	s_cbranch_execz .LBB209_99
.LBB209_98:
	s_waitcnt vmcnt(0)
	v_cmp_lt_i32_e32 vcc, v10, v1
	v_cmp_lt_i64_e64 s[0:1], v[2:3], v[4:5]
	s_or_b64 vcc, vcc, s[0:1]
	v_cndmask_b32_e32 v6, v10, v1, vcc
	v_cndmask_b32_e32 v2, v4, v2, vcc
	;; [unrolled: 1-line block ×3, first 2 shown]
	v_cmp_lt_i32_e32 vcc, v1, v10
	v_cndmask_b32_e32 v3, v3, v5, vcc
	v_cndmask_b32_e32 v2, v2, v4, vcc
	;; [unrolled: 1-line block ×3, first 2 shown]
.LBB209_99:
	s_or_b64 exec, exec, s[2:3]
	v_mbcnt_lo_u32_b32 v4, -1, 0
	v_mbcnt_hi_u32_b32 v7, -1, v4
	v_and_b32_e32 v8, 63, v7
	v_cmp_ne_u32_e32 vcc, 63, v8
	v_addc_co_u32_e32 v4, vcc, 0, v7, vcc
	v_lshlrev_b32_e32 v5, 2, v4
	s_waitcnt vmcnt(0)
	ds_bpermute_b32 v10, v5, v1
	ds_bpermute_b32 v4, v5, v2
	;; [unrolled: 1-line block ×3, first 2 shown]
	s_min_u32 s8, s14, 0x100
	v_and_b32_e32 v5, 0xc0, v0
	v_sub_u32_e64 v9, s8, v5 clamp
	v_add_u32_e32 v5, 1, v8
	v_cmp_lt_u32_e32 vcc, v5, v9
	s_and_saveexec_b64 s[0:1], vcc
	s_xor_b64 s[2:3], exec, s[0:1]
	s_cbranch_execz .LBB209_101
; %bb.100:
	s_waitcnt lgkmcnt(0)
	v_mov_b32_e32 v5, v6
	v_cmp_lt_i32_e32 vcc, v10, v1
	v_cmp_lt_i64_e64 s[0:1], v[2:3], v[4:5]
	s_or_b64 vcc, vcc, s[0:1]
	v_cndmask_b32_e32 v5, v10, v1, vcc
	v_cndmask_b32_e32 v2, v4, v2, vcc
	v_cndmask_b32_e32 v3, v6, v3, vcc
	v_cmp_lt_i32_e32 vcc, v1, v10
	v_cndmask_b32_e32 v3, v3, v6, vcc
	v_cndmask_b32_e32 v2, v2, v4, vcc
	v_cndmask_b32_e32 v1, v5, v10, vcc
.LBB209_101:
	s_or_b64 exec, exec, s[2:3]
	v_cmp_gt_u32_e32 vcc, 62, v8
	s_waitcnt lgkmcnt(1)
	v_cndmask_b32_e64 v4, 0, 1, vcc
	v_lshlrev_b32_e32 v4, 1, v4
	v_add_lshl_u32 v5, v4, v7, 2
	ds_bpermute_b32 v10, v5, v1
	ds_bpermute_b32 v4, v5, v2
	s_waitcnt lgkmcnt(2)
	ds_bpermute_b32 v6, v5, v3
	v_add_u32_e32 v5, 2, v8
	v_cmp_lt_u32_e32 vcc, v5, v9
	s_and_saveexec_b64 s[2:3], vcc
	s_cbranch_execz .LBB209_103
; %bb.102:
	s_waitcnt lgkmcnt(0)
	v_mov_b32_e32 v5, v6
	v_cmp_lt_i32_e32 vcc, v10, v1
	v_cmp_lt_i64_e64 s[0:1], v[2:3], v[4:5]
	s_or_b64 vcc, vcc, s[0:1]
	v_cndmask_b32_e32 v5, v10, v1, vcc
	v_cndmask_b32_e32 v2, v4, v2, vcc
	v_cndmask_b32_e32 v3, v6, v3, vcc
	v_cmp_lt_i32_e32 vcc, v1, v10
	v_cndmask_b32_e32 v3, v3, v6, vcc
	v_cndmask_b32_e32 v2, v2, v4, vcc
	v_cndmask_b32_e32 v1, v5, v10, vcc
.LBB209_103:
	s_or_b64 exec, exec, s[2:3]
	v_cmp_gt_u32_e32 vcc, 60, v8
	s_waitcnt lgkmcnt(1)
	v_cndmask_b32_e64 v4, 0, 1, vcc
	v_lshlrev_b32_e32 v4, 2, v4
	v_add_lshl_u32 v5, v4, v7, 2
	ds_bpermute_b32 v10, v5, v1
	ds_bpermute_b32 v4, v5, v2
	s_waitcnt lgkmcnt(2)
	ds_bpermute_b32 v6, v5, v3
	v_add_u32_e32 v5, 4, v8
	v_cmp_lt_u32_e32 vcc, v5, v9
	s_and_saveexec_b64 s[2:3], vcc
	;; [unrolled: 28-line block ×4, first 2 shown]
	s_cbranch_execz .LBB209_109
; %bb.108:
	s_waitcnt lgkmcnt(0)
	v_mov_b32_e32 v5, v6
	v_cmp_lt_i32_e32 vcc, v10, v1
	v_cmp_lt_i64_e64 s[0:1], v[2:3], v[4:5]
	s_or_b64 vcc, vcc, s[0:1]
	v_cndmask_b32_e32 v5, v10, v1, vcc
	v_cndmask_b32_e32 v2, v4, v2, vcc
	;; [unrolled: 1-line block ×3, first 2 shown]
	v_cmp_lt_i32_e32 vcc, v1, v10
	v_cndmask_b32_e32 v3, v3, v6, vcc
	v_cndmask_b32_e32 v2, v2, v4, vcc
	v_cndmask_b32_e32 v1, v5, v10, vcc
.LBB209_109:
	s_or_b64 exec, exec, s[2:3]
	v_cmp_gt_u32_e32 vcc, 32, v8
	s_waitcnt lgkmcnt(1)
	v_cndmask_b32_e64 v4, 0, 1, vcc
	v_lshlrev_b32_e32 v4, 5, v4
	v_add_lshl_u32 v5, v4, v7, 2
	s_waitcnt lgkmcnt(0)
	ds_bpermute_b32 v6, v5, v1
	ds_bpermute_b32 v4, v5, v2
	;; [unrolled: 1-line block ×3, first 2 shown]
	v_add_u32_e32 v8, 32, v8
	v_cmp_lt_u32_e32 vcc, v8, v9
	s_and_saveexec_b64 s[2:3], vcc
	s_cbranch_execz .LBB209_111
; %bb.110:
	s_waitcnt lgkmcnt(2)
	v_cmp_lt_i32_e32 vcc, v6, v1
	s_waitcnt lgkmcnt(0)
	v_cmp_lt_i64_e64 s[0:1], v[2:3], v[4:5]
	s_or_b64 vcc, vcc, s[0:1]
	v_cndmask_b32_e32 v8, v6, v1, vcc
	v_cndmask_b32_e32 v2, v4, v2, vcc
	;; [unrolled: 1-line block ×3, first 2 shown]
	v_cmp_lt_i32_e32 vcc, v1, v6
	v_cndmask_b32_e32 v3, v3, v5, vcc
	v_cndmask_b32_e32 v2, v2, v4, vcc
	;; [unrolled: 1-line block ×3, first 2 shown]
.LBB209_111:
	s_or_b64 exec, exec, s[2:3]
	v_cmp_eq_u32_e32 vcc, 0, v7
	s_and_saveexec_b64 s[0:1], vcc
	s_cbranch_execz .LBB209_113
; %bb.112:
	s_waitcnt lgkmcnt(1)
	v_lshrrev_b32_e32 v4, 2, v0
	v_and_b32_e32 v4, 48, v4
	ds_write_b32 v4, v1 offset:256
	ds_write_b64 v4, v[2:3] offset:264
.LBB209_113:
	s_or_b64 exec, exec, s[0:1]
	v_cmp_gt_u32_e32 vcc, 4, v0
	s_waitcnt lgkmcnt(0)
	s_barrier
	s_and_saveexec_b64 s[2:3], vcc
	s_cbranch_execz .LBB209_119
; %bb.114:
	v_lshlrev_b32_e32 v2, 4, v7
	ds_read_b32 v1, v2 offset:256
	ds_read_b64 v[2:3], v2 offset:264
	v_and_b32_e32 v8, 3, v7
	v_cmp_ne_u32_e32 vcc, 3, v8
	v_addc_co_u32_e32 v4, vcc, 0, v7, vcc
	v_lshlrev_b32_e32 v5, 2, v4
	s_waitcnt lgkmcnt(1)
	ds_bpermute_b32 v9, v5, v1
	s_waitcnt lgkmcnt(1)
	ds_bpermute_b32 v4, v5, v2
	ds_bpermute_b32 v6, v5, v3
	s_add_i32 s8, s8, 63
	s_lshr_b32 s10, s8, 6
	v_add_u32_e32 v5, 1, v8
	v_cmp_gt_u32_e32 vcc, s10, v5
	s_and_saveexec_b64 s[8:9], vcc
	s_cbranch_execz .LBB209_116
; %bb.115:
	s_waitcnt lgkmcnt(0)
	v_mov_b32_e32 v5, v6
	v_cmp_lt_i32_e32 vcc, v9, v1
	v_cmp_lt_i64_e64 s[0:1], v[2:3], v[4:5]
	s_or_b64 vcc, vcc, s[0:1]
	v_cndmask_b32_e32 v5, v9, v1, vcc
	v_cndmask_b32_e32 v2, v4, v2, vcc
	;; [unrolled: 1-line block ×3, first 2 shown]
	v_cmp_lt_i32_e32 vcc, v1, v9
	v_cndmask_b32_e32 v3, v3, v6, vcc
	v_cndmask_b32_e32 v2, v2, v4, vcc
	v_cndmask_b32_e32 v1, v5, v9, vcc
.LBB209_116:
	s_or_b64 exec, exec, s[8:9]
	v_cmp_gt_u32_e32 vcc, 2, v8
	s_waitcnt lgkmcnt(1)
	v_cndmask_b32_e64 v4, 0, 1, vcc
	v_lshlrev_b32_e32 v4, 1, v4
	v_add_lshl_u32 v5, v4, v7, 2
	s_waitcnt lgkmcnt(0)
	ds_bpermute_b32 v6, v5, v1
	ds_bpermute_b32 v4, v5, v2
	;; [unrolled: 1-line block ×3, first 2 shown]
	v_add_u32_e32 v7, 2, v8
	v_cmp_gt_u32_e32 vcc, s10, v7
	s_and_saveexec_b64 s[8:9], vcc
	s_cbranch_execz .LBB209_118
; %bb.117:
	s_waitcnt lgkmcnt(2)
	v_cmp_lt_i32_e32 vcc, v6, v1
	s_waitcnt lgkmcnt(0)
	v_cmp_lt_i64_e64 s[0:1], v[2:3], v[4:5]
	s_or_b64 vcc, vcc, s[0:1]
	v_cndmask_b32_e32 v7, v6, v1, vcc
	v_cndmask_b32_e32 v2, v4, v2, vcc
	;; [unrolled: 1-line block ×3, first 2 shown]
	v_cmp_lt_i32_e32 vcc, v1, v6
	v_cndmask_b32_e32 v3, v3, v5, vcc
	v_cndmask_b32_e32 v2, v2, v4, vcc
	;; [unrolled: 1-line block ×3, first 2 shown]
.LBB209_118:
	s_or_b64 exec, exec, s[8:9]
.LBB209_119:
	s_or_b64 exec, exec, s[2:3]
.LBB209_120:
	v_cmp_eq_u32_e64 s[0:1], 0, v0
	s_branch .LBB209_189
.LBB209_121:
	s_cmp_gt_i32 s30, 1
	s_cbranch_scc0 .LBB209_139
; %bb.122:
	s_cmp_eq_u32 s30, 2
	s_cbranch_scc0 .LBB209_140
; %bb.123:
	s_mov_b32 s7, 0
	s_lshl_b32 s8, s6, 9
	s_mov_b32 s9, s7
	s_lshr_b64 s[0:1], s[24:25], 9
	s_lshl_b64 s[2:3], s[8:9], 2
	s_add_u32 s2, s20, s2
	s_addc_u32 s3, s21, s3
	s_add_u32 s12, s22, s8
	s_addc_u32 s13, s23, 0
	s_cmp_lg_u64 s[0:1], s[6:7]
	s_cbranch_scc0 .LBB209_141
; %bb.124:
	v_lshlrev_b32_e32 v1, 2, v0
	global_load_dword v2, v1, s[2:3]
	global_load_dword v3, v1, s[2:3] offset:1024
	v_mov_b32_e32 v1, s13
	s_waitcnt lgkmcnt(1)
	v_add_co_u32_e32 v4, vcc, s12, v0
	s_waitcnt lgkmcnt(0)
	v_addc_co_u32_e32 v5, vcc, 0, v1, vcc
	v_add_co_u32_e32 v6, vcc, 0x100, v4
	v_addc_co_u32_e32 v7, vcc, 0, v5, vcc
	s_waitcnt vmcnt(0)
	v_max_i32_e32 v1, v2, v3
	v_cmp_lt_i32_e32 vcc, v2, v3
	v_cndmask_b32_e32 v3, v5, v7, vcc
	v_cndmask_b32_e32 v2, v4, v6, vcc
	v_mov_b32_dpp v7, v1 quad_perm:[1,0,3,2] row_mask:0xf bank_mask:0xf bound_ctrl:1
	v_mov_b32_dpp v6, v3 quad_perm:[1,0,3,2] row_mask:0xf bank_mask:0xf bound_ctrl:1
	;; [unrolled: 1-line block ×3, first 2 shown]
	v_cmp_ge_i32_e32 vcc, v7, v1
	s_and_saveexec_b64 s[10:11], vcc
; %bb.125:
	v_mov_b32_e32 v5, v6
	v_cmp_gt_i32_e32 vcc, v7, v1
	v_cmp_lt_i64_e64 s[0:1], v[4:5], v[2:3]
	s_or_b64 vcc, vcc, s[0:1]
	v_cndmask_b32_e32 v3, v3, v6, vcc
	v_cndmask_b32_e32 v2, v2, v4, vcc
	;; [unrolled: 1-line block ×3, first 2 shown]
; %bb.126:
	s_or_b64 exec, exec, s[10:11]
	s_nop 0
	v_mov_b32_dpp v7, v1 quad_perm:[2,3,0,1] row_mask:0xf bank_mask:0xf bound_ctrl:1
	v_mov_b32_dpp v4, v2 quad_perm:[2,3,0,1] row_mask:0xf bank_mask:0xf bound_ctrl:1
	;; [unrolled: 1-line block ×3, first 2 shown]
	v_cmp_ge_i32_e32 vcc, v7, v1
	s_and_saveexec_b64 s[10:11], vcc
; %bb.127:
	v_mov_b32_e32 v5, v6
	v_cmp_lt_i32_e32 vcc, v1, v7
	v_cmp_lt_i64_e64 s[0:1], v[4:5], v[2:3]
	s_or_b64 vcc, vcc, s[0:1]
	v_cndmask_b32_e32 v3, v3, v6, vcc
	v_cndmask_b32_e32 v2, v2, v4, vcc
	;; [unrolled: 1-line block ×3, first 2 shown]
; %bb.128:
	s_or_b64 exec, exec, s[10:11]
	s_nop 0
	v_mov_b32_dpp v7, v1 row_ror:4 row_mask:0xf bank_mask:0xf bound_ctrl:1
	v_mov_b32_dpp v4, v2 row_ror:4 row_mask:0xf bank_mask:0xf bound_ctrl:1
	;; [unrolled: 1-line block ×3, first 2 shown]
	v_cmp_ge_i32_e32 vcc, v7, v1
	s_and_saveexec_b64 s[10:11], vcc
; %bb.129:
	v_mov_b32_e32 v5, v6
	v_cmp_lt_i32_e32 vcc, v1, v7
	v_cmp_lt_i64_e64 s[0:1], v[4:5], v[2:3]
	s_or_b64 vcc, vcc, s[0:1]
	v_cndmask_b32_e32 v3, v3, v6, vcc
	v_cndmask_b32_e32 v2, v2, v4, vcc
	v_cndmask_b32_e32 v1, v1, v7, vcc
; %bb.130:
	s_or_b64 exec, exec, s[10:11]
	s_nop 0
	v_mov_b32_dpp v7, v1 row_ror:8 row_mask:0xf bank_mask:0xf bound_ctrl:1
	v_mov_b32_dpp v4, v2 row_ror:8 row_mask:0xf bank_mask:0xf bound_ctrl:1
	;; [unrolled: 1-line block ×3, first 2 shown]
	v_cmp_ge_i32_e32 vcc, v7, v1
	s_and_saveexec_b64 s[10:11], vcc
; %bb.131:
	v_mov_b32_e32 v5, v6
	v_cmp_lt_i32_e32 vcc, v1, v7
	v_cmp_lt_i64_e64 s[0:1], v[4:5], v[2:3]
	s_or_b64 vcc, vcc, s[0:1]
	v_cndmask_b32_e32 v3, v3, v6, vcc
	v_cndmask_b32_e32 v2, v2, v4, vcc
	v_cndmask_b32_e32 v1, v1, v7, vcc
; %bb.132:
	s_or_b64 exec, exec, s[10:11]
	s_nop 0
	v_mov_b32_dpp v7, v1 row_bcast:15 row_mask:0xf bank_mask:0xf bound_ctrl:1
	v_mov_b32_dpp v4, v2 row_bcast:15 row_mask:0xf bank_mask:0xf bound_ctrl:1
	;; [unrolled: 1-line block ×3, first 2 shown]
	v_cmp_ge_i32_e32 vcc, v7, v1
	s_and_saveexec_b64 s[10:11], vcc
; %bb.133:
	v_mov_b32_e32 v5, v6
	v_cmp_lt_i32_e32 vcc, v1, v7
	v_cmp_lt_i64_e64 s[0:1], v[4:5], v[2:3]
	s_or_b64 vcc, vcc, s[0:1]
	v_cndmask_b32_e32 v3, v3, v6, vcc
	v_cndmask_b32_e32 v2, v2, v4, vcc
	;; [unrolled: 1-line block ×3, first 2 shown]
; %bb.134:
	s_or_b64 exec, exec, s[10:11]
	s_nop 0
	v_mov_b32_dpp v5, v1 row_bcast:31 row_mask:0xf bank_mask:0xf bound_ctrl:1
	v_mov_b32_dpp v6, v2 row_bcast:31 row_mask:0xf bank_mask:0xf bound_ctrl:1
	;; [unrolled: 1-line block ×3, first 2 shown]
	v_cmp_lt_i32_e32 vcc, v1, v5
	v_cmp_lt_i64_e64 s[0:1], v[6:7], v[2:3]
	v_mbcnt_lo_u32_b32 v4, -1, 0
	s_or_b64 vcc, vcc, s[0:1]
	v_mbcnt_hi_u32_b32 v4, -1, v4
	v_cndmask_b32_e32 v8, v1, v5, vcc
	v_cndmask_b32_e32 v6, v2, v6, vcc
	;; [unrolled: 1-line block ×3, first 2 shown]
	v_cmp_lt_i32_e32 vcc, v5, v1
	v_bfrev_b32_e32 v5, 0.5
	v_cndmask_b32_e32 v3, v7, v3, vcc
	v_cndmask_b32_e32 v2, v6, v2, vcc
	;; [unrolled: 1-line block ×3, first 2 shown]
	v_lshl_or_b32 v5, v4, 2, v5
	ds_bpermute_b32 v1, v5, v1
	ds_bpermute_b32 v2, v5, v2
	;; [unrolled: 1-line block ×3, first 2 shown]
	v_cmp_eq_u32_e32 vcc, 0, v4
	s_and_saveexec_b64 s[0:1], vcc
	s_cbranch_execz .LBB209_136
; %bb.135:
	v_lshrrev_b32_e32 v5, 2, v0
	v_and_b32_e32 v5, 48, v5
	s_waitcnt lgkmcnt(2)
	ds_write_b32 v5, v1 offset:64
	s_waitcnt lgkmcnt(1)
	ds_write_b64 v5, v[2:3] offset:72
.LBB209_136:
	s_or_b64 exec, exec, s[0:1]
	v_cmp_gt_u32_e32 vcc, 64, v0
	s_waitcnt lgkmcnt(0)
	s_barrier
	s_and_saveexec_b64 s[10:11], vcc
	s_cbranch_execz .LBB209_138
; %bb.137:
	v_and_b32_e32 v1, 3, v4
	v_lshlrev_b32_e32 v2, 4, v1
	ds_read_b32 v5, v2 offset:64
	ds_read_b64 v[2:3], v2 offset:72
	v_cmp_ne_u32_e32 vcc, 3, v1
	v_addc_co_u32_e32 v6, vcc, 0, v4, vcc
	v_lshlrev_b32_e32 v7, 2, v6
	s_waitcnt lgkmcnt(0)
	ds_bpermute_b32 v6, v7, v3
	ds_bpermute_b32 v10, v7, v5
	;; [unrolled: 1-line block ×3, first 2 shown]
	s_waitcnt lgkmcnt(2)
	v_mov_b32_e32 v9, v6
	s_waitcnt lgkmcnt(1)
	v_cmp_lt_i32_e32 vcc, v10, v5
	s_waitcnt lgkmcnt(0)
	v_cmp_gt_i64_e64 s[0:1], v[8:9], v[2:3]
	s_or_b64 vcc, vcc, s[0:1]
	v_cndmask_b32_e32 v7, v10, v5, vcc
	v_cndmask_b32_e32 v2, v8, v2, vcc
	v_cndmask_b32_e32 v3, v6, v3, vcc
	v_cmp_gt_i32_e32 vcc, v10, v5
	v_cndmask_b32_e32 v3, v3, v6, vcc
	v_cndmask_b32_e32 v2, v2, v8, vcc
	v_cndmask_b32_e32 v5, v7, v10, vcc
	v_cmp_gt_u32_e32 vcc, 2, v1
	v_cndmask_b32_e64 v1, 0, 1, vcc
	v_lshlrev_b32_e32 v1, 1, v1
	v_add_lshl_u32 v1, v1, v4, 2
	ds_bpermute_b32 v4, v1, v3
	ds_bpermute_b32 v8, v1, v5
	;; [unrolled: 1-line block ×3, first 2 shown]
	s_waitcnt lgkmcnt(2)
	v_mov_b32_e32 v7, v4
	s_waitcnt lgkmcnt(1)
	v_cmp_lt_i32_e32 vcc, v8, v5
	s_waitcnt lgkmcnt(0)
	v_cmp_lt_i64_e64 s[0:1], v[2:3], v[6:7]
	s_or_b64 vcc, vcc, s[0:1]
	v_cndmask_b32_e32 v1, v8, v5, vcc
	v_cndmask_b32_e32 v2, v6, v2, vcc
	;; [unrolled: 1-line block ×3, first 2 shown]
	v_cmp_lt_i32_e32 vcc, v5, v8
	v_cndmask_b32_e32 v3, v3, v4, vcc
	v_cndmask_b32_e32 v2, v2, v6, vcc
	;; [unrolled: 1-line block ×3, first 2 shown]
.LBB209_138:
	s_or_b64 exec, exec, s[10:11]
	s_branch .LBB209_169
.LBB209_139:
                                        ; implicit-def: $vgpr2_vgpr3
                                        ; implicit-def: $vgpr1
	s_cbranch_execnz .LBB209_170
	s_branch .LBB209_189
.LBB209_140:
                                        ; implicit-def: $vgpr2_vgpr3
                                        ; implicit-def: $vgpr1
	s_branch .LBB209_189
.LBB209_141:
                                        ; implicit-def: $vgpr1
                                        ; implicit-def: $vgpr2_vgpr3
	s_cbranch_execz .LBB209_169
; %bb.142:
	s_sub_i32 s10, s24, s8
	s_waitcnt lgkmcnt(0)
	v_pk_mov_b32 v[4:5], 0, 0
	v_cmp_gt_u32_e32 vcc, s10, v0
	v_mov_b32_e32 v6, 0
	v_pk_mov_b32 v[2:3], v[4:5], v[4:5] op_sel:[0,1]
	v_mov_b32_e32 v1, 0
	s_and_saveexec_b64 s[0:1], vcc
	s_cbranch_execz .LBB209_144
; %bb.143:
	v_lshlrev_b32_e32 v1, 2, v0
	global_load_dword v1, v1, s[2:3]
	v_mov_b32_e32 v3, s13
	v_add_co_u32_e32 v2, vcc, s12, v0
	v_addc_co_u32_e32 v3, vcc, 0, v3, vcc
.LBB209_144:
	s_or_b64 exec, exec, s[0:1]
	v_or_b32_e32 v7, 0x100, v0
	v_cmp_gt_u32_e32 vcc, s10, v7
	s_and_saveexec_b64 s[8:9], vcc
	s_cbranch_execz .LBB209_146
; %bb.145:
	v_lshlrev_b32_e32 v4, 2, v0
	global_load_dword v6, v4, s[2:3] offset:1024
	v_mov_b32_e32 v5, s13
	v_add_co_u32_e64 v4, s[0:1], s12, v7
	v_addc_co_u32_e64 v5, s[0:1], 0, v5, s[0:1]
.LBB209_146:
	s_or_b64 exec, exec, s[8:9]
	s_and_saveexec_b64 s[2:3], vcc
	s_cbranch_execz .LBB209_148
; %bb.147:
	s_waitcnt vmcnt(0)
	v_cmp_lt_i32_e32 vcc, v6, v1
	v_cmp_lt_i64_e64 s[0:1], v[2:3], v[4:5]
	s_or_b64 vcc, vcc, s[0:1]
	v_cndmask_b32_e32 v7, v6, v1, vcc
	v_cndmask_b32_e32 v2, v4, v2, vcc
	;; [unrolled: 1-line block ×3, first 2 shown]
	v_cmp_lt_i32_e32 vcc, v1, v6
	v_cndmask_b32_e32 v3, v3, v5, vcc
	v_cndmask_b32_e32 v2, v2, v4, vcc
	;; [unrolled: 1-line block ×3, first 2 shown]
.LBB209_148:
	s_or_b64 exec, exec, s[2:3]
	v_mbcnt_lo_u32_b32 v4, -1, 0
	v_mbcnt_hi_u32_b32 v7, -1, v4
	v_and_b32_e32 v8, 63, v7
	v_cmp_ne_u32_e32 vcc, 63, v8
	v_addc_co_u32_e32 v4, vcc, 0, v7, vcc
	v_lshlrev_b32_e32 v5, 2, v4
	s_waitcnt vmcnt(0)
	ds_bpermute_b32 v10, v5, v1
	ds_bpermute_b32 v4, v5, v2
	;; [unrolled: 1-line block ×3, first 2 shown]
	s_min_u32 s8, s10, 0x100
	v_and_b32_e32 v5, 0xc0, v0
	v_sub_u32_e64 v9, s8, v5 clamp
	v_add_u32_e32 v5, 1, v8
	v_cmp_lt_u32_e32 vcc, v5, v9
	s_and_saveexec_b64 s[2:3], vcc
	s_cbranch_execz .LBB209_150
; %bb.149:
	s_waitcnt lgkmcnt(0)
	v_mov_b32_e32 v5, v6
	v_cmp_lt_i32_e32 vcc, v10, v1
	v_cmp_lt_i64_e64 s[0:1], v[2:3], v[4:5]
	s_or_b64 vcc, vcc, s[0:1]
	v_cndmask_b32_e32 v5, v10, v1, vcc
	v_cndmask_b32_e32 v2, v4, v2, vcc
	v_cndmask_b32_e32 v3, v6, v3, vcc
	v_cmp_lt_i32_e32 vcc, v1, v10
	v_cndmask_b32_e32 v3, v3, v6, vcc
	v_cndmask_b32_e32 v2, v2, v4, vcc
	v_cndmask_b32_e32 v1, v5, v10, vcc
.LBB209_150:
	s_or_b64 exec, exec, s[2:3]
	v_cmp_gt_u32_e32 vcc, 62, v8
	s_waitcnt lgkmcnt(1)
	v_cndmask_b32_e64 v4, 0, 1, vcc
	v_lshlrev_b32_e32 v4, 1, v4
	v_add_lshl_u32 v5, v4, v7, 2
	ds_bpermute_b32 v10, v5, v1
	ds_bpermute_b32 v4, v5, v2
	s_waitcnt lgkmcnt(2)
	ds_bpermute_b32 v6, v5, v3
	v_add_u32_e32 v5, 2, v8
	v_cmp_lt_u32_e32 vcc, v5, v9
	s_and_saveexec_b64 s[2:3], vcc
	s_cbranch_execz .LBB209_152
; %bb.151:
	s_waitcnt lgkmcnt(0)
	v_mov_b32_e32 v5, v6
	v_cmp_lt_i32_e32 vcc, v10, v1
	v_cmp_lt_i64_e64 s[0:1], v[2:3], v[4:5]
	s_or_b64 vcc, vcc, s[0:1]
	v_cndmask_b32_e32 v5, v10, v1, vcc
	v_cndmask_b32_e32 v2, v4, v2, vcc
	v_cndmask_b32_e32 v3, v6, v3, vcc
	v_cmp_lt_i32_e32 vcc, v1, v10
	v_cndmask_b32_e32 v3, v3, v6, vcc
	v_cndmask_b32_e32 v2, v2, v4, vcc
	v_cndmask_b32_e32 v1, v5, v10, vcc
.LBB209_152:
	s_or_b64 exec, exec, s[2:3]
	v_cmp_gt_u32_e32 vcc, 60, v8
	s_waitcnt lgkmcnt(1)
	v_cndmask_b32_e64 v4, 0, 1, vcc
	v_lshlrev_b32_e32 v4, 2, v4
	v_add_lshl_u32 v5, v4, v7, 2
	ds_bpermute_b32 v10, v5, v1
	ds_bpermute_b32 v4, v5, v2
	s_waitcnt lgkmcnt(2)
	ds_bpermute_b32 v6, v5, v3
	;; [unrolled: 28-line block ×4, first 2 shown]
	v_add_u32_e32 v5, 16, v8
	v_cmp_lt_u32_e32 vcc, v5, v9
	s_and_saveexec_b64 s[2:3], vcc
	s_cbranch_execz .LBB209_158
; %bb.157:
	s_waitcnt lgkmcnt(0)
	v_mov_b32_e32 v5, v6
	v_cmp_lt_i32_e32 vcc, v10, v1
	v_cmp_lt_i64_e64 s[0:1], v[2:3], v[4:5]
	s_or_b64 vcc, vcc, s[0:1]
	v_cndmask_b32_e32 v5, v10, v1, vcc
	v_cndmask_b32_e32 v2, v4, v2, vcc
	v_cndmask_b32_e32 v3, v6, v3, vcc
	v_cmp_lt_i32_e32 vcc, v1, v10
	v_cndmask_b32_e32 v3, v3, v6, vcc
	v_cndmask_b32_e32 v2, v2, v4, vcc
	;; [unrolled: 1-line block ×3, first 2 shown]
.LBB209_158:
	s_or_b64 exec, exec, s[2:3]
	v_cmp_gt_u32_e32 vcc, 32, v8
	s_waitcnt lgkmcnt(1)
	v_cndmask_b32_e64 v4, 0, 1, vcc
	v_lshlrev_b32_e32 v4, 5, v4
	v_add_lshl_u32 v5, v4, v7, 2
	s_waitcnt lgkmcnt(0)
	ds_bpermute_b32 v6, v5, v1
	ds_bpermute_b32 v4, v5, v2
	;; [unrolled: 1-line block ×3, first 2 shown]
	v_add_u32_e32 v8, 32, v8
	v_cmp_lt_u32_e32 vcc, v8, v9
	s_and_saveexec_b64 s[2:3], vcc
	s_cbranch_execz .LBB209_160
; %bb.159:
	s_waitcnt lgkmcnt(2)
	v_cmp_lt_i32_e32 vcc, v6, v1
	s_waitcnt lgkmcnt(0)
	v_cmp_lt_i64_e64 s[0:1], v[2:3], v[4:5]
	s_or_b64 vcc, vcc, s[0:1]
	v_cndmask_b32_e32 v8, v6, v1, vcc
	v_cndmask_b32_e32 v2, v4, v2, vcc
	;; [unrolled: 1-line block ×3, first 2 shown]
	v_cmp_lt_i32_e32 vcc, v1, v6
	v_cndmask_b32_e32 v3, v3, v5, vcc
	v_cndmask_b32_e32 v2, v2, v4, vcc
	;; [unrolled: 1-line block ×3, first 2 shown]
.LBB209_160:
	s_or_b64 exec, exec, s[2:3]
	v_cmp_eq_u32_e32 vcc, 0, v7
	s_and_saveexec_b64 s[0:1], vcc
	s_cbranch_execz .LBB209_162
; %bb.161:
	s_waitcnt lgkmcnt(1)
	v_lshrrev_b32_e32 v4, 2, v0
	v_and_b32_e32 v4, 48, v4
	ds_write_b32 v4, v1 offset:256
	ds_write_b64 v4, v[2:3] offset:264
.LBB209_162:
	s_or_b64 exec, exec, s[0:1]
	v_cmp_gt_u32_e32 vcc, 4, v0
	s_waitcnt lgkmcnt(0)
	s_barrier
	s_and_saveexec_b64 s[2:3], vcc
	s_cbranch_execz .LBB209_168
; %bb.163:
	v_lshlrev_b32_e32 v2, 4, v7
	ds_read_b32 v1, v2 offset:256
	ds_read_b64 v[2:3], v2 offset:264
	v_and_b32_e32 v8, 3, v7
	v_cmp_ne_u32_e32 vcc, 3, v8
	v_addc_co_u32_e32 v4, vcc, 0, v7, vcc
	v_lshlrev_b32_e32 v5, 2, v4
	s_waitcnt lgkmcnt(1)
	ds_bpermute_b32 v9, v5, v1
	s_waitcnt lgkmcnt(1)
	ds_bpermute_b32 v4, v5, v2
	ds_bpermute_b32 v6, v5, v3
	s_add_i32 s8, s8, 63
	s_lshr_b32 s10, s8, 6
	v_add_u32_e32 v5, 1, v8
	v_cmp_gt_u32_e32 vcc, s10, v5
	s_and_saveexec_b64 s[8:9], vcc
	s_cbranch_execz .LBB209_165
; %bb.164:
	s_waitcnt lgkmcnt(0)
	v_mov_b32_e32 v5, v6
	v_cmp_lt_i32_e32 vcc, v9, v1
	v_cmp_lt_i64_e64 s[0:1], v[2:3], v[4:5]
	s_or_b64 vcc, vcc, s[0:1]
	v_cndmask_b32_e32 v5, v9, v1, vcc
	v_cndmask_b32_e32 v2, v4, v2, vcc
	;; [unrolled: 1-line block ×3, first 2 shown]
	v_cmp_lt_i32_e32 vcc, v1, v9
	v_cndmask_b32_e32 v3, v3, v6, vcc
	v_cndmask_b32_e32 v2, v2, v4, vcc
	;; [unrolled: 1-line block ×3, first 2 shown]
.LBB209_165:
	s_or_b64 exec, exec, s[8:9]
	v_cmp_gt_u32_e32 vcc, 2, v8
	s_waitcnt lgkmcnt(1)
	v_cndmask_b32_e64 v4, 0, 1, vcc
	v_lshlrev_b32_e32 v4, 1, v4
	v_add_lshl_u32 v5, v4, v7, 2
	s_waitcnt lgkmcnt(0)
	ds_bpermute_b32 v6, v5, v1
	ds_bpermute_b32 v4, v5, v2
	;; [unrolled: 1-line block ×3, first 2 shown]
	v_add_u32_e32 v7, 2, v8
	v_cmp_gt_u32_e32 vcc, s10, v7
	s_and_saveexec_b64 s[8:9], vcc
	s_cbranch_execz .LBB209_167
; %bb.166:
	s_waitcnt lgkmcnt(2)
	v_cmp_lt_i32_e32 vcc, v6, v1
	s_waitcnt lgkmcnt(0)
	v_cmp_lt_i64_e64 s[0:1], v[2:3], v[4:5]
	s_or_b64 vcc, vcc, s[0:1]
	v_cndmask_b32_e32 v7, v6, v1, vcc
	v_cndmask_b32_e32 v2, v4, v2, vcc
	;; [unrolled: 1-line block ×3, first 2 shown]
	v_cmp_lt_i32_e32 vcc, v1, v6
	v_cndmask_b32_e32 v3, v3, v5, vcc
	v_cndmask_b32_e32 v2, v2, v4, vcc
	;; [unrolled: 1-line block ×3, first 2 shown]
.LBB209_167:
	s_or_b64 exec, exec, s[8:9]
.LBB209_168:
	s_or_b64 exec, exec, s[2:3]
.LBB209_169:
	v_cmp_eq_u32_e64 s[0:1], 0, v0
	s_branch .LBB209_189
.LBB209_170:
	s_cmp_eq_u32 s30, 1
	s_cbranch_scc0 .LBB209_188
; %bb.171:
	s_mov_b32 s3, 0
	s_lshl_b32 s2, s6, 8
	s_mov_b32 s7, s3
	s_lshr_b64 s[0:1], s[24:25], 8
	s_cmp_lg_u64 s[0:1], s[6:7]
	s_cbranch_scc0 .LBB209_192
; %bb.172:
	s_lshl_b64 s[0:1], s[2:3], 2
	s_add_u32 s0, s20, s0
	s_addc_u32 s1, s21, s1
	v_lshlrev_b32_e32 v1, 2, v0
	global_load_dword v1, v1, s[0:1]
	s_add_u32 s0, s22, s2
	s_addc_u32 s1, s23, 0
	v_mov_b32_e32 v3, s1
	v_add_co_u32_e32 v2, vcc, s0, v0
	v_addc_co_u32_e32 v3, vcc, 0, v3, vcc
	s_waitcnt lgkmcnt(1)
	v_mov_b32_dpp v4, v2 quad_perm:[1,0,3,2] row_mask:0xf bank_mask:0xf bound_ctrl:1
	v_mov_b32_dpp v6, v3 quad_perm:[1,0,3,2] row_mask:0xf bank_mask:0xf bound_ctrl:1
	s_waitcnt vmcnt(0)
	v_mov_b32_dpp v7, v1 quad_perm:[1,0,3,2] row_mask:0xf bank_mask:0xf bound_ctrl:1
	v_cmp_ge_i32_e32 vcc, v7, v1
	s_and_saveexec_b64 s[8:9], vcc
	s_cbranch_execz .LBB209_174
; %bb.173:
	s_waitcnt lgkmcnt(0)
	v_mov_b32_e32 v5, v6
	v_cmp_gt_i32_e32 vcc, v7, v1
	v_cmp_lt_i64_e64 s[0:1], v[4:5], v[2:3]
	s_or_b64 vcc, vcc, s[0:1]
	v_cndmask_b32_e32 v3, v3, v6, vcc
	v_cndmask_b32_e32 v2, v2, v4, vcc
	;; [unrolled: 1-line block ×3, first 2 shown]
.LBB209_174:
	s_or_b64 exec, exec, s[8:9]
	s_nop 0
	v_mov_b32_dpp v7, v1 quad_perm:[2,3,0,1] row_mask:0xf bank_mask:0xf bound_ctrl:1
	v_mov_b32_dpp v4, v2 quad_perm:[2,3,0,1] row_mask:0xf bank_mask:0xf bound_ctrl:1
	v_mov_b32_dpp v6, v3 quad_perm:[2,3,0,1] row_mask:0xf bank_mask:0xf bound_ctrl:1
	v_cmp_ge_i32_e32 vcc, v7, v1
	s_and_saveexec_b64 s[8:9], vcc
	s_cbranch_execz .LBB209_176
; %bb.175:
	s_waitcnt lgkmcnt(0)
	v_mov_b32_e32 v5, v6
	v_cmp_lt_i32_e32 vcc, v1, v7
	v_cmp_lt_i64_e64 s[0:1], v[4:5], v[2:3]
	s_or_b64 vcc, vcc, s[0:1]
	v_cndmask_b32_e32 v3, v3, v6, vcc
	v_cndmask_b32_e32 v2, v2, v4, vcc
	;; [unrolled: 1-line block ×3, first 2 shown]
.LBB209_176:
	s_or_b64 exec, exec, s[8:9]
	s_nop 0
	v_mov_b32_dpp v7, v1 row_ror:4 row_mask:0xf bank_mask:0xf bound_ctrl:1
	v_mov_b32_dpp v4, v2 row_ror:4 row_mask:0xf bank_mask:0xf bound_ctrl:1
	;; [unrolled: 1-line block ×3, first 2 shown]
	v_cmp_ge_i32_e32 vcc, v7, v1
	s_and_saveexec_b64 s[8:9], vcc
	s_cbranch_execz .LBB209_178
; %bb.177:
	s_waitcnt lgkmcnt(0)
	v_mov_b32_e32 v5, v6
	v_cmp_lt_i32_e32 vcc, v1, v7
	v_cmp_lt_i64_e64 s[0:1], v[4:5], v[2:3]
	s_or_b64 vcc, vcc, s[0:1]
	v_cndmask_b32_e32 v3, v3, v6, vcc
	v_cndmask_b32_e32 v2, v2, v4, vcc
	;; [unrolled: 1-line block ×3, first 2 shown]
.LBB209_178:
	s_or_b64 exec, exec, s[8:9]
	s_nop 0
	v_mov_b32_dpp v7, v1 row_ror:8 row_mask:0xf bank_mask:0xf bound_ctrl:1
	v_mov_b32_dpp v4, v2 row_ror:8 row_mask:0xf bank_mask:0xf bound_ctrl:1
	;; [unrolled: 1-line block ×3, first 2 shown]
	v_cmp_ge_i32_e32 vcc, v7, v1
	s_and_saveexec_b64 s[8:9], vcc
	s_cbranch_execz .LBB209_180
; %bb.179:
	s_waitcnt lgkmcnt(0)
	v_mov_b32_e32 v5, v6
	v_cmp_lt_i32_e32 vcc, v1, v7
	v_cmp_lt_i64_e64 s[0:1], v[4:5], v[2:3]
	s_or_b64 vcc, vcc, s[0:1]
	v_cndmask_b32_e32 v3, v3, v6, vcc
	v_cndmask_b32_e32 v2, v2, v4, vcc
	;; [unrolled: 1-line block ×3, first 2 shown]
.LBB209_180:
	s_or_b64 exec, exec, s[8:9]
	s_nop 0
	v_mov_b32_dpp v7, v1 row_bcast:15 row_mask:0xf bank_mask:0xf bound_ctrl:1
	v_mov_b32_dpp v4, v2 row_bcast:15 row_mask:0xf bank_mask:0xf bound_ctrl:1
	;; [unrolled: 1-line block ×3, first 2 shown]
	v_cmp_ge_i32_e32 vcc, v7, v1
	s_and_saveexec_b64 s[8:9], vcc
	s_cbranch_execz .LBB209_182
; %bb.181:
	s_waitcnt lgkmcnt(0)
	v_mov_b32_e32 v5, v6
	v_cmp_lt_i32_e32 vcc, v1, v7
	v_cmp_lt_i64_e64 s[0:1], v[4:5], v[2:3]
	s_or_b64 vcc, vcc, s[0:1]
	v_cndmask_b32_e32 v3, v3, v6, vcc
	v_cndmask_b32_e32 v2, v2, v4, vcc
	v_cndmask_b32_e32 v1, v1, v7, vcc
.LBB209_182:
	s_or_b64 exec, exec, s[8:9]
	s_waitcnt lgkmcnt(0)
	v_mov_b32_dpp v5, v1 row_bcast:31 row_mask:0xf bank_mask:0xf bound_ctrl:1
	v_mov_b32_dpp v6, v2 row_bcast:31 row_mask:0xf bank_mask:0xf bound_ctrl:1
	;; [unrolled: 1-line block ×3, first 2 shown]
	v_cmp_lt_i32_e32 vcc, v1, v5
	v_cmp_lt_i64_e64 s[0:1], v[6:7], v[2:3]
	v_mbcnt_lo_u32_b32 v4, -1, 0
	s_or_b64 vcc, vcc, s[0:1]
	v_mbcnt_hi_u32_b32 v4, -1, v4
	v_cndmask_b32_e32 v8, v1, v5, vcc
	v_cndmask_b32_e32 v6, v2, v6, vcc
	v_cndmask_b32_e32 v7, v3, v7, vcc
	v_cmp_lt_i32_e32 vcc, v5, v1
	v_bfrev_b32_e32 v5, 0.5
	v_cndmask_b32_e32 v3, v7, v3, vcc
	v_cndmask_b32_e32 v2, v6, v2, vcc
	;; [unrolled: 1-line block ×3, first 2 shown]
	v_lshl_or_b32 v5, v4, 2, v5
	ds_bpermute_b32 v1, v5, v1
	ds_bpermute_b32 v2, v5, v2
	;; [unrolled: 1-line block ×3, first 2 shown]
	v_cmp_eq_u32_e32 vcc, 0, v4
	s_and_saveexec_b64 s[0:1], vcc
	s_cbranch_execz .LBB209_184
; %bb.183:
	v_lshrrev_b32_e32 v5, 2, v0
	v_and_b32_e32 v5, 48, v5
	s_waitcnt lgkmcnt(2)
	ds_write_b32 v5, v1
	s_waitcnt lgkmcnt(1)
	ds_write_b64 v5, v[2:3] offset:8
.LBB209_184:
	s_or_b64 exec, exec, s[0:1]
	v_cmp_gt_u32_e32 vcc, 64, v0
	s_waitcnt lgkmcnt(0)
	s_barrier
	s_and_saveexec_b64 s[8:9], vcc
	s_cbranch_execz .LBB209_186
; %bb.185:
	v_and_b32_e32 v1, 3, v4
	v_lshlrev_b32_e32 v2, 4, v1
	ds_read_b32 v5, v2
	ds_read_b64 v[2:3], v2 offset:8
	v_cmp_ne_u32_e32 vcc, 3, v1
	v_addc_co_u32_e32 v6, vcc, 0, v4, vcc
	v_lshlrev_b32_e32 v7, 2, v6
	s_waitcnt lgkmcnt(0)
	ds_bpermute_b32 v6, v7, v3
	ds_bpermute_b32 v10, v7, v5
	;; [unrolled: 1-line block ×3, first 2 shown]
	s_waitcnt lgkmcnt(2)
	v_mov_b32_e32 v9, v6
	s_waitcnt lgkmcnt(1)
	v_cmp_lt_i32_e32 vcc, v10, v5
	s_waitcnt lgkmcnt(0)
	v_cmp_gt_i64_e64 s[0:1], v[8:9], v[2:3]
	s_or_b64 vcc, vcc, s[0:1]
	v_cndmask_b32_e32 v7, v10, v5, vcc
	v_cndmask_b32_e32 v2, v8, v2, vcc
	;; [unrolled: 1-line block ×3, first 2 shown]
	v_cmp_gt_i32_e32 vcc, v10, v5
	v_cndmask_b32_e32 v3, v3, v6, vcc
	v_cndmask_b32_e32 v2, v2, v8, vcc
	;; [unrolled: 1-line block ×3, first 2 shown]
	v_cmp_gt_u32_e32 vcc, 2, v1
	v_cndmask_b32_e64 v1, 0, 1, vcc
	v_lshlrev_b32_e32 v1, 1, v1
	v_add_lshl_u32 v1, v1, v4, 2
	ds_bpermute_b32 v4, v1, v3
	ds_bpermute_b32 v8, v1, v5
	;; [unrolled: 1-line block ×3, first 2 shown]
	s_waitcnt lgkmcnt(2)
	v_mov_b32_e32 v7, v4
	s_waitcnt lgkmcnt(1)
	v_cmp_lt_i32_e32 vcc, v8, v5
	s_waitcnt lgkmcnt(0)
	v_cmp_lt_i64_e64 s[0:1], v[2:3], v[6:7]
	s_or_b64 vcc, vcc, s[0:1]
	v_cndmask_b32_e32 v1, v8, v5, vcc
	v_cndmask_b32_e32 v2, v6, v2, vcc
	;; [unrolled: 1-line block ×3, first 2 shown]
	v_cmp_lt_i32_e32 vcc, v5, v8
	v_cndmask_b32_e32 v3, v3, v4, vcc
	v_cndmask_b32_e32 v2, v2, v6, vcc
	;; [unrolled: 1-line block ×3, first 2 shown]
.LBB209_186:
	s_or_b64 exec, exec, s[8:9]
.LBB209_187:
	v_cmp_eq_u32_e64 s[0:1], 0, v0
	s_and_saveexec_b64 s[2:3], s[0:1]
	s_cbranch_execnz .LBB209_190
	s_branch .LBB209_191
.LBB209_188:
                                        ; implicit-def: $vgpr2_vgpr3
                                        ; implicit-def: $vgpr1
                                        ; implicit-def: $sgpr6_sgpr7
.LBB209_189:
	s_and_saveexec_b64 s[2:3], s[0:1]
	s_cbranch_execz .LBB209_191
.LBB209_190:
	s_load_dword s8, s[4:5], 0x28
	s_load_dwordx2 s[0:1], s[4:5], 0x30
	s_lshl_b64 s[2:3], s[6:7], 4
	s_add_u32 s2, s26, s2
	s_addc_u32 s3, s27, s3
	s_cmp_eq_u64 s[24:25], 0
	s_waitcnt lgkmcnt(0)
	v_mov_b32_e32 v0, s8
	s_cselect_b64 vcc, -1, 0
	v_cndmask_b32_e32 v5, v1, v0, vcc
	v_mov_b32_e32 v0, s1
	v_mov_b32_e32 v4, 0
	v_cndmask_b32_e32 v1, v3, v0, vcc
	v_mov_b32_e32 v0, s0
	v_cndmask_b32_e32 v0, v2, v0, vcc
	global_store_dword v4, v5, s[2:3]
	global_store_dwordx2 v4, v[0:1], s[2:3] offset:8
.LBB209_191:
	s_endpgm
.LBB209_192:
                                        ; implicit-def: $vgpr2_vgpr3
                                        ; implicit-def: $vgpr1
	s_cbranch_execz .LBB209_187
; %bb.193:
	s_sub_i32 s8, s24, s2
	v_cmp_gt_u32_e32 vcc, s8, v0
	v_pk_mov_b32 v[2:3], 0, 0
	v_mov_b32_e32 v1, 0
	s_and_saveexec_b64 s[0:1], vcc
	s_cbranch_execz .LBB209_195
; %bb.194:
	s_add_u32 s9, s22, s2
	s_addc_u32 s10, s23, 0
	s_lshl_b64 s[2:3], s[2:3], 2
	s_add_u32 s2, s20, s2
	s_addc_u32 s3, s21, s3
	v_lshlrev_b32_e32 v1, 2, v0
	global_load_dword v1, v1, s[2:3]
	v_mov_b32_e32 v3, s10
	v_add_co_u32_e32 v2, vcc, s9, v0
	v_addc_co_u32_e32 v3, vcc, 0, v3, vcc
.LBB209_195:
	s_or_b64 exec, exec, s[0:1]
	s_waitcnt lgkmcnt(1)
	v_mbcnt_lo_u32_b32 v4, -1, 0
	v_mbcnt_hi_u32_b32 v7, -1, v4
	v_and_b32_e32 v8, 63, v7
	v_cmp_ne_u32_e32 vcc, 63, v8
	v_addc_co_u32_e32 v4, vcc, 0, v7, vcc
	s_waitcnt lgkmcnt(0)
	v_lshlrev_b32_e32 v5, 2, v4
	s_waitcnt vmcnt(0)
	ds_bpermute_b32 v10, v5, v1
	ds_bpermute_b32 v4, v5, v2
	;; [unrolled: 1-line block ×3, first 2 shown]
	s_min_u32 s8, s8, 0x100
	v_and_b32_e32 v5, 0xc0, v0
	v_sub_u32_e64 v9, s8, v5 clamp
	v_add_u32_e32 v5, 1, v8
	v_cmp_lt_u32_e32 vcc, v5, v9
	s_and_saveexec_b64 s[2:3], vcc
	s_cbranch_execz .LBB209_197
; %bb.196:
	s_waitcnt lgkmcnt(0)
	v_mov_b32_e32 v5, v6
	v_cmp_lt_i32_e32 vcc, v10, v1
	v_cmp_lt_i64_e64 s[0:1], v[2:3], v[4:5]
	s_or_b64 vcc, vcc, s[0:1]
	v_cndmask_b32_e32 v5, v10, v1, vcc
	v_cndmask_b32_e32 v2, v4, v2, vcc
	v_cndmask_b32_e32 v3, v6, v3, vcc
	v_cmp_lt_i32_e32 vcc, v1, v10
	v_cndmask_b32_e32 v3, v3, v6, vcc
	v_cndmask_b32_e32 v2, v2, v4, vcc
	v_cndmask_b32_e32 v1, v5, v10, vcc
.LBB209_197:
	s_or_b64 exec, exec, s[2:3]
	v_cmp_gt_u32_e32 vcc, 62, v8
	s_waitcnt lgkmcnt(1)
	v_cndmask_b32_e64 v4, 0, 1, vcc
	v_lshlrev_b32_e32 v4, 1, v4
	v_add_lshl_u32 v5, v4, v7, 2
	ds_bpermute_b32 v10, v5, v1
	ds_bpermute_b32 v4, v5, v2
	s_waitcnt lgkmcnt(2)
	ds_bpermute_b32 v6, v5, v3
	v_add_u32_e32 v5, 2, v8
	v_cmp_lt_u32_e32 vcc, v5, v9
	s_and_saveexec_b64 s[2:3], vcc
	s_cbranch_execz .LBB209_199
; %bb.198:
	s_waitcnt lgkmcnt(0)
	v_mov_b32_e32 v5, v6
	v_cmp_lt_i32_e32 vcc, v10, v1
	v_cmp_lt_i64_e64 s[0:1], v[2:3], v[4:5]
	s_or_b64 vcc, vcc, s[0:1]
	v_cndmask_b32_e32 v5, v10, v1, vcc
	v_cndmask_b32_e32 v2, v4, v2, vcc
	v_cndmask_b32_e32 v3, v6, v3, vcc
	v_cmp_lt_i32_e32 vcc, v1, v10
	v_cndmask_b32_e32 v3, v3, v6, vcc
	v_cndmask_b32_e32 v2, v2, v4, vcc
	v_cndmask_b32_e32 v1, v5, v10, vcc
.LBB209_199:
	s_or_b64 exec, exec, s[2:3]
	v_cmp_gt_u32_e32 vcc, 60, v8
	s_waitcnt lgkmcnt(1)
	v_cndmask_b32_e64 v4, 0, 1, vcc
	v_lshlrev_b32_e32 v4, 2, v4
	v_add_lshl_u32 v5, v4, v7, 2
	ds_bpermute_b32 v10, v5, v1
	ds_bpermute_b32 v4, v5, v2
	s_waitcnt lgkmcnt(2)
	ds_bpermute_b32 v6, v5, v3
	;; [unrolled: 28-line block ×4, first 2 shown]
	v_add_u32_e32 v5, 16, v8
	v_cmp_lt_u32_e32 vcc, v5, v9
	s_and_saveexec_b64 s[2:3], vcc
	s_cbranch_execz .LBB209_205
; %bb.204:
	s_waitcnt lgkmcnt(0)
	v_mov_b32_e32 v5, v6
	v_cmp_lt_i32_e32 vcc, v10, v1
	v_cmp_lt_i64_e64 s[0:1], v[2:3], v[4:5]
	s_or_b64 vcc, vcc, s[0:1]
	v_cndmask_b32_e32 v5, v10, v1, vcc
	v_cndmask_b32_e32 v2, v4, v2, vcc
	;; [unrolled: 1-line block ×3, first 2 shown]
	v_cmp_lt_i32_e32 vcc, v1, v10
	v_cndmask_b32_e32 v3, v3, v6, vcc
	v_cndmask_b32_e32 v2, v2, v4, vcc
	v_cndmask_b32_e32 v1, v5, v10, vcc
.LBB209_205:
	s_or_b64 exec, exec, s[2:3]
	v_cmp_gt_u32_e32 vcc, 32, v8
	s_waitcnt lgkmcnt(1)
	v_cndmask_b32_e64 v4, 0, 1, vcc
	v_lshlrev_b32_e32 v4, 5, v4
	v_add_lshl_u32 v5, v4, v7, 2
	s_waitcnt lgkmcnt(0)
	ds_bpermute_b32 v6, v5, v1
	ds_bpermute_b32 v4, v5, v2
	;; [unrolled: 1-line block ×3, first 2 shown]
	v_add_u32_e32 v8, 32, v8
	v_cmp_lt_u32_e32 vcc, v8, v9
	s_and_saveexec_b64 s[2:3], vcc
	s_cbranch_execz .LBB209_207
; %bb.206:
	s_waitcnt lgkmcnt(2)
	v_cmp_lt_i32_e32 vcc, v6, v1
	s_waitcnt lgkmcnt(0)
	v_cmp_lt_i64_e64 s[0:1], v[2:3], v[4:5]
	s_or_b64 vcc, vcc, s[0:1]
	v_cndmask_b32_e32 v8, v6, v1, vcc
	v_cndmask_b32_e32 v2, v4, v2, vcc
	;; [unrolled: 1-line block ×3, first 2 shown]
	v_cmp_lt_i32_e32 vcc, v1, v6
	v_cndmask_b32_e32 v3, v3, v5, vcc
	v_cndmask_b32_e32 v2, v2, v4, vcc
	;; [unrolled: 1-line block ×3, first 2 shown]
.LBB209_207:
	s_or_b64 exec, exec, s[2:3]
	v_cmp_eq_u32_e32 vcc, 0, v7
	s_and_saveexec_b64 s[0:1], vcc
	s_cbranch_execz .LBB209_209
; %bb.208:
	s_waitcnt lgkmcnt(1)
	v_lshrrev_b32_e32 v4, 2, v0
	v_and_b32_e32 v4, 48, v4
	ds_write_b32 v4, v1 offset:256
	ds_write_b64 v4, v[2:3] offset:264
.LBB209_209:
	s_or_b64 exec, exec, s[0:1]
	v_cmp_gt_u32_e32 vcc, 4, v0
	s_waitcnt lgkmcnt(0)
	s_barrier
	s_and_saveexec_b64 s[2:3], vcc
	s_cbranch_execz .LBB209_215
; %bb.210:
	v_lshlrev_b32_e32 v2, 4, v7
	ds_read_b32 v1, v2 offset:256
	ds_read_b64 v[2:3], v2 offset:264
	v_and_b32_e32 v8, 3, v7
	v_cmp_ne_u32_e32 vcc, 3, v8
	v_addc_co_u32_e32 v4, vcc, 0, v7, vcc
	v_lshlrev_b32_e32 v5, 2, v4
	s_waitcnt lgkmcnt(1)
	ds_bpermute_b32 v9, v5, v1
	s_waitcnt lgkmcnt(1)
	ds_bpermute_b32 v4, v5, v2
	ds_bpermute_b32 v6, v5, v3
	s_add_i32 s8, s8, 63
	s_lshr_b32 s10, s8, 6
	v_add_u32_e32 v5, 1, v8
	v_cmp_gt_u32_e32 vcc, s10, v5
	s_and_saveexec_b64 s[8:9], vcc
	s_cbranch_execz .LBB209_212
; %bb.211:
	s_waitcnt lgkmcnt(0)
	v_mov_b32_e32 v5, v6
	v_cmp_lt_i32_e32 vcc, v9, v1
	v_cmp_lt_i64_e64 s[0:1], v[2:3], v[4:5]
	s_or_b64 vcc, vcc, s[0:1]
	v_cndmask_b32_e32 v5, v9, v1, vcc
	v_cndmask_b32_e32 v2, v4, v2, vcc
	;; [unrolled: 1-line block ×3, first 2 shown]
	v_cmp_lt_i32_e32 vcc, v1, v9
	v_cndmask_b32_e32 v3, v3, v6, vcc
	v_cndmask_b32_e32 v2, v2, v4, vcc
	;; [unrolled: 1-line block ×3, first 2 shown]
.LBB209_212:
	s_or_b64 exec, exec, s[8:9]
	v_cmp_gt_u32_e32 vcc, 2, v8
	s_waitcnt lgkmcnt(1)
	v_cndmask_b32_e64 v4, 0, 1, vcc
	v_lshlrev_b32_e32 v4, 1, v4
	v_add_lshl_u32 v5, v4, v7, 2
	s_waitcnt lgkmcnt(0)
	ds_bpermute_b32 v6, v5, v1
	ds_bpermute_b32 v4, v5, v2
	;; [unrolled: 1-line block ×3, first 2 shown]
	v_add_u32_e32 v7, 2, v8
	v_cmp_gt_u32_e32 vcc, s10, v7
	s_and_saveexec_b64 s[8:9], vcc
	s_cbranch_execz .LBB209_214
; %bb.213:
	s_waitcnt lgkmcnt(2)
	v_cmp_lt_i32_e32 vcc, v6, v1
	s_waitcnt lgkmcnt(0)
	v_cmp_lt_i64_e64 s[0:1], v[2:3], v[4:5]
	s_or_b64 vcc, vcc, s[0:1]
	v_cndmask_b32_e32 v7, v6, v1, vcc
	v_cndmask_b32_e32 v2, v4, v2, vcc
	;; [unrolled: 1-line block ×3, first 2 shown]
	v_cmp_lt_i32_e32 vcc, v1, v6
	v_cndmask_b32_e32 v3, v3, v5, vcc
	v_cndmask_b32_e32 v2, v2, v4, vcc
	;; [unrolled: 1-line block ×3, first 2 shown]
.LBB209_214:
	s_or_b64 exec, exec, s[8:9]
.LBB209_215:
	s_or_b64 exec, exec, s[2:3]
	v_cmp_eq_u32_e64 s[0:1], 0, v0
	s_and_saveexec_b64 s[2:3], s[0:1]
	s_cbranch_execnz .LBB209_190
	s_branch .LBB209_191
.LBB209_216:
	v_lshlrev_b32_e32 v4, 2, v25
	global_load_dword v18, v4, s[16:17]
	v_mov_b32_e32 v5, s33
	v_add_co_u32_e64 v4, s[16:17], s31, v25
	v_addc_co_u32_e64 v5, s[16:17], 0, v5, s[16:17]
	s_or_b64 exec, exec, s[28:29]
	s_and_saveexec_b64 s[28:29], s[14:15]
	s_cbranch_execz .LBB209_58
.LBB209_217:
	s_waitcnt vmcnt(0)
	v_cmp_lt_i32_e64 s[14:15], v21, v1
	v_cmp_lt_i64_e64 s[16:17], v[2:3], v[10:11]
	s_or_b64 s[14:15], s[14:15], s[16:17]
	v_cndmask_b32_e64 v25, v21, v1, s[14:15]
	v_cndmask_b32_e64 v2, v10, v2, s[14:15]
	;; [unrolled: 1-line block ×3, first 2 shown]
	v_cmp_lt_i32_e64 s[14:15], v1, v21
	v_cndmask_b32_e64 v3, v3, v11, s[14:15]
	v_cndmask_b32_e64 v2, v2, v10, s[14:15]
	;; [unrolled: 1-line block ×3, first 2 shown]
	s_or_b64 exec, exec, s[28:29]
	s_and_saveexec_b64 s[16:17], s[10:11]
	s_cbranch_execz .LBB209_59
.LBB209_218:
	s_waitcnt vmcnt(0)
	v_cmp_lt_i32_e64 s[10:11], v24, v1
	v_cmp_lt_i64_e64 s[14:15], v[2:3], v[16:17]
	s_or_b64 s[10:11], s[10:11], s[14:15]
	v_cndmask_b32_e64 v10, v24, v1, s[10:11]
	v_cndmask_b32_e64 v2, v16, v2, s[10:11]
	;; [unrolled: 1-line block ×3, first 2 shown]
	v_cmp_lt_i32_e64 s[10:11], v1, v24
	v_cndmask_b32_e64 v3, v3, v17, s[10:11]
	v_cndmask_b32_e64 v2, v2, v16, s[10:11]
	;; [unrolled: 1-line block ×3, first 2 shown]
	s_or_b64 exec, exec, s[16:17]
	s_and_saveexec_b64 s[14:15], s[12:13]
	s_cbranch_execz .LBB209_60
.LBB209_219:
	s_waitcnt vmcnt(0)
	v_cmp_lt_i32_e64 s[10:11], v20, v1
	v_cmp_lt_i64_e64 s[12:13], v[2:3], v[8:9]
	s_or_b64 s[10:11], s[10:11], s[12:13]
	v_cndmask_b32_e64 v10, v20, v1, s[10:11]
	v_cndmask_b32_e64 v2, v8, v2, s[10:11]
	;; [unrolled: 1-line block ×3, first 2 shown]
	v_cmp_lt_i32_e64 s[10:11], v1, v20
	v_cndmask_b32_e64 v3, v3, v9, s[10:11]
	v_cndmask_b32_e64 v2, v2, v8, s[10:11]
	;; [unrolled: 1-line block ×3, first 2 shown]
	s_or_b64 exec, exec, s[14:15]
	s_and_saveexec_b64 s[12:13], s[2:3]
	s_cbranch_execz .LBB209_61
.LBB209_220:
	s_waitcnt vmcnt(0)
	v_cmp_lt_i32_e64 s[2:3], v23, v1
	v_cmp_lt_i64_e64 s[10:11], v[2:3], v[14:15]
	s_or_b64 s[2:3], s[2:3], s[10:11]
	v_cndmask_b32_e64 v8, v23, v1, s[2:3]
	v_cndmask_b32_e64 v2, v14, v2, s[2:3]
	v_cndmask_b32_e64 v3, v15, v3, s[2:3]
	v_cmp_lt_i32_e64 s[2:3], v1, v23
	v_cndmask_b32_e64 v3, v3, v15, s[2:3]
	v_cndmask_b32_e64 v2, v2, v14, s[2:3]
	;; [unrolled: 1-line block ×3, first 2 shown]
	s_or_b64 exec, exec, s[12:13]
	s_and_saveexec_b64 s[10:11], s[8:9]
	s_cbranch_execz .LBB209_62
.LBB209_221:
	s_waitcnt vmcnt(0)
	v_cmp_lt_i32_e64 s[2:3], v19, v1
	v_cmp_lt_i64_e64 s[8:9], v[2:3], v[6:7]
	s_or_b64 s[2:3], s[2:3], s[8:9]
	v_cndmask_b32_e64 v8, v19, v1, s[2:3]
	v_cndmask_b32_e64 v2, v6, v2, s[2:3]
	;; [unrolled: 1-line block ×3, first 2 shown]
	v_cmp_lt_i32_e64 s[2:3], v1, v19
	v_cndmask_b32_e64 v3, v3, v7, s[2:3]
	v_cndmask_b32_e64 v2, v2, v6, s[2:3]
	;; [unrolled: 1-line block ×3, first 2 shown]
	s_or_b64 exec, exec, s[10:11]
	s_and_saveexec_b64 s[8:9], vcc
	s_cbranch_execz .LBB209_63
.LBB209_222:
	s_waitcnt vmcnt(0)
	v_cmp_lt_i32_e32 vcc, v22, v1
	v_cmp_lt_i64_e64 s[2:3], v[2:3], v[12:13]
	s_or_b64 vcc, vcc, s[2:3]
	v_cndmask_b32_e32 v6, v22, v1, vcc
	v_cndmask_b32_e32 v2, v12, v2, vcc
	;; [unrolled: 1-line block ×3, first 2 shown]
	v_cmp_lt_i32_e32 vcc, v1, v22
	v_cndmask_b32_e32 v3, v3, v13, vcc
	v_cndmask_b32_e32 v2, v2, v12, vcc
	;; [unrolled: 1-line block ×3, first 2 shown]
	s_or_b64 exec, exec, s[8:9]
	s_and_saveexec_b64 s[2:3], s[0:1]
	s_cbranch_execnz .LBB209_64
	s_branch .LBB209_65
.LBB209_223:
	v_lshlrev_b32_e32 v4, 2, v0
	global_load_dword v10, v4, s[8:9] offset:3072
	v_mov_b32_e32 v5, s13
	v_add_co_u32_e64 v4, s[8:9], s12, v13
	v_addc_co_u32_e64 v5, s[8:9], 0, v5, s[8:9]
	s_or_b64 exec, exec, s[10:11]
	s_and_saveexec_b64 s[10:11], s[2:3]
	s_cbranch_execz .LBB209_96
.LBB209_224:
	s_waitcnt vmcnt(0)
	v_cmp_lt_i32_e64 s[2:3], v11, v1
	v_cmp_lt_i64_e64 s[8:9], v[2:3], v[6:7]
	s_or_b64 s[2:3], s[2:3], s[8:9]
	v_cndmask_b32_e64 v13, v11, v1, s[2:3]
	v_cndmask_b32_e64 v2, v6, v2, s[2:3]
	;; [unrolled: 1-line block ×3, first 2 shown]
	v_cmp_lt_i32_e64 s[2:3], v1, v11
	v_cndmask_b32_e64 v3, v3, v7, s[2:3]
	v_cndmask_b32_e64 v2, v2, v6, s[2:3]
	;; [unrolled: 1-line block ×3, first 2 shown]
	s_or_b64 exec, exec, s[10:11]
	s_and_saveexec_b64 s[8:9], vcc
	s_cbranch_execz .LBB209_97
.LBB209_225:
	s_waitcnt vmcnt(0)
	v_cmp_lt_i32_e32 vcc, v12, v1
	v_cmp_lt_i64_e64 s[2:3], v[2:3], v[8:9]
	s_or_b64 vcc, vcc, s[2:3]
	v_cndmask_b32_e32 v6, v12, v1, vcc
	v_cndmask_b32_e32 v2, v8, v2, vcc
	;; [unrolled: 1-line block ×3, first 2 shown]
	v_cmp_lt_i32_e32 vcc, v1, v12
	v_cndmask_b32_e32 v3, v3, v9, vcc
	v_cndmask_b32_e32 v2, v2, v8, vcc
	;; [unrolled: 1-line block ×3, first 2 shown]
	s_or_b64 exec, exec, s[8:9]
	s_and_saveexec_b64 s[2:3], s[0:1]
	s_cbranch_execnz .LBB209_98
	s_branch .LBB209_99
	.section	.rodata,"a",@progbits
	.p2align	6, 0x0
	.amdhsa_kernel _ZN7rocprim17ROCPRIM_400000_NS6detail17trampoline_kernelINS0_14default_configENS1_22reduce_config_selectorIN6thrust23THRUST_200600_302600_NS5tupleIilNS6_9null_typeES8_S8_S8_S8_S8_S8_S8_EEEEZNS1_11reduce_implILb0ES3_NS6_12zip_iteratorINS7_IPiNS6_11hip_rocprim19counting_iterator_tIlEES8_S8_S8_S8_S8_S8_S8_S8_EEEEPS9_S9_NSE_9__extrema9arg_max_fIilNS6_4lessIiEEEEEE10hipError_tPvRmT1_T2_T3_mT4_P12ihipStream_tbEUlT_E1_NS1_11comp_targetILNS1_3genE4ELNS1_11target_archE910ELNS1_3gpuE8ELNS1_3repE0EEENS1_30default_config_static_selectorELNS0_4arch9wavefront6targetE1EEEvSS_
		.amdhsa_group_segment_fixed_size 320
		.amdhsa_private_segment_fixed_size 0
		.amdhsa_kernarg_size 64
		.amdhsa_user_sgpr_count 6
		.amdhsa_user_sgpr_private_segment_buffer 1
		.amdhsa_user_sgpr_dispatch_ptr 0
		.amdhsa_user_sgpr_queue_ptr 0
		.amdhsa_user_sgpr_kernarg_segment_ptr 1
		.amdhsa_user_sgpr_dispatch_id 0
		.amdhsa_user_sgpr_flat_scratch_init 0
		.amdhsa_user_sgpr_kernarg_preload_length 0
		.amdhsa_user_sgpr_kernarg_preload_offset 0
		.amdhsa_user_sgpr_private_segment_size 0
		.amdhsa_uses_dynamic_stack 0
		.amdhsa_system_sgpr_private_segment_wavefront_offset 0
		.amdhsa_system_sgpr_workgroup_id_x 1
		.amdhsa_system_sgpr_workgroup_id_y 0
		.amdhsa_system_sgpr_workgroup_id_z 0
		.amdhsa_system_sgpr_workgroup_info 0
		.amdhsa_system_vgpr_workitem_id 0
		.amdhsa_next_free_vgpr 26
		.amdhsa_next_free_sgpr 35
		.amdhsa_accum_offset 28
		.amdhsa_reserve_vcc 1
		.amdhsa_reserve_flat_scratch 0
		.amdhsa_float_round_mode_32 0
		.amdhsa_float_round_mode_16_64 0
		.amdhsa_float_denorm_mode_32 3
		.amdhsa_float_denorm_mode_16_64 3
		.amdhsa_dx10_clamp 1
		.amdhsa_ieee_mode 1
		.amdhsa_fp16_overflow 0
		.amdhsa_tg_split 0
		.amdhsa_exception_fp_ieee_invalid_op 0
		.amdhsa_exception_fp_denorm_src 0
		.amdhsa_exception_fp_ieee_div_zero 0
		.amdhsa_exception_fp_ieee_overflow 0
		.amdhsa_exception_fp_ieee_underflow 0
		.amdhsa_exception_fp_ieee_inexact 0
		.amdhsa_exception_int_div_zero 0
	.end_amdhsa_kernel
	.section	.text._ZN7rocprim17ROCPRIM_400000_NS6detail17trampoline_kernelINS0_14default_configENS1_22reduce_config_selectorIN6thrust23THRUST_200600_302600_NS5tupleIilNS6_9null_typeES8_S8_S8_S8_S8_S8_S8_EEEEZNS1_11reduce_implILb0ES3_NS6_12zip_iteratorINS7_IPiNS6_11hip_rocprim19counting_iterator_tIlEES8_S8_S8_S8_S8_S8_S8_S8_EEEEPS9_S9_NSE_9__extrema9arg_max_fIilNS6_4lessIiEEEEEE10hipError_tPvRmT1_T2_T3_mT4_P12ihipStream_tbEUlT_E1_NS1_11comp_targetILNS1_3genE4ELNS1_11target_archE910ELNS1_3gpuE8ELNS1_3repE0EEENS1_30default_config_static_selectorELNS0_4arch9wavefront6targetE1EEEvSS_,"axG",@progbits,_ZN7rocprim17ROCPRIM_400000_NS6detail17trampoline_kernelINS0_14default_configENS1_22reduce_config_selectorIN6thrust23THRUST_200600_302600_NS5tupleIilNS6_9null_typeES8_S8_S8_S8_S8_S8_S8_EEEEZNS1_11reduce_implILb0ES3_NS6_12zip_iteratorINS7_IPiNS6_11hip_rocprim19counting_iterator_tIlEES8_S8_S8_S8_S8_S8_S8_S8_EEEEPS9_S9_NSE_9__extrema9arg_max_fIilNS6_4lessIiEEEEEE10hipError_tPvRmT1_T2_T3_mT4_P12ihipStream_tbEUlT_E1_NS1_11comp_targetILNS1_3genE4ELNS1_11target_archE910ELNS1_3gpuE8ELNS1_3repE0EEENS1_30default_config_static_selectorELNS0_4arch9wavefront6targetE1EEEvSS_,comdat
.Lfunc_end209:
	.size	_ZN7rocprim17ROCPRIM_400000_NS6detail17trampoline_kernelINS0_14default_configENS1_22reduce_config_selectorIN6thrust23THRUST_200600_302600_NS5tupleIilNS6_9null_typeES8_S8_S8_S8_S8_S8_S8_EEEEZNS1_11reduce_implILb0ES3_NS6_12zip_iteratorINS7_IPiNS6_11hip_rocprim19counting_iterator_tIlEES8_S8_S8_S8_S8_S8_S8_S8_EEEEPS9_S9_NSE_9__extrema9arg_max_fIilNS6_4lessIiEEEEEE10hipError_tPvRmT1_T2_T3_mT4_P12ihipStream_tbEUlT_E1_NS1_11comp_targetILNS1_3genE4ELNS1_11target_archE910ELNS1_3gpuE8ELNS1_3repE0EEENS1_30default_config_static_selectorELNS0_4arch9wavefront6targetE1EEEvSS_, .Lfunc_end209-_ZN7rocprim17ROCPRIM_400000_NS6detail17trampoline_kernelINS0_14default_configENS1_22reduce_config_selectorIN6thrust23THRUST_200600_302600_NS5tupleIilNS6_9null_typeES8_S8_S8_S8_S8_S8_S8_EEEEZNS1_11reduce_implILb0ES3_NS6_12zip_iteratorINS7_IPiNS6_11hip_rocprim19counting_iterator_tIlEES8_S8_S8_S8_S8_S8_S8_S8_EEEEPS9_S9_NSE_9__extrema9arg_max_fIilNS6_4lessIiEEEEEE10hipError_tPvRmT1_T2_T3_mT4_P12ihipStream_tbEUlT_E1_NS1_11comp_targetILNS1_3genE4ELNS1_11target_archE910ELNS1_3gpuE8ELNS1_3repE0EEENS1_30default_config_static_selectorELNS0_4arch9wavefront6targetE1EEEvSS_
                                        ; -- End function
	.section	.AMDGPU.csdata,"",@progbits
; Kernel info:
; codeLenInByte = 10960
; NumSgprs: 39
; NumVgprs: 26
; NumAgprs: 0
; TotalNumVgprs: 26
; ScratchSize: 0
; MemoryBound: 0
; FloatMode: 240
; IeeeMode: 1
; LDSByteSize: 320 bytes/workgroup (compile time only)
; SGPRBlocks: 4
; VGPRBlocks: 3
; NumSGPRsForWavesPerEU: 39
; NumVGPRsForWavesPerEU: 26
; AccumOffset: 28
; Occupancy: 8
; WaveLimiterHint : 1
; COMPUTE_PGM_RSRC2:SCRATCH_EN: 0
; COMPUTE_PGM_RSRC2:USER_SGPR: 6
; COMPUTE_PGM_RSRC2:TRAP_HANDLER: 0
; COMPUTE_PGM_RSRC2:TGID_X_EN: 1
; COMPUTE_PGM_RSRC2:TGID_Y_EN: 0
; COMPUTE_PGM_RSRC2:TGID_Z_EN: 0
; COMPUTE_PGM_RSRC2:TIDIG_COMP_CNT: 0
; COMPUTE_PGM_RSRC3_GFX90A:ACCUM_OFFSET: 6
; COMPUTE_PGM_RSRC3_GFX90A:TG_SPLIT: 0
	.section	.text._ZN7rocprim17ROCPRIM_400000_NS6detail17trampoline_kernelINS0_14default_configENS1_22reduce_config_selectorIN6thrust23THRUST_200600_302600_NS5tupleIilNS6_9null_typeES8_S8_S8_S8_S8_S8_S8_EEEEZNS1_11reduce_implILb0ES3_NS6_12zip_iteratorINS7_IPiNS6_11hip_rocprim19counting_iterator_tIlEES8_S8_S8_S8_S8_S8_S8_S8_EEEEPS9_S9_NSE_9__extrema9arg_max_fIilNS6_4lessIiEEEEEE10hipError_tPvRmT1_T2_T3_mT4_P12ihipStream_tbEUlT_E1_NS1_11comp_targetILNS1_3genE3ELNS1_11target_archE908ELNS1_3gpuE7ELNS1_3repE0EEENS1_30default_config_static_selectorELNS0_4arch9wavefront6targetE1EEEvSS_,"axG",@progbits,_ZN7rocprim17ROCPRIM_400000_NS6detail17trampoline_kernelINS0_14default_configENS1_22reduce_config_selectorIN6thrust23THRUST_200600_302600_NS5tupleIilNS6_9null_typeES8_S8_S8_S8_S8_S8_S8_EEEEZNS1_11reduce_implILb0ES3_NS6_12zip_iteratorINS7_IPiNS6_11hip_rocprim19counting_iterator_tIlEES8_S8_S8_S8_S8_S8_S8_S8_EEEEPS9_S9_NSE_9__extrema9arg_max_fIilNS6_4lessIiEEEEEE10hipError_tPvRmT1_T2_T3_mT4_P12ihipStream_tbEUlT_E1_NS1_11comp_targetILNS1_3genE3ELNS1_11target_archE908ELNS1_3gpuE7ELNS1_3repE0EEENS1_30default_config_static_selectorELNS0_4arch9wavefront6targetE1EEEvSS_,comdat
	.protected	_ZN7rocprim17ROCPRIM_400000_NS6detail17trampoline_kernelINS0_14default_configENS1_22reduce_config_selectorIN6thrust23THRUST_200600_302600_NS5tupleIilNS6_9null_typeES8_S8_S8_S8_S8_S8_S8_EEEEZNS1_11reduce_implILb0ES3_NS6_12zip_iteratorINS7_IPiNS6_11hip_rocprim19counting_iterator_tIlEES8_S8_S8_S8_S8_S8_S8_S8_EEEEPS9_S9_NSE_9__extrema9arg_max_fIilNS6_4lessIiEEEEEE10hipError_tPvRmT1_T2_T3_mT4_P12ihipStream_tbEUlT_E1_NS1_11comp_targetILNS1_3genE3ELNS1_11target_archE908ELNS1_3gpuE7ELNS1_3repE0EEENS1_30default_config_static_selectorELNS0_4arch9wavefront6targetE1EEEvSS_ ; -- Begin function _ZN7rocprim17ROCPRIM_400000_NS6detail17trampoline_kernelINS0_14default_configENS1_22reduce_config_selectorIN6thrust23THRUST_200600_302600_NS5tupleIilNS6_9null_typeES8_S8_S8_S8_S8_S8_S8_EEEEZNS1_11reduce_implILb0ES3_NS6_12zip_iteratorINS7_IPiNS6_11hip_rocprim19counting_iterator_tIlEES8_S8_S8_S8_S8_S8_S8_S8_EEEEPS9_S9_NSE_9__extrema9arg_max_fIilNS6_4lessIiEEEEEE10hipError_tPvRmT1_T2_T3_mT4_P12ihipStream_tbEUlT_E1_NS1_11comp_targetILNS1_3genE3ELNS1_11target_archE908ELNS1_3gpuE7ELNS1_3repE0EEENS1_30default_config_static_selectorELNS0_4arch9wavefront6targetE1EEEvSS_
	.globl	_ZN7rocprim17ROCPRIM_400000_NS6detail17trampoline_kernelINS0_14default_configENS1_22reduce_config_selectorIN6thrust23THRUST_200600_302600_NS5tupleIilNS6_9null_typeES8_S8_S8_S8_S8_S8_S8_EEEEZNS1_11reduce_implILb0ES3_NS6_12zip_iteratorINS7_IPiNS6_11hip_rocprim19counting_iterator_tIlEES8_S8_S8_S8_S8_S8_S8_S8_EEEEPS9_S9_NSE_9__extrema9arg_max_fIilNS6_4lessIiEEEEEE10hipError_tPvRmT1_T2_T3_mT4_P12ihipStream_tbEUlT_E1_NS1_11comp_targetILNS1_3genE3ELNS1_11target_archE908ELNS1_3gpuE7ELNS1_3repE0EEENS1_30default_config_static_selectorELNS0_4arch9wavefront6targetE1EEEvSS_
	.p2align	8
	.type	_ZN7rocprim17ROCPRIM_400000_NS6detail17trampoline_kernelINS0_14default_configENS1_22reduce_config_selectorIN6thrust23THRUST_200600_302600_NS5tupleIilNS6_9null_typeES8_S8_S8_S8_S8_S8_S8_EEEEZNS1_11reduce_implILb0ES3_NS6_12zip_iteratorINS7_IPiNS6_11hip_rocprim19counting_iterator_tIlEES8_S8_S8_S8_S8_S8_S8_S8_EEEEPS9_S9_NSE_9__extrema9arg_max_fIilNS6_4lessIiEEEEEE10hipError_tPvRmT1_T2_T3_mT4_P12ihipStream_tbEUlT_E1_NS1_11comp_targetILNS1_3genE3ELNS1_11target_archE908ELNS1_3gpuE7ELNS1_3repE0EEENS1_30default_config_static_selectorELNS0_4arch9wavefront6targetE1EEEvSS_,@function
_ZN7rocprim17ROCPRIM_400000_NS6detail17trampoline_kernelINS0_14default_configENS1_22reduce_config_selectorIN6thrust23THRUST_200600_302600_NS5tupleIilNS6_9null_typeES8_S8_S8_S8_S8_S8_S8_EEEEZNS1_11reduce_implILb0ES3_NS6_12zip_iteratorINS7_IPiNS6_11hip_rocprim19counting_iterator_tIlEES8_S8_S8_S8_S8_S8_S8_S8_EEEEPS9_S9_NSE_9__extrema9arg_max_fIilNS6_4lessIiEEEEEE10hipError_tPvRmT1_T2_T3_mT4_P12ihipStream_tbEUlT_E1_NS1_11comp_targetILNS1_3genE3ELNS1_11target_archE908ELNS1_3gpuE7ELNS1_3repE0EEENS1_30default_config_static_selectorELNS0_4arch9wavefront6targetE1EEEvSS_: ; @_ZN7rocprim17ROCPRIM_400000_NS6detail17trampoline_kernelINS0_14default_configENS1_22reduce_config_selectorIN6thrust23THRUST_200600_302600_NS5tupleIilNS6_9null_typeES8_S8_S8_S8_S8_S8_S8_EEEEZNS1_11reduce_implILb0ES3_NS6_12zip_iteratorINS7_IPiNS6_11hip_rocprim19counting_iterator_tIlEES8_S8_S8_S8_S8_S8_S8_S8_EEEEPS9_S9_NSE_9__extrema9arg_max_fIilNS6_4lessIiEEEEEE10hipError_tPvRmT1_T2_T3_mT4_P12ihipStream_tbEUlT_E1_NS1_11comp_targetILNS1_3genE3ELNS1_11target_archE908ELNS1_3gpuE7ELNS1_3repE0EEENS1_30default_config_static_selectorELNS0_4arch9wavefront6targetE1EEEvSS_
; %bb.0:
	.section	.rodata,"a",@progbits
	.p2align	6, 0x0
	.amdhsa_kernel _ZN7rocprim17ROCPRIM_400000_NS6detail17trampoline_kernelINS0_14default_configENS1_22reduce_config_selectorIN6thrust23THRUST_200600_302600_NS5tupleIilNS6_9null_typeES8_S8_S8_S8_S8_S8_S8_EEEEZNS1_11reduce_implILb0ES3_NS6_12zip_iteratorINS7_IPiNS6_11hip_rocprim19counting_iterator_tIlEES8_S8_S8_S8_S8_S8_S8_S8_EEEEPS9_S9_NSE_9__extrema9arg_max_fIilNS6_4lessIiEEEEEE10hipError_tPvRmT1_T2_T3_mT4_P12ihipStream_tbEUlT_E1_NS1_11comp_targetILNS1_3genE3ELNS1_11target_archE908ELNS1_3gpuE7ELNS1_3repE0EEENS1_30default_config_static_selectorELNS0_4arch9wavefront6targetE1EEEvSS_
		.amdhsa_group_segment_fixed_size 0
		.amdhsa_private_segment_fixed_size 0
		.amdhsa_kernarg_size 64
		.amdhsa_user_sgpr_count 6
		.amdhsa_user_sgpr_private_segment_buffer 1
		.amdhsa_user_sgpr_dispatch_ptr 0
		.amdhsa_user_sgpr_queue_ptr 0
		.amdhsa_user_sgpr_kernarg_segment_ptr 1
		.amdhsa_user_sgpr_dispatch_id 0
		.amdhsa_user_sgpr_flat_scratch_init 0
		.amdhsa_user_sgpr_kernarg_preload_length 0
		.amdhsa_user_sgpr_kernarg_preload_offset 0
		.amdhsa_user_sgpr_private_segment_size 0
		.amdhsa_uses_dynamic_stack 0
		.amdhsa_system_sgpr_private_segment_wavefront_offset 0
		.amdhsa_system_sgpr_workgroup_id_x 1
		.amdhsa_system_sgpr_workgroup_id_y 0
		.amdhsa_system_sgpr_workgroup_id_z 0
		.amdhsa_system_sgpr_workgroup_info 0
		.amdhsa_system_vgpr_workitem_id 0
		.amdhsa_next_free_vgpr 1
		.amdhsa_next_free_sgpr 0
		.amdhsa_accum_offset 4
		.amdhsa_reserve_vcc 0
		.amdhsa_reserve_flat_scratch 0
		.amdhsa_float_round_mode_32 0
		.amdhsa_float_round_mode_16_64 0
		.amdhsa_float_denorm_mode_32 3
		.amdhsa_float_denorm_mode_16_64 3
		.amdhsa_dx10_clamp 1
		.amdhsa_ieee_mode 1
		.amdhsa_fp16_overflow 0
		.amdhsa_tg_split 0
		.amdhsa_exception_fp_ieee_invalid_op 0
		.amdhsa_exception_fp_denorm_src 0
		.amdhsa_exception_fp_ieee_div_zero 0
		.amdhsa_exception_fp_ieee_overflow 0
		.amdhsa_exception_fp_ieee_underflow 0
		.amdhsa_exception_fp_ieee_inexact 0
		.amdhsa_exception_int_div_zero 0
	.end_amdhsa_kernel
	.section	.text._ZN7rocprim17ROCPRIM_400000_NS6detail17trampoline_kernelINS0_14default_configENS1_22reduce_config_selectorIN6thrust23THRUST_200600_302600_NS5tupleIilNS6_9null_typeES8_S8_S8_S8_S8_S8_S8_EEEEZNS1_11reduce_implILb0ES3_NS6_12zip_iteratorINS7_IPiNS6_11hip_rocprim19counting_iterator_tIlEES8_S8_S8_S8_S8_S8_S8_S8_EEEEPS9_S9_NSE_9__extrema9arg_max_fIilNS6_4lessIiEEEEEE10hipError_tPvRmT1_T2_T3_mT4_P12ihipStream_tbEUlT_E1_NS1_11comp_targetILNS1_3genE3ELNS1_11target_archE908ELNS1_3gpuE7ELNS1_3repE0EEENS1_30default_config_static_selectorELNS0_4arch9wavefront6targetE1EEEvSS_,"axG",@progbits,_ZN7rocprim17ROCPRIM_400000_NS6detail17trampoline_kernelINS0_14default_configENS1_22reduce_config_selectorIN6thrust23THRUST_200600_302600_NS5tupleIilNS6_9null_typeES8_S8_S8_S8_S8_S8_S8_EEEEZNS1_11reduce_implILb0ES3_NS6_12zip_iteratorINS7_IPiNS6_11hip_rocprim19counting_iterator_tIlEES8_S8_S8_S8_S8_S8_S8_S8_EEEEPS9_S9_NSE_9__extrema9arg_max_fIilNS6_4lessIiEEEEEE10hipError_tPvRmT1_T2_T3_mT4_P12ihipStream_tbEUlT_E1_NS1_11comp_targetILNS1_3genE3ELNS1_11target_archE908ELNS1_3gpuE7ELNS1_3repE0EEENS1_30default_config_static_selectorELNS0_4arch9wavefront6targetE1EEEvSS_,comdat
.Lfunc_end210:
	.size	_ZN7rocprim17ROCPRIM_400000_NS6detail17trampoline_kernelINS0_14default_configENS1_22reduce_config_selectorIN6thrust23THRUST_200600_302600_NS5tupleIilNS6_9null_typeES8_S8_S8_S8_S8_S8_S8_EEEEZNS1_11reduce_implILb0ES3_NS6_12zip_iteratorINS7_IPiNS6_11hip_rocprim19counting_iterator_tIlEES8_S8_S8_S8_S8_S8_S8_S8_EEEEPS9_S9_NSE_9__extrema9arg_max_fIilNS6_4lessIiEEEEEE10hipError_tPvRmT1_T2_T3_mT4_P12ihipStream_tbEUlT_E1_NS1_11comp_targetILNS1_3genE3ELNS1_11target_archE908ELNS1_3gpuE7ELNS1_3repE0EEENS1_30default_config_static_selectorELNS0_4arch9wavefront6targetE1EEEvSS_, .Lfunc_end210-_ZN7rocprim17ROCPRIM_400000_NS6detail17trampoline_kernelINS0_14default_configENS1_22reduce_config_selectorIN6thrust23THRUST_200600_302600_NS5tupleIilNS6_9null_typeES8_S8_S8_S8_S8_S8_S8_EEEEZNS1_11reduce_implILb0ES3_NS6_12zip_iteratorINS7_IPiNS6_11hip_rocprim19counting_iterator_tIlEES8_S8_S8_S8_S8_S8_S8_S8_EEEEPS9_S9_NSE_9__extrema9arg_max_fIilNS6_4lessIiEEEEEE10hipError_tPvRmT1_T2_T3_mT4_P12ihipStream_tbEUlT_E1_NS1_11comp_targetILNS1_3genE3ELNS1_11target_archE908ELNS1_3gpuE7ELNS1_3repE0EEENS1_30default_config_static_selectorELNS0_4arch9wavefront6targetE1EEEvSS_
                                        ; -- End function
	.section	.AMDGPU.csdata,"",@progbits
; Kernel info:
; codeLenInByte = 0
; NumSgprs: 4
; NumVgprs: 0
; NumAgprs: 0
; TotalNumVgprs: 0
; ScratchSize: 0
; MemoryBound: 0
; FloatMode: 240
; IeeeMode: 1
; LDSByteSize: 0 bytes/workgroup (compile time only)
; SGPRBlocks: 0
; VGPRBlocks: 0
; NumSGPRsForWavesPerEU: 4
; NumVGPRsForWavesPerEU: 1
; AccumOffset: 4
; Occupancy: 8
; WaveLimiterHint : 0
; COMPUTE_PGM_RSRC2:SCRATCH_EN: 0
; COMPUTE_PGM_RSRC2:USER_SGPR: 6
; COMPUTE_PGM_RSRC2:TRAP_HANDLER: 0
; COMPUTE_PGM_RSRC2:TGID_X_EN: 1
; COMPUTE_PGM_RSRC2:TGID_Y_EN: 0
; COMPUTE_PGM_RSRC2:TGID_Z_EN: 0
; COMPUTE_PGM_RSRC2:TIDIG_COMP_CNT: 0
; COMPUTE_PGM_RSRC3_GFX90A:ACCUM_OFFSET: 0
; COMPUTE_PGM_RSRC3_GFX90A:TG_SPLIT: 0
	.section	.text._ZN7rocprim17ROCPRIM_400000_NS6detail17trampoline_kernelINS0_14default_configENS1_22reduce_config_selectorIN6thrust23THRUST_200600_302600_NS5tupleIilNS6_9null_typeES8_S8_S8_S8_S8_S8_S8_EEEEZNS1_11reduce_implILb0ES3_NS6_12zip_iteratorINS7_IPiNS6_11hip_rocprim19counting_iterator_tIlEES8_S8_S8_S8_S8_S8_S8_S8_EEEEPS9_S9_NSE_9__extrema9arg_max_fIilNS6_4lessIiEEEEEE10hipError_tPvRmT1_T2_T3_mT4_P12ihipStream_tbEUlT_E1_NS1_11comp_targetILNS1_3genE2ELNS1_11target_archE906ELNS1_3gpuE6ELNS1_3repE0EEENS1_30default_config_static_selectorELNS0_4arch9wavefront6targetE1EEEvSS_,"axG",@progbits,_ZN7rocprim17ROCPRIM_400000_NS6detail17trampoline_kernelINS0_14default_configENS1_22reduce_config_selectorIN6thrust23THRUST_200600_302600_NS5tupleIilNS6_9null_typeES8_S8_S8_S8_S8_S8_S8_EEEEZNS1_11reduce_implILb0ES3_NS6_12zip_iteratorINS7_IPiNS6_11hip_rocprim19counting_iterator_tIlEES8_S8_S8_S8_S8_S8_S8_S8_EEEEPS9_S9_NSE_9__extrema9arg_max_fIilNS6_4lessIiEEEEEE10hipError_tPvRmT1_T2_T3_mT4_P12ihipStream_tbEUlT_E1_NS1_11comp_targetILNS1_3genE2ELNS1_11target_archE906ELNS1_3gpuE6ELNS1_3repE0EEENS1_30default_config_static_selectorELNS0_4arch9wavefront6targetE1EEEvSS_,comdat
	.protected	_ZN7rocprim17ROCPRIM_400000_NS6detail17trampoline_kernelINS0_14default_configENS1_22reduce_config_selectorIN6thrust23THRUST_200600_302600_NS5tupleIilNS6_9null_typeES8_S8_S8_S8_S8_S8_S8_EEEEZNS1_11reduce_implILb0ES3_NS6_12zip_iteratorINS7_IPiNS6_11hip_rocprim19counting_iterator_tIlEES8_S8_S8_S8_S8_S8_S8_S8_EEEEPS9_S9_NSE_9__extrema9arg_max_fIilNS6_4lessIiEEEEEE10hipError_tPvRmT1_T2_T3_mT4_P12ihipStream_tbEUlT_E1_NS1_11comp_targetILNS1_3genE2ELNS1_11target_archE906ELNS1_3gpuE6ELNS1_3repE0EEENS1_30default_config_static_selectorELNS0_4arch9wavefront6targetE1EEEvSS_ ; -- Begin function _ZN7rocprim17ROCPRIM_400000_NS6detail17trampoline_kernelINS0_14default_configENS1_22reduce_config_selectorIN6thrust23THRUST_200600_302600_NS5tupleIilNS6_9null_typeES8_S8_S8_S8_S8_S8_S8_EEEEZNS1_11reduce_implILb0ES3_NS6_12zip_iteratorINS7_IPiNS6_11hip_rocprim19counting_iterator_tIlEES8_S8_S8_S8_S8_S8_S8_S8_EEEEPS9_S9_NSE_9__extrema9arg_max_fIilNS6_4lessIiEEEEEE10hipError_tPvRmT1_T2_T3_mT4_P12ihipStream_tbEUlT_E1_NS1_11comp_targetILNS1_3genE2ELNS1_11target_archE906ELNS1_3gpuE6ELNS1_3repE0EEENS1_30default_config_static_selectorELNS0_4arch9wavefront6targetE1EEEvSS_
	.globl	_ZN7rocprim17ROCPRIM_400000_NS6detail17trampoline_kernelINS0_14default_configENS1_22reduce_config_selectorIN6thrust23THRUST_200600_302600_NS5tupleIilNS6_9null_typeES8_S8_S8_S8_S8_S8_S8_EEEEZNS1_11reduce_implILb0ES3_NS6_12zip_iteratorINS7_IPiNS6_11hip_rocprim19counting_iterator_tIlEES8_S8_S8_S8_S8_S8_S8_S8_EEEEPS9_S9_NSE_9__extrema9arg_max_fIilNS6_4lessIiEEEEEE10hipError_tPvRmT1_T2_T3_mT4_P12ihipStream_tbEUlT_E1_NS1_11comp_targetILNS1_3genE2ELNS1_11target_archE906ELNS1_3gpuE6ELNS1_3repE0EEENS1_30default_config_static_selectorELNS0_4arch9wavefront6targetE1EEEvSS_
	.p2align	8
	.type	_ZN7rocprim17ROCPRIM_400000_NS6detail17trampoline_kernelINS0_14default_configENS1_22reduce_config_selectorIN6thrust23THRUST_200600_302600_NS5tupleIilNS6_9null_typeES8_S8_S8_S8_S8_S8_S8_EEEEZNS1_11reduce_implILb0ES3_NS6_12zip_iteratorINS7_IPiNS6_11hip_rocprim19counting_iterator_tIlEES8_S8_S8_S8_S8_S8_S8_S8_EEEEPS9_S9_NSE_9__extrema9arg_max_fIilNS6_4lessIiEEEEEE10hipError_tPvRmT1_T2_T3_mT4_P12ihipStream_tbEUlT_E1_NS1_11comp_targetILNS1_3genE2ELNS1_11target_archE906ELNS1_3gpuE6ELNS1_3repE0EEENS1_30default_config_static_selectorELNS0_4arch9wavefront6targetE1EEEvSS_,@function
_ZN7rocprim17ROCPRIM_400000_NS6detail17trampoline_kernelINS0_14default_configENS1_22reduce_config_selectorIN6thrust23THRUST_200600_302600_NS5tupleIilNS6_9null_typeES8_S8_S8_S8_S8_S8_S8_EEEEZNS1_11reduce_implILb0ES3_NS6_12zip_iteratorINS7_IPiNS6_11hip_rocprim19counting_iterator_tIlEES8_S8_S8_S8_S8_S8_S8_S8_EEEEPS9_S9_NSE_9__extrema9arg_max_fIilNS6_4lessIiEEEEEE10hipError_tPvRmT1_T2_T3_mT4_P12ihipStream_tbEUlT_E1_NS1_11comp_targetILNS1_3genE2ELNS1_11target_archE906ELNS1_3gpuE6ELNS1_3repE0EEENS1_30default_config_static_selectorELNS0_4arch9wavefront6targetE1EEEvSS_: ; @_ZN7rocprim17ROCPRIM_400000_NS6detail17trampoline_kernelINS0_14default_configENS1_22reduce_config_selectorIN6thrust23THRUST_200600_302600_NS5tupleIilNS6_9null_typeES8_S8_S8_S8_S8_S8_S8_EEEEZNS1_11reduce_implILb0ES3_NS6_12zip_iteratorINS7_IPiNS6_11hip_rocprim19counting_iterator_tIlEES8_S8_S8_S8_S8_S8_S8_S8_EEEEPS9_S9_NSE_9__extrema9arg_max_fIilNS6_4lessIiEEEEEE10hipError_tPvRmT1_T2_T3_mT4_P12ihipStream_tbEUlT_E1_NS1_11comp_targetILNS1_3genE2ELNS1_11target_archE906ELNS1_3gpuE6ELNS1_3repE0EEENS1_30default_config_static_selectorELNS0_4arch9wavefront6targetE1EEEvSS_
; %bb.0:
	.section	.rodata,"a",@progbits
	.p2align	6, 0x0
	.amdhsa_kernel _ZN7rocprim17ROCPRIM_400000_NS6detail17trampoline_kernelINS0_14default_configENS1_22reduce_config_selectorIN6thrust23THRUST_200600_302600_NS5tupleIilNS6_9null_typeES8_S8_S8_S8_S8_S8_S8_EEEEZNS1_11reduce_implILb0ES3_NS6_12zip_iteratorINS7_IPiNS6_11hip_rocprim19counting_iterator_tIlEES8_S8_S8_S8_S8_S8_S8_S8_EEEEPS9_S9_NSE_9__extrema9arg_max_fIilNS6_4lessIiEEEEEE10hipError_tPvRmT1_T2_T3_mT4_P12ihipStream_tbEUlT_E1_NS1_11comp_targetILNS1_3genE2ELNS1_11target_archE906ELNS1_3gpuE6ELNS1_3repE0EEENS1_30default_config_static_selectorELNS0_4arch9wavefront6targetE1EEEvSS_
		.amdhsa_group_segment_fixed_size 0
		.amdhsa_private_segment_fixed_size 0
		.amdhsa_kernarg_size 64
		.amdhsa_user_sgpr_count 6
		.amdhsa_user_sgpr_private_segment_buffer 1
		.amdhsa_user_sgpr_dispatch_ptr 0
		.amdhsa_user_sgpr_queue_ptr 0
		.amdhsa_user_sgpr_kernarg_segment_ptr 1
		.amdhsa_user_sgpr_dispatch_id 0
		.amdhsa_user_sgpr_flat_scratch_init 0
		.amdhsa_user_sgpr_kernarg_preload_length 0
		.amdhsa_user_sgpr_kernarg_preload_offset 0
		.amdhsa_user_sgpr_private_segment_size 0
		.amdhsa_uses_dynamic_stack 0
		.amdhsa_system_sgpr_private_segment_wavefront_offset 0
		.amdhsa_system_sgpr_workgroup_id_x 1
		.amdhsa_system_sgpr_workgroup_id_y 0
		.amdhsa_system_sgpr_workgroup_id_z 0
		.amdhsa_system_sgpr_workgroup_info 0
		.amdhsa_system_vgpr_workitem_id 0
		.amdhsa_next_free_vgpr 1
		.amdhsa_next_free_sgpr 0
		.amdhsa_accum_offset 4
		.amdhsa_reserve_vcc 0
		.amdhsa_reserve_flat_scratch 0
		.amdhsa_float_round_mode_32 0
		.amdhsa_float_round_mode_16_64 0
		.amdhsa_float_denorm_mode_32 3
		.amdhsa_float_denorm_mode_16_64 3
		.amdhsa_dx10_clamp 1
		.amdhsa_ieee_mode 1
		.amdhsa_fp16_overflow 0
		.amdhsa_tg_split 0
		.amdhsa_exception_fp_ieee_invalid_op 0
		.amdhsa_exception_fp_denorm_src 0
		.amdhsa_exception_fp_ieee_div_zero 0
		.amdhsa_exception_fp_ieee_overflow 0
		.amdhsa_exception_fp_ieee_underflow 0
		.amdhsa_exception_fp_ieee_inexact 0
		.amdhsa_exception_int_div_zero 0
	.end_amdhsa_kernel
	.section	.text._ZN7rocprim17ROCPRIM_400000_NS6detail17trampoline_kernelINS0_14default_configENS1_22reduce_config_selectorIN6thrust23THRUST_200600_302600_NS5tupleIilNS6_9null_typeES8_S8_S8_S8_S8_S8_S8_EEEEZNS1_11reduce_implILb0ES3_NS6_12zip_iteratorINS7_IPiNS6_11hip_rocprim19counting_iterator_tIlEES8_S8_S8_S8_S8_S8_S8_S8_EEEEPS9_S9_NSE_9__extrema9arg_max_fIilNS6_4lessIiEEEEEE10hipError_tPvRmT1_T2_T3_mT4_P12ihipStream_tbEUlT_E1_NS1_11comp_targetILNS1_3genE2ELNS1_11target_archE906ELNS1_3gpuE6ELNS1_3repE0EEENS1_30default_config_static_selectorELNS0_4arch9wavefront6targetE1EEEvSS_,"axG",@progbits,_ZN7rocprim17ROCPRIM_400000_NS6detail17trampoline_kernelINS0_14default_configENS1_22reduce_config_selectorIN6thrust23THRUST_200600_302600_NS5tupleIilNS6_9null_typeES8_S8_S8_S8_S8_S8_S8_EEEEZNS1_11reduce_implILb0ES3_NS6_12zip_iteratorINS7_IPiNS6_11hip_rocprim19counting_iterator_tIlEES8_S8_S8_S8_S8_S8_S8_S8_EEEEPS9_S9_NSE_9__extrema9arg_max_fIilNS6_4lessIiEEEEEE10hipError_tPvRmT1_T2_T3_mT4_P12ihipStream_tbEUlT_E1_NS1_11comp_targetILNS1_3genE2ELNS1_11target_archE906ELNS1_3gpuE6ELNS1_3repE0EEENS1_30default_config_static_selectorELNS0_4arch9wavefront6targetE1EEEvSS_,comdat
.Lfunc_end211:
	.size	_ZN7rocprim17ROCPRIM_400000_NS6detail17trampoline_kernelINS0_14default_configENS1_22reduce_config_selectorIN6thrust23THRUST_200600_302600_NS5tupleIilNS6_9null_typeES8_S8_S8_S8_S8_S8_S8_EEEEZNS1_11reduce_implILb0ES3_NS6_12zip_iteratorINS7_IPiNS6_11hip_rocprim19counting_iterator_tIlEES8_S8_S8_S8_S8_S8_S8_S8_EEEEPS9_S9_NSE_9__extrema9arg_max_fIilNS6_4lessIiEEEEEE10hipError_tPvRmT1_T2_T3_mT4_P12ihipStream_tbEUlT_E1_NS1_11comp_targetILNS1_3genE2ELNS1_11target_archE906ELNS1_3gpuE6ELNS1_3repE0EEENS1_30default_config_static_selectorELNS0_4arch9wavefront6targetE1EEEvSS_, .Lfunc_end211-_ZN7rocprim17ROCPRIM_400000_NS6detail17trampoline_kernelINS0_14default_configENS1_22reduce_config_selectorIN6thrust23THRUST_200600_302600_NS5tupleIilNS6_9null_typeES8_S8_S8_S8_S8_S8_S8_EEEEZNS1_11reduce_implILb0ES3_NS6_12zip_iteratorINS7_IPiNS6_11hip_rocprim19counting_iterator_tIlEES8_S8_S8_S8_S8_S8_S8_S8_EEEEPS9_S9_NSE_9__extrema9arg_max_fIilNS6_4lessIiEEEEEE10hipError_tPvRmT1_T2_T3_mT4_P12ihipStream_tbEUlT_E1_NS1_11comp_targetILNS1_3genE2ELNS1_11target_archE906ELNS1_3gpuE6ELNS1_3repE0EEENS1_30default_config_static_selectorELNS0_4arch9wavefront6targetE1EEEvSS_
                                        ; -- End function
	.section	.AMDGPU.csdata,"",@progbits
; Kernel info:
; codeLenInByte = 0
; NumSgprs: 4
; NumVgprs: 0
; NumAgprs: 0
; TotalNumVgprs: 0
; ScratchSize: 0
; MemoryBound: 0
; FloatMode: 240
; IeeeMode: 1
; LDSByteSize: 0 bytes/workgroup (compile time only)
; SGPRBlocks: 0
; VGPRBlocks: 0
; NumSGPRsForWavesPerEU: 4
; NumVGPRsForWavesPerEU: 1
; AccumOffset: 4
; Occupancy: 8
; WaveLimiterHint : 0
; COMPUTE_PGM_RSRC2:SCRATCH_EN: 0
; COMPUTE_PGM_RSRC2:USER_SGPR: 6
; COMPUTE_PGM_RSRC2:TRAP_HANDLER: 0
; COMPUTE_PGM_RSRC2:TGID_X_EN: 1
; COMPUTE_PGM_RSRC2:TGID_Y_EN: 0
; COMPUTE_PGM_RSRC2:TGID_Z_EN: 0
; COMPUTE_PGM_RSRC2:TIDIG_COMP_CNT: 0
; COMPUTE_PGM_RSRC3_GFX90A:ACCUM_OFFSET: 0
; COMPUTE_PGM_RSRC3_GFX90A:TG_SPLIT: 0
	.section	.text._ZN7rocprim17ROCPRIM_400000_NS6detail17trampoline_kernelINS0_14default_configENS1_22reduce_config_selectorIN6thrust23THRUST_200600_302600_NS5tupleIilNS6_9null_typeES8_S8_S8_S8_S8_S8_S8_EEEEZNS1_11reduce_implILb0ES3_NS6_12zip_iteratorINS7_IPiNS6_11hip_rocprim19counting_iterator_tIlEES8_S8_S8_S8_S8_S8_S8_S8_EEEEPS9_S9_NSE_9__extrema9arg_max_fIilNS6_4lessIiEEEEEE10hipError_tPvRmT1_T2_T3_mT4_P12ihipStream_tbEUlT_E1_NS1_11comp_targetILNS1_3genE10ELNS1_11target_archE1201ELNS1_3gpuE5ELNS1_3repE0EEENS1_30default_config_static_selectorELNS0_4arch9wavefront6targetE1EEEvSS_,"axG",@progbits,_ZN7rocprim17ROCPRIM_400000_NS6detail17trampoline_kernelINS0_14default_configENS1_22reduce_config_selectorIN6thrust23THRUST_200600_302600_NS5tupleIilNS6_9null_typeES8_S8_S8_S8_S8_S8_S8_EEEEZNS1_11reduce_implILb0ES3_NS6_12zip_iteratorINS7_IPiNS6_11hip_rocprim19counting_iterator_tIlEES8_S8_S8_S8_S8_S8_S8_S8_EEEEPS9_S9_NSE_9__extrema9arg_max_fIilNS6_4lessIiEEEEEE10hipError_tPvRmT1_T2_T3_mT4_P12ihipStream_tbEUlT_E1_NS1_11comp_targetILNS1_3genE10ELNS1_11target_archE1201ELNS1_3gpuE5ELNS1_3repE0EEENS1_30default_config_static_selectorELNS0_4arch9wavefront6targetE1EEEvSS_,comdat
	.protected	_ZN7rocprim17ROCPRIM_400000_NS6detail17trampoline_kernelINS0_14default_configENS1_22reduce_config_selectorIN6thrust23THRUST_200600_302600_NS5tupleIilNS6_9null_typeES8_S8_S8_S8_S8_S8_S8_EEEEZNS1_11reduce_implILb0ES3_NS6_12zip_iteratorINS7_IPiNS6_11hip_rocprim19counting_iterator_tIlEES8_S8_S8_S8_S8_S8_S8_S8_EEEEPS9_S9_NSE_9__extrema9arg_max_fIilNS6_4lessIiEEEEEE10hipError_tPvRmT1_T2_T3_mT4_P12ihipStream_tbEUlT_E1_NS1_11comp_targetILNS1_3genE10ELNS1_11target_archE1201ELNS1_3gpuE5ELNS1_3repE0EEENS1_30default_config_static_selectorELNS0_4arch9wavefront6targetE1EEEvSS_ ; -- Begin function _ZN7rocprim17ROCPRIM_400000_NS6detail17trampoline_kernelINS0_14default_configENS1_22reduce_config_selectorIN6thrust23THRUST_200600_302600_NS5tupleIilNS6_9null_typeES8_S8_S8_S8_S8_S8_S8_EEEEZNS1_11reduce_implILb0ES3_NS6_12zip_iteratorINS7_IPiNS6_11hip_rocprim19counting_iterator_tIlEES8_S8_S8_S8_S8_S8_S8_S8_EEEEPS9_S9_NSE_9__extrema9arg_max_fIilNS6_4lessIiEEEEEE10hipError_tPvRmT1_T2_T3_mT4_P12ihipStream_tbEUlT_E1_NS1_11comp_targetILNS1_3genE10ELNS1_11target_archE1201ELNS1_3gpuE5ELNS1_3repE0EEENS1_30default_config_static_selectorELNS0_4arch9wavefront6targetE1EEEvSS_
	.globl	_ZN7rocprim17ROCPRIM_400000_NS6detail17trampoline_kernelINS0_14default_configENS1_22reduce_config_selectorIN6thrust23THRUST_200600_302600_NS5tupleIilNS6_9null_typeES8_S8_S8_S8_S8_S8_S8_EEEEZNS1_11reduce_implILb0ES3_NS6_12zip_iteratorINS7_IPiNS6_11hip_rocprim19counting_iterator_tIlEES8_S8_S8_S8_S8_S8_S8_S8_EEEEPS9_S9_NSE_9__extrema9arg_max_fIilNS6_4lessIiEEEEEE10hipError_tPvRmT1_T2_T3_mT4_P12ihipStream_tbEUlT_E1_NS1_11comp_targetILNS1_3genE10ELNS1_11target_archE1201ELNS1_3gpuE5ELNS1_3repE0EEENS1_30default_config_static_selectorELNS0_4arch9wavefront6targetE1EEEvSS_
	.p2align	8
	.type	_ZN7rocprim17ROCPRIM_400000_NS6detail17trampoline_kernelINS0_14default_configENS1_22reduce_config_selectorIN6thrust23THRUST_200600_302600_NS5tupleIilNS6_9null_typeES8_S8_S8_S8_S8_S8_S8_EEEEZNS1_11reduce_implILb0ES3_NS6_12zip_iteratorINS7_IPiNS6_11hip_rocprim19counting_iterator_tIlEES8_S8_S8_S8_S8_S8_S8_S8_EEEEPS9_S9_NSE_9__extrema9arg_max_fIilNS6_4lessIiEEEEEE10hipError_tPvRmT1_T2_T3_mT4_P12ihipStream_tbEUlT_E1_NS1_11comp_targetILNS1_3genE10ELNS1_11target_archE1201ELNS1_3gpuE5ELNS1_3repE0EEENS1_30default_config_static_selectorELNS0_4arch9wavefront6targetE1EEEvSS_,@function
_ZN7rocprim17ROCPRIM_400000_NS6detail17trampoline_kernelINS0_14default_configENS1_22reduce_config_selectorIN6thrust23THRUST_200600_302600_NS5tupleIilNS6_9null_typeES8_S8_S8_S8_S8_S8_S8_EEEEZNS1_11reduce_implILb0ES3_NS6_12zip_iteratorINS7_IPiNS6_11hip_rocprim19counting_iterator_tIlEES8_S8_S8_S8_S8_S8_S8_S8_EEEEPS9_S9_NSE_9__extrema9arg_max_fIilNS6_4lessIiEEEEEE10hipError_tPvRmT1_T2_T3_mT4_P12ihipStream_tbEUlT_E1_NS1_11comp_targetILNS1_3genE10ELNS1_11target_archE1201ELNS1_3gpuE5ELNS1_3repE0EEENS1_30default_config_static_selectorELNS0_4arch9wavefront6targetE1EEEvSS_: ; @_ZN7rocprim17ROCPRIM_400000_NS6detail17trampoline_kernelINS0_14default_configENS1_22reduce_config_selectorIN6thrust23THRUST_200600_302600_NS5tupleIilNS6_9null_typeES8_S8_S8_S8_S8_S8_S8_EEEEZNS1_11reduce_implILb0ES3_NS6_12zip_iteratorINS7_IPiNS6_11hip_rocprim19counting_iterator_tIlEES8_S8_S8_S8_S8_S8_S8_S8_EEEEPS9_S9_NSE_9__extrema9arg_max_fIilNS6_4lessIiEEEEEE10hipError_tPvRmT1_T2_T3_mT4_P12ihipStream_tbEUlT_E1_NS1_11comp_targetILNS1_3genE10ELNS1_11target_archE1201ELNS1_3gpuE5ELNS1_3repE0EEENS1_30default_config_static_selectorELNS0_4arch9wavefront6targetE1EEEvSS_
; %bb.0:
	.section	.rodata,"a",@progbits
	.p2align	6, 0x0
	.amdhsa_kernel _ZN7rocprim17ROCPRIM_400000_NS6detail17trampoline_kernelINS0_14default_configENS1_22reduce_config_selectorIN6thrust23THRUST_200600_302600_NS5tupleIilNS6_9null_typeES8_S8_S8_S8_S8_S8_S8_EEEEZNS1_11reduce_implILb0ES3_NS6_12zip_iteratorINS7_IPiNS6_11hip_rocprim19counting_iterator_tIlEES8_S8_S8_S8_S8_S8_S8_S8_EEEEPS9_S9_NSE_9__extrema9arg_max_fIilNS6_4lessIiEEEEEE10hipError_tPvRmT1_T2_T3_mT4_P12ihipStream_tbEUlT_E1_NS1_11comp_targetILNS1_3genE10ELNS1_11target_archE1201ELNS1_3gpuE5ELNS1_3repE0EEENS1_30default_config_static_selectorELNS0_4arch9wavefront6targetE1EEEvSS_
		.amdhsa_group_segment_fixed_size 0
		.amdhsa_private_segment_fixed_size 0
		.amdhsa_kernarg_size 64
		.amdhsa_user_sgpr_count 6
		.amdhsa_user_sgpr_private_segment_buffer 1
		.amdhsa_user_sgpr_dispatch_ptr 0
		.amdhsa_user_sgpr_queue_ptr 0
		.amdhsa_user_sgpr_kernarg_segment_ptr 1
		.amdhsa_user_sgpr_dispatch_id 0
		.amdhsa_user_sgpr_flat_scratch_init 0
		.amdhsa_user_sgpr_kernarg_preload_length 0
		.amdhsa_user_sgpr_kernarg_preload_offset 0
		.amdhsa_user_sgpr_private_segment_size 0
		.amdhsa_uses_dynamic_stack 0
		.amdhsa_system_sgpr_private_segment_wavefront_offset 0
		.amdhsa_system_sgpr_workgroup_id_x 1
		.amdhsa_system_sgpr_workgroup_id_y 0
		.amdhsa_system_sgpr_workgroup_id_z 0
		.amdhsa_system_sgpr_workgroup_info 0
		.amdhsa_system_vgpr_workitem_id 0
		.amdhsa_next_free_vgpr 1
		.amdhsa_next_free_sgpr 0
		.amdhsa_accum_offset 4
		.amdhsa_reserve_vcc 0
		.amdhsa_reserve_flat_scratch 0
		.amdhsa_float_round_mode_32 0
		.amdhsa_float_round_mode_16_64 0
		.amdhsa_float_denorm_mode_32 3
		.amdhsa_float_denorm_mode_16_64 3
		.amdhsa_dx10_clamp 1
		.amdhsa_ieee_mode 1
		.amdhsa_fp16_overflow 0
		.amdhsa_tg_split 0
		.amdhsa_exception_fp_ieee_invalid_op 0
		.amdhsa_exception_fp_denorm_src 0
		.amdhsa_exception_fp_ieee_div_zero 0
		.amdhsa_exception_fp_ieee_overflow 0
		.amdhsa_exception_fp_ieee_underflow 0
		.amdhsa_exception_fp_ieee_inexact 0
		.amdhsa_exception_int_div_zero 0
	.end_amdhsa_kernel
	.section	.text._ZN7rocprim17ROCPRIM_400000_NS6detail17trampoline_kernelINS0_14default_configENS1_22reduce_config_selectorIN6thrust23THRUST_200600_302600_NS5tupleIilNS6_9null_typeES8_S8_S8_S8_S8_S8_S8_EEEEZNS1_11reduce_implILb0ES3_NS6_12zip_iteratorINS7_IPiNS6_11hip_rocprim19counting_iterator_tIlEES8_S8_S8_S8_S8_S8_S8_S8_EEEEPS9_S9_NSE_9__extrema9arg_max_fIilNS6_4lessIiEEEEEE10hipError_tPvRmT1_T2_T3_mT4_P12ihipStream_tbEUlT_E1_NS1_11comp_targetILNS1_3genE10ELNS1_11target_archE1201ELNS1_3gpuE5ELNS1_3repE0EEENS1_30default_config_static_selectorELNS0_4arch9wavefront6targetE1EEEvSS_,"axG",@progbits,_ZN7rocprim17ROCPRIM_400000_NS6detail17trampoline_kernelINS0_14default_configENS1_22reduce_config_selectorIN6thrust23THRUST_200600_302600_NS5tupleIilNS6_9null_typeES8_S8_S8_S8_S8_S8_S8_EEEEZNS1_11reduce_implILb0ES3_NS6_12zip_iteratorINS7_IPiNS6_11hip_rocprim19counting_iterator_tIlEES8_S8_S8_S8_S8_S8_S8_S8_EEEEPS9_S9_NSE_9__extrema9arg_max_fIilNS6_4lessIiEEEEEE10hipError_tPvRmT1_T2_T3_mT4_P12ihipStream_tbEUlT_E1_NS1_11comp_targetILNS1_3genE10ELNS1_11target_archE1201ELNS1_3gpuE5ELNS1_3repE0EEENS1_30default_config_static_selectorELNS0_4arch9wavefront6targetE1EEEvSS_,comdat
.Lfunc_end212:
	.size	_ZN7rocprim17ROCPRIM_400000_NS6detail17trampoline_kernelINS0_14default_configENS1_22reduce_config_selectorIN6thrust23THRUST_200600_302600_NS5tupleIilNS6_9null_typeES8_S8_S8_S8_S8_S8_S8_EEEEZNS1_11reduce_implILb0ES3_NS6_12zip_iteratorINS7_IPiNS6_11hip_rocprim19counting_iterator_tIlEES8_S8_S8_S8_S8_S8_S8_S8_EEEEPS9_S9_NSE_9__extrema9arg_max_fIilNS6_4lessIiEEEEEE10hipError_tPvRmT1_T2_T3_mT4_P12ihipStream_tbEUlT_E1_NS1_11comp_targetILNS1_3genE10ELNS1_11target_archE1201ELNS1_3gpuE5ELNS1_3repE0EEENS1_30default_config_static_selectorELNS0_4arch9wavefront6targetE1EEEvSS_, .Lfunc_end212-_ZN7rocprim17ROCPRIM_400000_NS6detail17trampoline_kernelINS0_14default_configENS1_22reduce_config_selectorIN6thrust23THRUST_200600_302600_NS5tupleIilNS6_9null_typeES8_S8_S8_S8_S8_S8_S8_EEEEZNS1_11reduce_implILb0ES3_NS6_12zip_iteratorINS7_IPiNS6_11hip_rocprim19counting_iterator_tIlEES8_S8_S8_S8_S8_S8_S8_S8_EEEEPS9_S9_NSE_9__extrema9arg_max_fIilNS6_4lessIiEEEEEE10hipError_tPvRmT1_T2_T3_mT4_P12ihipStream_tbEUlT_E1_NS1_11comp_targetILNS1_3genE10ELNS1_11target_archE1201ELNS1_3gpuE5ELNS1_3repE0EEENS1_30default_config_static_selectorELNS0_4arch9wavefront6targetE1EEEvSS_
                                        ; -- End function
	.section	.AMDGPU.csdata,"",@progbits
; Kernel info:
; codeLenInByte = 0
; NumSgprs: 4
; NumVgprs: 0
; NumAgprs: 0
; TotalNumVgprs: 0
; ScratchSize: 0
; MemoryBound: 0
; FloatMode: 240
; IeeeMode: 1
; LDSByteSize: 0 bytes/workgroup (compile time only)
; SGPRBlocks: 0
; VGPRBlocks: 0
; NumSGPRsForWavesPerEU: 4
; NumVGPRsForWavesPerEU: 1
; AccumOffset: 4
; Occupancy: 8
; WaveLimiterHint : 0
; COMPUTE_PGM_RSRC2:SCRATCH_EN: 0
; COMPUTE_PGM_RSRC2:USER_SGPR: 6
; COMPUTE_PGM_RSRC2:TRAP_HANDLER: 0
; COMPUTE_PGM_RSRC2:TGID_X_EN: 1
; COMPUTE_PGM_RSRC2:TGID_Y_EN: 0
; COMPUTE_PGM_RSRC2:TGID_Z_EN: 0
; COMPUTE_PGM_RSRC2:TIDIG_COMP_CNT: 0
; COMPUTE_PGM_RSRC3_GFX90A:ACCUM_OFFSET: 0
; COMPUTE_PGM_RSRC3_GFX90A:TG_SPLIT: 0
	.section	.text._ZN7rocprim17ROCPRIM_400000_NS6detail17trampoline_kernelINS0_14default_configENS1_22reduce_config_selectorIN6thrust23THRUST_200600_302600_NS5tupleIilNS6_9null_typeES8_S8_S8_S8_S8_S8_S8_EEEEZNS1_11reduce_implILb0ES3_NS6_12zip_iteratorINS7_IPiNS6_11hip_rocprim19counting_iterator_tIlEES8_S8_S8_S8_S8_S8_S8_S8_EEEEPS9_S9_NSE_9__extrema9arg_max_fIilNS6_4lessIiEEEEEE10hipError_tPvRmT1_T2_T3_mT4_P12ihipStream_tbEUlT_E1_NS1_11comp_targetILNS1_3genE10ELNS1_11target_archE1200ELNS1_3gpuE4ELNS1_3repE0EEENS1_30default_config_static_selectorELNS0_4arch9wavefront6targetE1EEEvSS_,"axG",@progbits,_ZN7rocprim17ROCPRIM_400000_NS6detail17trampoline_kernelINS0_14default_configENS1_22reduce_config_selectorIN6thrust23THRUST_200600_302600_NS5tupleIilNS6_9null_typeES8_S8_S8_S8_S8_S8_S8_EEEEZNS1_11reduce_implILb0ES3_NS6_12zip_iteratorINS7_IPiNS6_11hip_rocprim19counting_iterator_tIlEES8_S8_S8_S8_S8_S8_S8_S8_EEEEPS9_S9_NSE_9__extrema9arg_max_fIilNS6_4lessIiEEEEEE10hipError_tPvRmT1_T2_T3_mT4_P12ihipStream_tbEUlT_E1_NS1_11comp_targetILNS1_3genE10ELNS1_11target_archE1200ELNS1_3gpuE4ELNS1_3repE0EEENS1_30default_config_static_selectorELNS0_4arch9wavefront6targetE1EEEvSS_,comdat
	.protected	_ZN7rocprim17ROCPRIM_400000_NS6detail17trampoline_kernelINS0_14default_configENS1_22reduce_config_selectorIN6thrust23THRUST_200600_302600_NS5tupleIilNS6_9null_typeES8_S8_S8_S8_S8_S8_S8_EEEEZNS1_11reduce_implILb0ES3_NS6_12zip_iteratorINS7_IPiNS6_11hip_rocprim19counting_iterator_tIlEES8_S8_S8_S8_S8_S8_S8_S8_EEEEPS9_S9_NSE_9__extrema9arg_max_fIilNS6_4lessIiEEEEEE10hipError_tPvRmT1_T2_T3_mT4_P12ihipStream_tbEUlT_E1_NS1_11comp_targetILNS1_3genE10ELNS1_11target_archE1200ELNS1_3gpuE4ELNS1_3repE0EEENS1_30default_config_static_selectorELNS0_4arch9wavefront6targetE1EEEvSS_ ; -- Begin function _ZN7rocprim17ROCPRIM_400000_NS6detail17trampoline_kernelINS0_14default_configENS1_22reduce_config_selectorIN6thrust23THRUST_200600_302600_NS5tupleIilNS6_9null_typeES8_S8_S8_S8_S8_S8_S8_EEEEZNS1_11reduce_implILb0ES3_NS6_12zip_iteratorINS7_IPiNS6_11hip_rocprim19counting_iterator_tIlEES8_S8_S8_S8_S8_S8_S8_S8_EEEEPS9_S9_NSE_9__extrema9arg_max_fIilNS6_4lessIiEEEEEE10hipError_tPvRmT1_T2_T3_mT4_P12ihipStream_tbEUlT_E1_NS1_11comp_targetILNS1_3genE10ELNS1_11target_archE1200ELNS1_3gpuE4ELNS1_3repE0EEENS1_30default_config_static_selectorELNS0_4arch9wavefront6targetE1EEEvSS_
	.globl	_ZN7rocprim17ROCPRIM_400000_NS6detail17trampoline_kernelINS0_14default_configENS1_22reduce_config_selectorIN6thrust23THRUST_200600_302600_NS5tupleIilNS6_9null_typeES8_S8_S8_S8_S8_S8_S8_EEEEZNS1_11reduce_implILb0ES3_NS6_12zip_iteratorINS7_IPiNS6_11hip_rocprim19counting_iterator_tIlEES8_S8_S8_S8_S8_S8_S8_S8_EEEEPS9_S9_NSE_9__extrema9arg_max_fIilNS6_4lessIiEEEEEE10hipError_tPvRmT1_T2_T3_mT4_P12ihipStream_tbEUlT_E1_NS1_11comp_targetILNS1_3genE10ELNS1_11target_archE1200ELNS1_3gpuE4ELNS1_3repE0EEENS1_30default_config_static_selectorELNS0_4arch9wavefront6targetE1EEEvSS_
	.p2align	8
	.type	_ZN7rocprim17ROCPRIM_400000_NS6detail17trampoline_kernelINS0_14default_configENS1_22reduce_config_selectorIN6thrust23THRUST_200600_302600_NS5tupleIilNS6_9null_typeES8_S8_S8_S8_S8_S8_S8_EEEEZNS1_11reduce_implILb0ES3_NS6_12zip_iteratorINS7_IPiNS6_11hip_rocprim19counting_iterator_tIlEES8_S8_S8_S8_S8_S8_S8_S8_EEEEPS9_S9_NSE_9__extrema9arg_max_fIilNS6_4lessIiEEEEEE10hipError_tPvRmT1_T2_T3_mT4_P12ihipStream_tbEUlT_E1_NS1_11comp_targetILNS1_3genE10ELNS1_11target_archE1200ELNS1_3gpuE4ELNS1_3repE0EEENS1_30default_config_static_selectorELNS0_4arch9wavefront6targetE1EEEvSS_,@function
_ZN7rocprim17ROCPRIM_400000_NS6detail17trampoline_kernelINS0_14default_configENS1_22reduce_config_selectorIN6thrust23THRUST_200600_302600_NS5tupleIilNS6_9null_typeES8_S8_S8_S8_S8_S8_S8_EEEEZNS1_11reduce_implILb0ES3_NS6_12zip_iteratorINS7_IPiNS6_11hip_rocprim19counting_iterator_tIlEES8_S8_S8_S8_S8_S8_S8_S8_EEEEPS9_S9_NSE_9__extrema9arg_max_fIilNS6_4lessIiEEEEEE10hipError_tPvRmT1_T2_T3_mT4_P12ihipStream_tbEUlT_E1_NS1_11comp_targetILNS1_3genE10ELNS1_11target_archE1200ELNS1_3gpuE4ELNS1_3repE0EEENS1_30default_config_static_selectorELNS0_4arch9wavefront6targetE1EEEvSS_: ; @_ZN7rocprim17ROCPRIM_400000_NS6detail17trampoline_kernelINS0_14default_configENS1_22reduce_config_selectorIN6thrust23THRUST_200600_302600_NS5tupleIilNS6_9null_typeES8_S8_S8_S8_S8_S8_S8_EEEEZNS1_11reduce_implILb0ES3_NS6_12zip_iteratorINS7_IPiNS6_11hip_rocprim19counting_iterator_tIlEES8_S8_S8_S8_S8_S8_S8_S8_EEEEPS9_S9_NSE_9__extrema9arg_max_fIilNS6_4lessIiEEEEEE10hipError_tPvRmT1_T2_T3_mT4_P12ihipStream_tbEUlT_E1_NS1_11comp_targetILNS1_3genE10ELNS1_11target_archE1200ELNS1_3gpuE4ELNS1_3repE0EEENS1_30default_config_static_selectorELNS0_4arch9wavefront6targetE1EEEvSS_
; %bb.0:
	.section	.rodata,"a",@progbits
	.p2align	6, 0x0
	.amdhsa_kernel _ZN7rocprim17ROCPRIM_400000_NS6detail17trampoline_kernelINS0_14default_configENS1_22reduce_config_selectorIN6thrust23THRUST_200600_302600_NS5tupleIilNS6_9null_typeES8_S8_S8_S8_S8_S8_S8_EEEEZNS1_11reduce_implILb0ES3_NS6_12zip_iteratorINS7_IPiNS6_11hip_rocprim19counting_iterator_tIlEES8_S8_S8_S8_S8_S8_S8_S8_EEEEPS9_S9_NSE_9__extrema9arg_max_fIilNS6_4lessIiEEEEEE10hipError_tPvRmT1_T2_T3_mT4_P12ihipStream_tbEUlT_E1_NS1_11comp_targetILNS1_3genE10ELNS1_11target_archE1200ELNS1_3gpuE4ELNS1_3repE0EEENS1_30default_config_static_selectorELNS0_4arch9wavefront6targetE1EEEvSS_
		.amdhsa_group_segment_fixed_size 0
		.amdhsa_private_segment_fixed_size 0
		.amdhsa_kernarg_size 64
		.amdhsa_user_sgpr_count 6
		.amdhsa_user_sgpr_private_segment_buffer 1
		.amdhsa_user_sgpr_dispatch_ptr 0
		.amdhsa_user_sgpr_queue_ptr 0
		.amdhsa_user_sgpr_kernarg_segment_ptr 1
		.amdhsa_user_sgpr_dispatch_id 0
		.amdhsa_user_sgpr_flat_scratch_init 0
		.amdhsa_user_sgpr_kernarg_preload_length 0
		.amdhsa_user_sgpr_kernarg_preload_offset 0
		.amdhsa_user_sgpr_private_segment_size 0
		.amdhsa_uses_dynamic_stack 0
		.amdhsa_system_sgpr_private_segment_wavefront_offset 0
		.amdhsa_system_sgpr_workgroup_id_x 1
		.amdhsa_system_sgpr_workgroup_id_y 0
		.amdhsa_system_sgpr_workgroup_id_z 0
		.amdhsa_system_sgpr_workgroup_info 0
		.amdhsa_system_vgpr_workitem_id 0
		.amdhsa_next_free_vgpr 1
		.amdhsa_next_free_sgpr 0
		.amdhsa_accum_offset 4
		.amdhsa_reserve_vcc 0
		.amdhsa_reserve_flat_scratch 0
		.amdhsa_float_round_mode_32 0
		.amdhsa_float_round_mode_16_64 0
		.amdhsa_float_denorm_mode_32 3
		.amdhsa_float_denorm_mode_16_64 3
		.amdhsa_dx10_clamp 1
		.amdhsa_ieee_mode 1
		.amdhsa_fp16_overflow 0
		.amdhsa_tg_split 0
		.amdhsa_exception_fp_ieee_invalid_op 0
		.amdhsa_exception_fp_denorm_src 0
		.amdhsa_exception_fp_ieee_div_zero 0
		.amdhsa_exception_fp_ieee_overflow 0
		.amdhsa_exception_fp_ieee_underflow 0
		.amdhsa_exception_fp_ieee_inexact 0
		.amdhsa_exception_int_div_zero 0
	.end_amdhsa_kernel
	.section	.text._ZN7rocprim17ROCPRIM_400000_NS6detail17trampoline_kernelINS0_14default_configENS1_22reduce_config_selectorIN6thrust23THRUST_200600_302600_NS5tupleIilNS6_9null_typeES8_S8_S8_S8_S8_S8_S8_EEEEZNS1_11reduce_implILb0ES3_NS6_12zip_iteratorINS7_IPiNS6_11hip_rocprim19counting_iterator_tIlEES8_S8_S8_S8_S8_S8_S8_S8_EEEEPS9_S9_NSE_9__extrema9arg_max_fIilNS6_4lessIiEEEEEE10hipError_tPvRmT1_T2_T3_mT4_P12ihipStream_tbEUlT_E1_NS1_11comp_targetILNS1_3genE10ELNS1_11target_archE1200ELNS1_3gpuE4ELNS1_3repE0EEENS1_30default_config_static_selectorELNS0_4arch9wavefront6targetE1EEEvSS_,"axG",@progbits,_ZN7rocprim17ROCPRIM_400000_NS6detail17trampoline_kernelINS0_14default_configENS1_22reduce_config_selectorIN6thrust23THRUST_200600_302600_NS5tupleIilNS6_9null_typeES8_S8_S8_S8_S8_S8_S8_EEEEZNS1_11reduce_implILb0ES3_NS6_12zip_iteratorINS7_IPiNS6_11hip_rocprim19counting_iterator_tIlEES8_S8_S8_S8_S8_S8_S8_S8_EEEEPS9_S9_NSE_9__extrema9arg_max_fIilNS6_4lessIiEEEEEE10hipError_tPvRmT1_T2_T3_mT4_P12ihipStream_tbEUlT_E1_NS1_11comp_targetILNS1_3genE10ELNS1_11target_archE1200ELNS1_3gpuE4ELNS1_3repE0EEENS1_30default_config_static_selectorELNS0_4arch9wavefront6targetE1EEEvSS_,comdat
.Lfunc_end213:
	.size	_ZN7rocprim17ROCPRIM_400000_NS6detail17trampoline_kernelINS0_14default_configENS1_22reduce_config_selectorIN6thrust23THRUST_200600_302600_NS5tupleIilNS6_9null_typeES8_S8_S8_S8_S8_S8_S8_EEEEZNS1_11reduce_implILb0ES3_NS6_12zip_iteratorINS7_IPiNS6_11hip_rocprim19counting_iterator_tIlEES8_S8_S8_S8_S8_S8_S8_S8_EEEEPS9_S9_NSE_9__extrema9arg_max_fIilNS6_4lessIiEEEEEE10hipError_tPvRmT1_T2_T3_mT4_P12ihipStream_tbEUlT_E1_NS1_11comp_targetILNS1_3genE10ELNS1_11target_archE1200ELNS1_3gpuE4ELNS1_3repE0EEENS1_30default_config_static_selectorELNS0_4arch9wavefront6targetE1EEEvSS_, .Lfunc_end213-_ZN7rocprim17ROCPRIM_400000_NS6detail17trampoline_kernelINS0_14default_configENS1_22reduce_config_selectorIN6thrust23THRUST_200600_302600_NS5tupleIilNS6_9null_typeES8_S8_S8_S8_S8_S8_S8_EEEEZNS1_11reduce_implILb0ES3_NS6_12zip_iteratorINS7_IPiNS6_11hip_rocprim19counting_iterator_tIlEES8_S8_S8_S8_S8_S8_S8_S8_EEEEPS9_S9_NSE_9__extrema9arg_max_fIilNS6_4lessIiEEEEEE10hipError_tPvRmT1_T2_T3_mT4_P12ihipStream_tbEUlT_E1_NS1_11comp_targetILNS1_3genE10ELNS1_11target_archE1200ELNS1_3gpuE4ELNS1_3repE0EEENS1_30default_config_static_selectorELNS0_4arch9wavefront6targetE1EEEvSS_
                                        ; -- End function
	.section	.AMDGPU.csdata,"",@progbits
; Kernel info:
; codeLenInByte = 0
; NumSgprs: 4
; NumVgprs: 0
; NumAgprs: 0
; TotalNumVgprs: 0
; ScratchSize: 0
; MemoryBound: 0
; FloatMode: 240
; IeeeMode: 1
; LDSByteSize: 0 bytes/workgroup (compile time only)
; SGPRBlocks: 0
; VGPRBlocks: 0
; NumSGPRsForWavesPerEU: 4
; NumVGPRsForWavesPerEU: 1
; AccumOffset: 4
; Occupancy: 8
; WaveLimiterHint : 0
; COMPUTE_PGM_RSRC2:SCRATCH_EN: 0
; COMPUTE_PGM_RSRC2:USER_SGPR: 6
; COMPUTE_PGM_RSRC2:TRAP_HANDLER: 0
; COMPUTE_PGM_RSRC2:TGID_X_EN: 1
; COMPUTE_PGM_RSRC2:TGID_Y_EN: 0
; COMPUTE_PGM_RSRC2:TGID_Z_EN: 0
; COMPUTE_PGM_RSRC2:TIDIG_COMP_CNT: 0
; COMPUTE_PGM_RSRC3_GFX90A:ACCUM_OFFSET: 0
; COMPUTE_PGM_RSRC3_GFX90A:TG_SPLIT: 0
	.section	.text._ZN7rocprim17ROCPRIM_400000_NS6detail17trampoline_kernelINS0_14default_configENS1_22reduce_config_selectorIN6thrust23THRUST_200600_302600_NS5tupleIilNS6_9null_typeES8_S8_S8_S8_S8_S8_S8_EEEEZNS1_11reduce_implILb0ES3_NS6_12zip_iteratorINS7_IPiNS6_11hip_rocprim19counting_iterator_tIlEES8_S8_S8_S8_S8_S8_S8_S8_EEEEPS9_S9_NSE_9__extrema9arg_max_fIilNS6_4lessIiEEEEEE10hipError_tPvRmT1_T2_T3_mT4_P12ihipStream_tbEUlT_E1_NS1_11comp_targetILNS1_3genE9ELNS1_11target_archE1100ELNS1_3gpuE3ELNS1_3repE0EEENS1_30default_config_static_selectorELNS0_4arch9wavefront6targetE1EEEvSS_,"axG",@progbits,_ZN7rocprim17ROCPRIM_400000_NS6detail17trampoline_kernelINS0_14default_configENS1_22reduce_config_selectorIN6thrust23THRUST_200600_302600_NS5tupleIilNS6_9null_typeES8_S8_S8_S8_S8_S8_S8_EEEEZNS1_11reduce_implILb0ES3_NS6_12zip_iteratorINS7_IPiNS6_11hip_rocprim19counting_iterator_tIlEES8_S8_S8_S8_S8_S8_S8_S8_EEEEPS9_S9_NSE_9__extrema9arg_max_fIilNS6_4lessIiEEEEEE10hipError_tPvRmT1_T2_T3_mT4_P12ihipStream_tbEUlT_E1_NS1_11comp_targetILNS1_3genE9ELNS1_11target_archE1100ELNS1_3gpuE3ELNS1_3repE0EEENS1_30default_config_static_selectorELNS0_4arch9wavefront6targetE1EEEvSS_,comdat
	.protected	_ZN7rocprim17ROCPRIM_400000_NS6detail17trampoline_kernelINS0_14default_configENS1_22reduce_config_selectorIN6thrust23THRUST_200600_302600_NS5tupleIilNS6_9null_typeES8_S8_S8_S8_S8_S8_S8_EEEEZNS1_11reduce_implILb0ES3_NS6_12zip_iteratorINS7_IPiNS6_11hip_rocprim19counting_iterator_tIlEES8_S8_S8_S8_S8_S8_S8_S8_EEEEPS9_S9_NSE_9__extrema9arg_max_fIilNS6_4lessIiEEEEEE10hipError_tPvRmT1_T2_T3_mT4_P12ihipStream_tbEUlT_E1_NS1_11comp_targetILNS1_3genE9ELNS1_11target_archE1100ELNS1_3gpuE3ELNS1_3repE0EEENS1_30default_config_static_selectorELNS0_4arch9wavefront6targetE1EEEvSS_ ; -- Begin function _ZN7rocprim17ROCPRIM_400000_NS6detail17trampoline_kernelINS0_14default_configENS1_22reduce_config_selectorIN6thrust23THRUST_200600_302600_NS5tupleIilNS6_9null_typeES8_S8_S8_S8_S8_S8_S8_EEEEZNS1_11reduce_implILb0ES3_NS6_12zip_iteratorINS7_IPiNS6_11hip_rocprim19counting_iterator_tIlEES8_S8_S8_S8_S8_S8_S8_S8_EEEEPS9_S9_NSE_9__extrema9arg_max_fIilNS6_4lessIiEEEEEE10hipError_tPvRmT1_T2_T3_mT4_P12ihipStream_tbEUlT_E1_NS1_11comp_targetILNS1_3genE9ELNS1_11target_archE1100ELNS1_3gpuE3ELNS1_3repE0EEENS1_30default_config_static_selectorELNS0_4arch9wavefront6targetE1EEEvSS_
	.globl	_ZN7rocprim17ROCPRIM_400000_NS6detail17trampoline_kernelINS0_14default_configENS1_22reduce_config_selectorIN6thrust23THRUST_200600_302600_NS5tupleIilNS6_9null_typeES8_S8_S8_S8_S8_S8_S8_EEEEZNS1_11reduce_implILb0ES3_NS6_12zip_iteratorINS7_IPiNS6_11hip_rocprim19counting_iterator_tIlEES8_S8_S8_S8_S8_S8_S8_S8_EEEEPS9_S9_NSE_9__extrema9arg_max_fIilNS6_4lessIiEEEEEE10hipError_tPvRmT1_T2_T3_mT4_P12ihipStream_tbEUlT_E1_NS1_11comp_targetILNS1_3genE9ELNS1_11target_archE1100ELNS1_3gpuE3ELNS1_3repE0EEENS1_30default_config_static_selectorELNS0_4arch9wavefront6targetE1EEEvSS_
	.p2align	8
	.type	_ZN7rocprim17ROCPRIM_400000_NS6detail17trampoline_kernelINS0_14default_configENS1_22reduce_config_selectorIN6thrust23THRUST_200600_302600_NS5tupleIilNS6_9null_typeES8_S8_S8_S8_S8_S8_S8_EEEEZNS1_11reduce_implILb0ES3_NS6_12zip_iteratorINS7_IPiNS6_11hip_rocprim19counting_iterator_tIlEES8_S8_S8_S8_S8_S8_S8_S8_EEEEPS9_S9_NSE_9__extrema9arg_max_fIilNS6_4lessIiEEEEEE10hipError_tPvRmT1_T2_T3_mT4_P12ihipStream_tbEUlT_E1_NS1_11comp_targetILNS1_3genE9ELNS1_11target_archE1100ELNS1_3gpuE3ELNS1_3repE0EEENS1_30default_config_static_selectorELNS0_4arch9wavefront6targetE1EEEvSS_,@function
_ZN7rocprim17ROCPRIM_400000_NS6detail17trampoline_kernelINS0_14default_configENS1_22reduce_config_selectorIN6thrust23THRUST_200600_302600_NS5tupleIilNS6_9null_typeES8_S8_S8_S8_S8_S8_S8_EEEEZNS1_11reduce_implILb0ES3_NS6_12zip_iteratorINS7_IPiNS6_11hip_rocprim19counting_iterator_tIlEES8_S8_S8_S8_S8_S8_S8_S8_EEEEPS9_S9_NSE_9__extrema9arg_max_fIilNS6_4lessIiEEEEEE10hipError_tPvRmT1_T2_T3_mT4_P12ihipStream_tbEUlT_E1_NS1_11comp_targetILNS1_3genE9ELNS1_11target_archE1100ELNS1_3gpuE3ELNS1_3repE0EEENS1_30default_config_static_selectorELNS0_4arch9wavefront6targetE1EEEvSS_: ; @_ZN7rocprim17ROCPRIM_400000_NS6detail17trampoline_kernelINS0_14default_configENS1_22reduce_config_selectorIN6thrust23THRUST_200600_302600_NS5tupleIilNS6_9null_typeES8_S8_S8_S8_S8_S8_S8_EEEEZNS1_11reduce_implILb0ES3_NS6_12zip_iteratorINS7_IPiNS6_11hip_rocprim19counting_iterator_tIlEES8_S8_S8_S8_S8_S8_S8_S8_EEEEPS9_S9_NSE_9__extrema9arg_max_fIilNS6_4lessIiEEEEEE10hipError_tPvRmT1_T2_T3_mT4_P12ihipStream_tbEUlT_E1_NS1_11comp_targetILNS1_3genE9ELNS1_11target_archE1100ELNS1_3gpuE3ELNS1_3repE0EEENS1_30default_config_static_selectorELNS0_4arch9wavefront6targetE1EEEvSS_
; %bb.0:
	.section	.rodata,"a",@progbits
	.p2align	6, 0x0
	.amdhsa_kernel _ZN7rocprim17ROCPRIM_400000_NS6detail17trampoline_kernelINS0_14default_configENS1_22reduce_config_selectorIN6thrust23THRUST_200600_302600_NS5tupleIilNS6_9null_typeES8_S8_S8_S8_S8_S8_S8_EEEEZNS1_11reduce_implILb0ES3_NS6_12zip_iteratorINS7_IPiNS6_11hip_rocprim19counting_iterator_tIlEES8_S8_S8_S8_S8_S8_S8_S8_EEEEPS9_S9_NSE_9__extrema9arg_max_fIilNS6_4lessIiEEEEEE10hipError_tPvRmT1_T2_T3_mT4_P12ihipStream_tbEUlT_E1_NS1_11comp_targetILNS1_3genE9ELNS1_11target_archE1100ELNS1_3gpuE3ELNS1_3repE0EEENS1_30default_config_static_selectorELNS0_4arch9wavefront6targetE1EEEvSS_
		.amdhsa_group_segment_fixed_size 0
		.amdhsa_private_segment_fixed_size 0
		.amdhsa_kernarg_size 64
		.amdhsa_user_sgpr_count 6
		.amdhsa_user_sgpr_private_segment_buffer 1
		.amdhsa_user_sgpr_dispatch_ptr 0
		.amdhsa_user_sgpr_queue_ptr 0
		.amdhsa_user_sgpr_kernarg_segment_ptr 1
		.amdhsa_user_sgpr_dispatch_id 0
		.amdhsa_user_sgpr_flat_scratch_init 0
		.amdhsa_user_sgpr_kernarg_preload_length 0
		.amdhsa_user_sgpr_kernarg_preload_offset 0
		.amdhsa_user_sgpr_private_segment_size 0
		.amdhsa_uses_dynamic_stack 0
		.amdhsa_system_sgpr_private_segment_wavefront_offset 0
		.amdhsa_system_sgpr_workgroup_id_x 1
		.amdhsa_system_sgpr_workgroup_id_y 0
		.amdhsa_system_sgpr_workgroup_id_z 0
		.amdhsa_system_sgpr_workgroup_info 0
		.amdhsa_system_vgpr_workitem_id 0
		.amdhsa_next_free_vgpr 1
		.amdhsa_next_free_sgpr 0
		.amdhsa_accum_offset 4
		.amdhsa_reserve_vcc 0
		.amdhsa_reserve_flat_scratch 0
		.amdhsa_float_round_mode_32 0
		.amdhsa_float_round_mode_16_64 0
		.amdhsa_float_denorm_mode_32 3
		.amdhsa_float_denorm_mode_16_64 3
		.amdhsa_dx10_clamp 1
		.amdhsa_ieee_mode 1
		.amdhsa_fp16_overflow 0
		.amdhsa_tg_split 0
		.amdhsa_exception_fp_ieee_invalid_op 0
		.amdhsa_exception_fp_denorm_src 0
		.amdhsa_exception_fp_ieee_div_zero 0
		.amdhsa_exception_fp_ieee_overflow 0
		.amdhsa_exception_fp_ieee_underflow 0
		.amdhsa_exception_fp_ieee_inexact 0
		.amdhsa_exception_int_div_zero 0
	.end_amdhsa_kernel
	.section	.text._ZN7rocprim17ROCPRIM_400000_NS6detail17trampoline_kernelINS0_14default_configENS1_22reduce_config_selectorIN6thrust23THRUST_200600_302600_NS5tupleIilNS6_9null_typeES8_S8_S8_S8_S8_S8_S8_EEEEZNS1_11reduce_implILb0ES3_NS6_12zip_iteratorINS7_IPiNS6_11hip_rocprim19counting_iterator_tIlEES8_S8_S8_S8_S8_S8_S8_S8_EEEEPS9_S9_NSE_9__extrema9arg_max_fIilNS6_4lessIiEEEEEE10hipError_tPvRmT1_T2_T3_mT4_P12ihipStream_tbEUlT_E1_NS1_11comp_targetILNS1_3genE9ELNS1_11target_archE1100ELNS1_3gpuE3ELNS1_3repE0EEENS1_30default_config_static_selectorELNS0_4arch9wavefront6targetE1EEEvSS_,"axG",@progbits,_ZN7rocprim17ROCPRIM_400000_NS6detail17trampoline_kernelINS0_14default_configENS1_22reduce_config_selectorIN6thrust23THRUST_200600_302600_NS5tupleIilNS6_9null_typeES8_S8_S8_S8_S8_S8_S8_EEEEZNS1_11reduce_implILb0ES3_NS6_12zip_iteratorINS7_IPiNS6_11hip_rocprim19counting_iterator_tIlEES8_S8_S8_S8_S8_S8_S8_S8_EEEEPS9_S9_NSE_9__extrema9arg_max_fIilNS6_4lessIiEEEEEE10hipError_tPvRmT1_T2_T3_mT4_P12ihipStream_tbEUlT_E1_NS1_11comp_targetILNS1_3genE9ELNS1_11target_archE1100ELNS1_3gpuE3ELNS1_3repE0EEENS1_30default_config_static_selectorELNS0_4arch9wavefront6targetE1EEEvSS_,comdat
.Lfunc_end214:
	.size	_ZN7rocprim17ROCPRIM_400000_NS6detail17trampoline_kernelINS0_14default_configENS1_22reduce_config_selectorIN6thrust23THRUST_200600_302600_NS5tupleIilNS6_9null_typeES8_S8_S8_S8_S8_S8_S8_EEEEZNS1_11reduce_implILb0ES3_NS6_12zip_iteratorINS7_IPiNS6_11hip_rocprim19counting_iterator_tIlEES8_S8_S8_S8_S8_S8_S8_S8_EEEEPS9_S9_NSE_9__extrema9arg_max_fIilNS6_4lessIiEEEEEE10hipError_tPvRmT1_T2_T3_mT4_P12ihipStream_tbEUlT_E1_NS1_11comp_targetILNS1_3genE9ELNS1_11target_archE1100ELNS1_3gpuE3ELNS1_3repE0EEENS1_30default_config_static_selectorELNS0_4arch9wavefront6targetE1EEEvSS_, .Lfunc_end214-_ZN7rocprim17ROCPRIM_400000_NS6detail17trampoline_kernelINS0_14default_configENS1_22reduce_config_selectorIN6thrust23THRUST_200600_302600_NS5tupleIilNS6_9null_typeES8_S8_S8_S8_S8_S8_S8_EEEEZNS1_11reduce_implILb0ES3_NS6_12zip_iteratorINS7_IPiNS6_11hip_rocprim19counting_iterator_tIlEES8_S8_S8_S8_S8_S8_S8_S8_EEEEPS9_S9_NSE_9__extrema9arg_max_fIilNS6_4lessIiEEEEEE10hipError_tPvRmT1_T2_T3_mT4_P12ihipStream_tbEUlT_E1_NS1_11comp_targetILNS1_3genE9ELNS1_11target_archE1100ELNS1_3gpuE3ELNS1_3repE0EEENS1_30default_config_static_selectorELNS0_4arch9wavefront6targetE1EEEvSS_
                                        ; -- End function
	.section	.AMDGPU.csdata,"",@progbits
; Kernel info:
; codeLenInByte = 0
; NumSgprs: 4
; NumVgprs: 0
; NumAgprs: 0
; TotalNumVgprs: 0
; ScratchSize: 0
; MemoryBound: 0
; FloatMode: 240
; IeeeMode: 1
; LDSByteSize: 0 bytes/workgroup (compile time only)
; SGPRBlocks: 0
; VGPRBlocks: 0
; NumSGPRsForWavesPerEU: 4
; NumVGPRsForWavesPerEU: 1
; AccumOffset: 4
; Occupancy: 8
; WaveLimiterHint : 0
; COMPUTE_PGM_RSRC2:SCRATCH_EN: 0
; COMPUTE_PGM_RSRC2:USER_SGPR: 6
; COMPUTE_PGM_RSRC2:TRAP_HANDLER: 0
; COMPUTE_PGM_RSRC2:TGID_X_EN: 1
; COMPUTE_PGM_RSRC2:TGID_Y_EN: 0
; COMPUTE_PGM_RSRC2:TGID_Z_EN: 0
; COMPUTE_PGM_RSRC2:TIDIG_COMP_CNT: 0
; COMPUTE_PGM_RSRC3_GFX90A:ACCUM_OFFSET: 0
; COMPUTE_PGM_RSRC3_GFX90A:TG_SPLIT: 0
	.section	.text._ZN7rocprim17ROCPRIM_400000_NS6detail17trampoline_kernelINS0_14default_configENS1_22reduce_config_selectorIN6thrust23THRUST_200600_302600_NS5tupleIilNS6_9null_typeES8_S8_S8_S8_S8_S8_S8_EEEEZNS1_11reduce_implILb0ES3_NS6_12zip_iteratorINS7_IPiNS6_11hip_rocprim19counting_iterator_tIlEES8_S8_S8_S8_S8_S8_S8_S8_EEEEPS9_S9_NSE_9__extrema9arg_max_fIilNS6_4lessIiEEEEEE10hipError_tPvRmT1_T2_T3_mT4_P12ihipStream_tbEUlT_E1_NS1_11comp_targetILNS1_3genE8ELNS1_11target_archE1030ELNS1_3gpuE2ELNS1_3repE0EEENS1_30default_config_static_selectorELNS0_4arch9wavefront6targetE1EEEvSS_,"axG",@progbits,_ZN7rocprim17ROCPRIM_400000_NS6detail17trampoline_kernelINS0_14default_configENS1_22reduce_config_selectorIN6thrust23THRUST_200600_302600_NS5tupleIilNS6_9null_typeES8_S8_S8_S8_S8_S8_S8_EEEEZNS1_11reduce_implILb0ES3_NS6_12zip_iteratorINS7_IPiNS6_11hip_rocprim19counting_iterator_tIlEES8_S8_S8_S8_S8_S8_S8_S8_EEEEPS9_S9_NSE_9__extrema9arg_max_fIilNS6_4lessIiEEEEEE10hipError_tPvRmT1_T2_T3_mT4_P12ihipStream_tbEUlT_E1_NS1_11comp_targetILNS1_3genE8ELNS1_11target_archE1030ELNS1_3gpuE2ELNS1_3repE0EEENS1_30default_config_static_selectorELNS0_4arch9wavefront6targetE1EEEvSS_,comdat
	.protected	_ZN7rocprim17ROCPRIM_400000_NS6detail17trampoline_kernelINS0_14default_configENS1_22reduce_config_selectorIN6thrust23THRUST_200600_302600_NS5tupleIilNS6_9null_typeES8_S8_S8_S8_S8_S8_S8_EEEEZNS1_11reduce_implILb0ES3_NS6_12zip_iteratorINS7_IPiNS6_11hip_rocprim19counting_iterator_tIlEES8_S8_S8_S8_S8_S8_S8_S8_EEEEPS9_S9_NSE_9__extrema9arg_max_fIilNS6_4lessIiEEEEEE10hipError_tPvRmT1_T2_T3_mT4_P12ihipStream_tbEUlT_E1_NS1_11comp_targetILNS1_3genE8ELNS1_11target_archE1030ELNS1_3gpuE2ELNS1_3repE0EEENS1_30default_config_static_selectorELNS0_4arch9wavefront6targetE1EEEvSS_ ; -- Begin function _ZN7rocprim17ROCPRIM_400000_NS6detail17trampoline_kernelINS0_14default_configENS1_22reduce_config_selectorIN6thrust23THRUST_200600_302600_NS5tupleIilNS6_9null_typeES8_S8_S8_S8_S8_S8_S8_EEEEZNS1_11reduce_implILb0ES3_NS6_12zip_iteratorINS7_IPiNS6_11hip_rocprim19counting_iterator_tIlEES8_S8_S8_S8_S8_S8_S8_S8_EEEEPS9_S9_NSE_9__extrema9arg_max_fIilNS6_4lessIiEEEEEE10hipError_tPvRmT1_T2_T3_mT4_P12ihipStream_tbEUlT_E1_NS1_11comp_targetILNS1_3genE8ELNS1_11target_archE1030ELNS1_3gpuE2ELNS1_3repE0EEENS1_30default_config_static_selectorELNS0_4arch9wavefront6targetE1EEEvSS_
	.globl	_ZN7rocprim17ROCPRIM_400000_NS6detail17trampoline_kernelINS0_14default_configENS1_22reduce_config_selectorIN6thrust23THRUST_200600_302600_NS5tupleIilNS6_9null_typeES8_S8_S8_S8_S8_S8_S8_EEEEZNS1_11reduce_implILb0ES3_NS6_12zip_iteratorINS7_IPiNS6_11hip_rocprim19counting_iterator_tIlEES8_S8_S8_S8_S8_S8_S8_S8_EEEEPS9_S9_NSE_9__extrema9arg_max_fIilNS6_4lessIiEEEEEE10hipError_tPvRmT1_T2_T3_mT4_P12ihipStream_tbEUlT_E1_NS1_11comp_targetILNS1_3genE8ELNS1_11target_archE1030ELNS1_3gpuE2ELNS1_3repE0EEENS1_30default_config_static_selectorELNS0_4arch9wavefront6targetE1EEEvSS_
	.p2align	8
	.type	_ZN7rocprim17ROCPRIM_400000_NS6detail17trampoline_kernelINS0_14default_configENS1_22reduce_config_selectorIN6thrust23THRUST_200600_302600_NS5tupleIilNS6_9null_typeES8_S8_S8_S8_S8_S8_S8_EEEEZNS1_11reduce_implILb0ES3_NS6_12zip_iteratorINS7_IPiNS6_11hip_rocprim19counting_iterator_tIlEES8_S8_S8_S8_S8_S8_S8_S8_EEEEPS9_S9_NSE_9__extrema9arg_max_fIilNS6_4lessIiEEEEEE10hipError_tPvRmT1_T2_T3_mT4_P12ihipStream_tbEUlT_E1_NS1_11comp_targetILNS1_3genE8ELNS1_11target_archE1030ELNS1_3gpuE2ELNS1_3repE0EEENS1_30default_config_static_selectorELNS0_4arch9wavefront6targetE1EEEvSS_,@function
_ZN7rocprim17ROCPRIM_400000_NS6detail17trampoline_kernelINS0_14default_configENS1_22reduce_config_selectorIN6thrust23THRUST_200600_302600_NS5tupleIilNS6_9null_typeES8_S8_S8_S8_S8_S8_S8_EEEEZNS1_11reduce_implILb0ES3_NS6_12zip_iteratorINS7_IPiNS6_11hip_rocprim19counting_iterator_tIlEES8_S8_S8_S8_S8_S8_S8_S8_EEEEPS9_S9_NSE_9__extrema9arg_max_fIilNS6_4lessIiEEEEEE10hipError_tPvRmT1_T2_T3_mT4_P12ihipStream_tbEUlT_E1_NS1_11comp_targetILNS1_3genE8ELNS1_11target_archE1030ELNS1_3gpuE2ELNS1_3repE0EEENS1_30default_config_static_selectorELNS0_4arch9wavefront6targetE1EEEvSS_: ; @_ZN7rocprim17ROCPRIM_400000_NS6detail17trampoline_kernelINS0_14default_configENS1_22reduce_config_selectorIN6thrust23THRUST_200600_302600_NS5tupleIilNS6_9null_typeES8_S8_S8_S8_S8_S8_S8_EEEEZNS1_11reduce_implILb0ES3_NS6_12zip_iteratorINS7_IPiNS6_11hip_rocprim19counting_iterator_tIlEES8_S8_S8_S8_S8_S8_S8_S8_EEEEPS9_S9_NSE_9__extrema9arg_max_fIilNS6_4lessIiEEEEEE10hipError_tPvRmT1_T2_T3_mT4_P12ihipStream_tbEUlT_E1_NS1_11comp_targetILNS1_3genE8ELNS1_11target_archE1030ELNS1_3gpuE2ELNS1_3repE0EEENS1_30default_config_static_selectorELNS0_4arch9wavefront6targetE1EEEvSS_
; %bb.0:
	.section	.rodata,"a",@progbits
	.p2align	6, 0x0
	.amdhsa_kernel _ZN7rocprim17ROCPRIM_400000_NS6detail17trampoline_kernelINS0_14default_configENS1_22reduce_config_selectorIN6thrust23THRUST_200600_302600_NS5tupleIilNS6_9null_typeES8_S8_S8_S8_S8_S8_S8_EEEEZNS1_11reduce_implILb0ES3_NS6_12zip_iteratorINS7_IPiNS6_11hip_rocprim19counting_iterator_tIlEES8_S8_S8_S8_S8_S8_S8_S8_EEEEPS9_S9_NSE_9__extrema9arg_max_fIilNS6_4lessIiEEEEEE10hipError_tPvRmT1_T2_T3_mT4_P12ihipStream_tbEUlT_E1_NS1_11comp_targetILNS1_3genE8ELNS1_11target_archE1030ELNS1_3gpuE2ELNS1_3repE0EEENS1_30default_config_static_selectorELNS0_4arch9wavefront6targetE1EEEvSS_
		.amdhsa_group_segment_fixed_size 0
		.amdhsa_private_segment_fixed_size 0
		.amdhsa_kernarg_size 64
		.amdhsa_user_sgpr_count 6
		.amdhsa_user_sgpr_private_segment_buffer 1
		.amdhsa_user_sgpr_dispatch_ptr 0
		.amdhsa_user_sgpr_queue_ptr 0
		.amdhsa_user_sgpr_kernarg_segment_ptr 1
		.amdhsa_user_sgpr_dispatch_id 0
		.amdhsa_user_sgpr_flat_scratch_init 0
		.amdhsa_user_sgpr_kernarg_preload_length 0
		.amdhsa_user_sgpr_kernarg_preload_offset 0
		.amdhsa_user_sgpr_private_segment_size 0
		.amdhsa_uses_dynamic_stack 0
		.amdhsa_system_sgpr_private_segment_wavefront_offset 0
		.amdhsa_system_sgpr_workgroup_id_x 1
		.amdhsa_system_sgpr_workgroup_id_y 0
		.amdhsa_system_sgpr_workgroup_id_z 0
		.amdhsa_system_sgpr_workgroup_info 0
		.amdhsa_system_vgpr_workitem_id 0
		.amdhsa_next_free_vgpr 1
		.amdhsa_next_free_sgpr 0
		.amdhsa_accum_offset 4
		.amdhsa_reserve_vcc 0
		.amdhsa_reserve_flat_scratch 0
		.amdhsa_float_round_mode_32 0
		.amdhsa_float_round_mode_16_64 0
		.amdhsa_float_denorm_mode_32 3
		.amdhsa_float_denorm_mode_16_64 3
		.amdhsa_dx10_clamp 1
		.amdhsa_ieee_mode 1
		.amdhsa_fp16_overflow 0
		.amdhsa_tg_split 0
		.amdhsa_exception_fp_ieee_invalid_op 0
		.amdhsa_exception_fp_denorm_src 0
		.amdhsa_exception_fp_ieee_div_zero 0
		.amdhsa_exception_fp_ieee_overflow 0
		.amdhsa_exception_fp_ieee_underflow 0
		.amdhsa_exception_fp_ieee_inexact 0
		.amdhsa_exception_int_div_zero 0
	.end_amdhsa_kernel
	.section	.text._ZN7rocprim17ROCPRIM_400000_NS6detail17trampoline_kernelINS0_14default_configENS1_22reduce_config_selectorIN6thrust23THRUST_200600_302600_NS5tupleIilNS6_9null_typeES8_S8_S8_S8_S8_S8_S8_EEEEZNS1_11reduce_implILb0ES3_NS6_12zip_iteratorINS7_IPiNS6_11hip_rocprim19counting_iterator_tIlEES8_S8_S8_S8_S8_S8_S8_S8_EEEEPS9_S9_NSE_9__extrema9arg_max_fIilNS6_4lessIiEEEEEE10hipError_tPvRmT1_T2_T3_mT4_P12ihipStream_tbEUlT_E1_NS1_11comp_targetILNS1_3genE8ELNS1_11target_archE1030ELNS1_3gpuE2ELNS1_3repE0EEENS1_30default_config_static_selectorELNS0_4arch9wavefront6targetE1EEEvSS_,"axG",@progbits,_ZN7rocprim17ROCPRIM_400000_NS6detail17trampoline_kernelINS0_14default_configENS1_22reduce_config_selectorIN6thrust23THRUST_200600_302600_NS5tupleIilNS6_9null_typeES8_S8_S8_S8_S8_S8_S8_EEEEZNS1_11reduce_implILb0ES3_NS6_12zip_iteratorINS7_IPiNS6_11hip_rocprim19counting_iterator_tIlEES8_S8_S8_S8_S8_S8_S8_S8_EEEEPS9_S9_NSE_9__extrema9arg_max_fIilNS6_4lessIiEEEEEE10hipError_tPvRmT1_T2_T3_mT4_P12ihipStream_tbEUlT_E1_NS1_11comp_targetILNS1_3genE8ELNS1_11target_archE1030ELNS1_3gpuE2ELNS1_3repE0EEENS1_30default_config_static_selectorELNS0_4arch9wavefront6targetE1EEEvSS_,comdat
.Lfunc_end215:
	.size	_ZN7rocprim17ROCPRIM_400000_NS6detail17trampoline_kernelINS0_14default_configENS1_22reduce_config_selectorIN6thrust23THRUST_200600_302600_NS5tupleIilNS6_9null_typeES8_S8_S8_S8_S8_S8_S8_EEEEZNS1_11reduce_implILb0ES3_NS6_12zip_iteratorINS7_IPiNS6_11hip_rocprim19counting_iterator_tIlEES8_S8_S8_S8_S8_S8_S8_S8_EEEEPS9_S9_NSE_9__extrema9arg_max_fIilNS6_4lessIiEEEEEE10hipError_tPvRmT1_T2_T3_mT4_P12ihipStream_tbEUlT_E1_NS1_11comp_targetILNS1_3genE8ELNS1_11target_archE1030ELNS1_3gpuE2ELNS1_3repE0EEENS1_30default_config_static_selectorELNS0_4arch9wavefront6targetE1EEEvSS_, .Lfunc_end215-_ZN7rocprim17ROCPRIM_400000_NS6detail17trampoline_kernelINS0_14default_configENS1_22reduce_config_selectorIN6thrust23THRUST_200600_302600_NS5tupleIilNS6_9null_typeES8_S8_S8_S8_S8_S8_S8_EEEEZNS1_11reduce_implILb0ES3_NS6_12zip_iteratorINS7_IPiNS6_11hip_rocprim19counting_iterator_tIlEES8_S8_S8_S8_S8_S8_S8_S8_EEEEPS9_S9_NSE_9__extrema9arg_max_fIilNS6_4lessIiEEEEEE10hipError_tPvRmT1_T2_T3_mT4_P12ihipStream_tbEUlT_E1_NS1_11comp_targetILNS1_3genE8ELNS1_11target_archE1030ELNS1_3gpuE2ELNS1_3repE0EEENS1_30default_config_static_selectorELNS0_4arch9wavefront6targetE1EEEvSS_
                                        ; -- End function
	.section	.AMDGPU.csdata,"",@progbits
; Kernel info:
; codeLenInByte = 0
; NumSgprs: 4
; NumVgprs: 0
; NumAgprs: 0
; TotalNumVgprs: 0
; ScratchSize: 0
; MemoryBound: 0
; FloatMode: 240
; IeeeMode: 1
; LDSByteSize: 0 bytes/workgroup (compile time only)
; SGPRBlocks: 0
; VGPRBlocks: 0
; NumSGPRsForWavesPerEU: 4
; NumVGPRsForWavesPerEU: 1
; AccumOffset: 4
; Occupancy: 8
; WaveLimiterHint : 0
; COMPUTE_PGM_RSRC2:SCRATCH_EN: 0
; COMPUTE_PGM_RSRC2:USER_SGPR: 6
; COMPUTE_PGM_RSRC2:TRAP_HANDLER: 0
; COMPUTE_PGM_RSRC2:TGID_X_EN: 1
; COMPUTE_PGM_RSRC2:TGID_Y_EN: 0
; COMPUTE_PGM_RSRC2:TGID_Z_EN: 0
; COMPUTE_PGM_RSRC2:TIDIG_COMP_CNT: 0
; COMPUTE_PGM_RSRC3_GFX90A:ACCUM_OFFSET: 0
; COMPUTE_PGM_RSRC3_GFX90A:TG_SPLIT: 0
	.section	.text._ZN6thrust23THRUST_200600_302600_NS11hip_rocprim14__parallel_for6kernelILj256ENS1_10for_each_fINS0_7pointerINS0_5tupleIilNS0_9null_typeES7_S7_S7_S7_S7_S7_S7_EENS1_5par_tENS0_11use_defaultESA_EENS0_6detail16wrapped_functionINSC_23allocator_traits_detail24construct1_via_allocatorINSC_18no_throw_allocatorINSC_19temporary_allocatorIS8_S9_EEEEEEvEEEEmLj1EEEvT0_T1_SO_,"axG",@progbits,_ZN6thrust23THRUST_200600_302600_NS11hip_rocprim14__parallel_for6kernelILj256ENS1_10for_each_fINS0_7pointerINS0_5tupleIilNS0_9null_typeES7_S7_S7_S7_S7_S7_S7_EENS1_5par_tENS0_11use_defaultESA_EENS0_6detail16wrapped_functionINSC_23allocator_traits_detail24construct1_via_allocatorINSC_18no_throw_allocatorINSC_19temporary_allocatorIS8_S9_EEEEEEvEEEEmLj1EEEvT0_T1_SO_,comdat
	.protected	_ZN6thrust23THRUST_200600_302600_NS11hip_rocprim14__parallel_for6kernelILj256ENS1_10for_each_fINS0_7pointerINS0_5tupleIilNS0_9null_typeES7_S7_S7_S7_S7_S7_S7_EENS1_5par_tENS0_11use_defaultESA_EENS0_6detail16wrapped_functionINSC_23allocator_traits_detail24construct1_via_allocatorINSC_18no_throw_allocatorINSC_19temporary_allocatorIS8_S9_EEEEEEvEEEEmLj1EEEvT0_T1_SO_ ; -- Begin function _ZN6thrust23THRUST_200600_302600_NS11hip_rocprim14__parallel_for6kernelILj256ENS1_10for_each_fINS0_7pointerINS0_5tupleIilNS0_9null_typeES7_S7_S7_S7_S7_S7_S7_EENS1_5par_tENS0_11use_defaultESA_EENS0_6detail16wrapped_functionINSC_23allocator_traits_detail24construct1_via_allocatorINSC_18no_throw_allocatorINSC_19temporary_allocatorIS8_S9_EEEEEEvEEEEmLj1EEEvT0_T1_SO_
	.globl	_ZN6thrust23THRUST_200600_302600_NS11hip_rocprim14__parallel_for6kernelILj256ENS1_10for_each_fINS0_7pointerINS0_5tupleIilNS0_9null_typeES7_S7_S7_S7_S7_S7_S7_EENS1_5par_tENS0_11use_defaultESA_EENS0_6detail16wrapped_functionINSC_23allocator_traits_detail24construct1_via_allocatorINSC_18no_throw_allocatorINSC_19temporary_allocatorIS8_S9_EEEEEEvEEEEmLj1EEEvT0_T1_SO_
	.p2align	8
	.type	_ZN6thrust23THRUST_200600_302600_NS11hip_rocprim14__parallel_for6kernelILj256ENS1_10for_each_fINS0_7pointerINS0_5tupleIilNS0_9null_typeES7_S7_S7_S7_S7_S7_S7_EENS1_5par_tENS0_11use_defaultESA_EENS0_6detail16wrapped_functionINSC_23allocator_traits_detail24construct1_via_allocatorINSC_18no_throw_allocatorINSC_19temporary_allocatorIS8_S9_EEEEEEvEEEEmLj1EEEvT0_T1_SO_,@function
_ZN6thrust23THRUST_200600_302600_NS11hip_rocprim14__parallel_for6kernelILj256ENS1_10for_each_fINS0_7pointerINS0_5tupleIilNS0_9null_typeES7_S7_S7_S7_S7_S7_S7_EENS1_5par_tENS0_11use_defaultESA_EENS0_6detail16wrapped_functionINSC_23allocator_traits_detail24construct1_via_allocatorINSC_18no_throw_allocatorINSC_19temporary_allocatorIS8_S9_EEEEEEvEEEEmLj1EEEvT0_T1_SO_: ; @_ZN6thrust23THRUST_200600_302600_NS11hip_rocprim14__parallel_for6kernelILj256ENS1_10for_each_fINS0_7pointerINS0_5tupleIilNS0_9null_typeES7_S7_S7_S7_S7_S7_S7_EENS1_5par_tENS0_11use_defaultESA_EENS0_6detail16wrapped_functionINSC_23allocator_traits_detail24construct1_via_allocatorINSC_18no_throw_allocatorINSC_19temporary_allocatorIS8_S9_EEEEEEvEEEEmLj1EEEvT0_T1_SO_
; %bb.0:
	s_load_dwordx4 s[8:11], s[4:5], 0x10
	s_load_dwordx2 s[0:1], s[4:5], 0x0
	s_lshl_b32 s2, s6, 8
	v_mov_b32_e32 v2, 0x100
	v_mov_b32_e32 v3, 0
	s_waitcnt lgkmcnt(0)
	s_add_u32 s4, s2, s10
	s_addc_u32 s5, 0, s11
	s_sub_u32 s2, s8, s4
	s_subb_u32 s3, s9, s5
	v_cmp_lt_u64_e32 vcc, s[2:3], v[2:3]
	s_cbranch_vccz .LBB216_4
; %bb.1:
	v_cmp_gt_u32_e32 vcc, s2, v0
	s_mov_b64 s[6:7], 0
	s_mov_b64 s[2:3], 0
                                        ; implicit-def: $vgpr2_vgpr3
	s_and_saveexec_b64 s[8:9], vcc
	s_xor_b64 s[8:9], exec, s[8:9]
; %bb.2:
	s_lshl_b64 s[10:11], s[4:5], 4
	s_add_u32 s10, s0, s10
	s_addc_u32 s11, s1, s11
	v_lshlrev_b32_e32 v1, 4, v0
	v_mov_b32_e32 v3, s11
	v_add_co_u32_e32 v2, vcc, s10, v1
	s_mov_b64 s[2:3], exec
	v_addc_co_u32_e32 v3, vcc, 0, v3, vcc
; %bb.3:
	s_or_b64 exec, exec, s[8:9]
	s_and_b64 vcc, exec, s[6:7]
	s_cbranch_vccnz .LBB216_5
	s_branch .LBB216_6
.LBB216_4:
	s_mov_b64 s[2:3], 0
                                        ; implicit-def: $vgpr2_vgpr3
	s_cbranch_execz .LBB216_6
.LBB216_5:
	s_lshl_b64 s[4:5], s[4:5], 4
	s_add_u32 s0, s0, s4
	s_addc_u32 s1, s1, s5
	v_lshlrev_b32_e32 v0, 4, v0
	v_mov_b32_e32 v1, s1
	v_add_co_u32_e32 v2, vcc, s0, v0
	v_addc_co_u32_e32 v3, vcc, 0, v1, vcc
	s_or_b64 s[2:3], s[2:3], exec
.LBB216_6:
	s_and_saveexec_b64 s[0:1], s[2:3]
	s_cbranch_execnz .LBB216_8
; %bb.7:
	s_endpgm
.LBB216_8:
	v_mov_b32_e32 v0, 0
	v_mov_b32_e32 v1, v0
	flat_store_dword v[2:3], v0
	flat_store_dwordx2 v[2:3], v[0:1] offset:8
	s_endpgm
	.section	.rodata,"a",@progbits
	.p2align	6, 0x0
	.amdhsa_kernel _ZN6thrust23THRUST_200600_302600_NS11hip_rocprim14__parallel_for6kernelILj256ENS1_10for_each_fINS0_7pointerINS0_5tupleIilNS0_9null_typeES7_S7_S7_S7_S7_S7_S7_EENS1_5par_tENS0_11use_defaultESA_EENS0_6detail16wrapped_functionINSC_23allocator_traits_detail24construct1_via_allocatorINSC_18no_throw_allocatorINSC_19temporary_allocatorIS8_S9_EEEEEEvEEEEmLj1EEEvT0_T1_SO_
		.amdhsa_group_segment_fixed_size 0
		.amdhsa_private_segment_fixed_size 0
		.amdhsa_kernarg_size 32
		.amdhsa_user_sgpr_count 6
		.amdhsa_user_sgpr_private_segment_buffer 1
		.amdhsa_user_sgpr_dispatch_ptr 0
		.amdhsa_user_sgpr_queue_ptr 0
		.amdhsa_user_sgpr_kernarg_segment_ptr 1
		.amdhsa_user_sgpr_dispatch_id 0
		.amdhsa_user_sgpr_flat_scratch_init 0
		.amdhsa_user_sgpr_kernarg_preload_length 0
		.amdhsa_user_sgpr_kernarg_preload_offset 0
		.amdhsa_user_sgpr_private_segment_size 0
		.amdhsa_uses_dynamic_stack 0
		.amdhsa_system_sgpr_private_segment_wavefront_offset 0
		.amdhsa_system_sgpr_workgroup_id_x 1
		.amdhsa_system_sgpr_workgroup_id_y 0
		.amdhsa_system_sgpr_workgroup_id_z 0
		.amdhsa_system_sgpr_workgroup_info 0
		.amdhsa_system_vgpr_workitem_id 0
		.amdhsa_next_free_vgpr 4
		.amdhsa_next_free_sgpr 12
		.amdhsa_accum_offset 4
		.amdhsa_reserve_vcc 1
		.amdhsa_reserve_flat_scratch 0
		.amdhsa_float_round_mode_32 0
		.amdhsa_float_round_mode_16_64 0
		.amdhsa_float_denorm_mode_32 3
		.amdhsa_float_denorm_mode_16_64 3
		.amdhsa_dx10_clamp 1
		.amdhsa_ieee_mode 1
		.amdhsa_fp16_overflow 0
		.amdhsa_tg_split 0
		.amdhsa_exception_fp_ieee_invalid_op 0
		.amdhsa_exception_fp_denorm_src 0
		.amdhsa_exception_fp_ieee_div_zero 0
		.amdhsa_exception_fp_ieee_overflow 0
		.amdhsa_exception_fp_ieee_underflow 0
		.amdhsa_exception_fp_ieee_inexact 0
		.amdhsa_exception_int_div_zero 0
	.end_amdhsa_kernel
	.section	.text._ZN6thrust23THRUST_200600_302600_NS11hip_rocprim14__parallel_for6kernelILj256ENS1_10for_each_fINS0_7pointerINS0_5tupleIilNS0_9null_typeES7_S7_S7_S7_S7_S7_S7_EENS1_5par_tENS0_11use_defaultESA_EENS0_6detail16wrapped_functionINSC_23allocator_traits_detail24construct1_via_allocatorINSC_18no_throw_allocatorINSC_19temporary_allocatorIS8_S9_EEEEEEvEEEEmLj1EEEvT0_T1_SO_,"axG",@progbits,_ZN6thrust23THRUST_200600_302600_NS11hip_rocprim14__parallel_for6kernelILj256ENS1_10for_each_fINS0_7pointerINS0_5tupleIilNS0_9null_typeES7_S7_S7_S7_S7_S7_S7_EENS1_5par_tENS0_11use_defaultESA_EENS0_6detail16wrapped_functionINSC_23allocator_traits_detail24construct1_via_allocatorINSC_18no_throw_allocatorINSC_19temporary_allocatorIS8_S9_EEEEEEvEEEEmLj1EEEvT0_T1_SO_,comdat
.Lfunc_end216:
	.size	_ZN6thrust23THRUST_200600_302600_NS11hip_rocprim14__parallel_for6kernelILj256ENS1_10for_each_fINS0_7pointerINS0_5tupleIilNS0_9null_typeES7_S7_S7_S7_S7_S7_S7_EENS1_5par_tENS0_11use_defaultESA_EENS0_6detail16wrapped_functionINSC_23allocator_traits_detail24construct1_via_allocatorINSC_18no_throw_allocatorINSC_19temporary_allocatorIS8_S9_EEEEEEvEEEEmLj1EEEvT0_T1_SO_, .Lfunc_end216-_ZN6thrust23THRUST_200600_302600_NS11hip_rocprim14__parallel_for6kernelILj256ENS1_10for_each_fINS0_7pointerINS0_5tupleIilNS0_9null_typeES7_S7_S7_S7_S7_S7_S7_EENS1_5par_tENS0_11use_defaultESA_EENS0_6detail16wrapped_functionINSC_23allocator_traits_detail24construct1_via_allocatorINSC_18no_throw_allocatorINSC_19temporary_allocatorIS8_S9_EEEEEEvEEEEmLj1EEEvT0_T1_SO_
                                        ; -- End function
	.section	.AMDGPU.csdata,"",@progbits
; Kernel info:
; codeLenInByte = 208
; NumSgprs: 16
; NumVgprs: 4
; NumAgprs: 0
; TotalNumVgprs: 4
; ScratchSize: 0
; MemoryBound: 0
; FloatMode: 240
; IeeeMode: 1
; LDSByteSize: 0 bytes/workgroup (compile time only)
; SGPRBlocks: 1
; VGPRBlocks: 0
; NumSGPRsForWavesPerEU: 16
; NumVGPRsForWavesPerEU: 4
; AccumOffset: 4
; Occupancy: 8
; WaveLimiterHint : 0
; COMPUTE_PGM_RSRC2:SCRATCH_EN: 0
; COMPUTE_PGM_RSRC2:USER_SGPR: 6
; COMPUTE_PGM_RSRC2:TRAP_HANDLER: 0
; COMPUTE_PGM_RSRC2:TGID_X_EN: 1
; COMPUTE_PGM_RSRC2:TGID_Y_EN: 0
; COMPUTE_PGM_RSRC2:TGID_Z_EN: 0
; COMPUTE_PGM_RSRC2:TIDIG_COMP_CNT: 0
; COMPUTE_PGM_RSRC3_GFX90A:ACCUM_OFFSET: 0
; COMPUTE_PGM_RSRC3_GFX90A:TG_SPLIT: 0
	.section	.text._ZN6thrust23THRUST_200600_302600_NS11hip_rocprim14__parallel_for6kernelILj256ENS1_10for_each_fINS0_7pointerINS0_5tupleIilNS0_9null_typeES7_S7_S7_S7_S7_S7_S7_EENS1_5par_tENS0_11use_defaultESA_EENS0_6detail16wrapped_functionINSC_23allocator_traits_detail5gozerEvEEEElLj1EEEvT0_T1_SJ_,"axG",@progbits,_ZN6thrust23THRUST_200600_302600_NS11hip_rocprim14__parallel_for6kernelILj256ENS1_10for_each_fINS0_7pointerINS0_5tupleIilNS0_9null_typeES7_S7_S7_S7_S7_S7_S7_EENS1_5par_tENS0_11use_defaultESA_EENS0_6detail16wrapped_functionINSC_23allocator_traits_detail5gozerEvEEEElLj1EEEvT0_T1_SJ_,comdat
	.protected	_ZN6thrust23THRUST_200600_302600_NS11hip_rocprim14__parallel_for6kernelILj256ENS1_10for_each_fINS0_7pointerINS0_5tupleIilNS0_9null_typeES7_S7_S7_S7_S7_S7_S7_EENS1_5par_tENS0_11use_defaultESA_EENS0_6detail16wrapped_functionINSC_23allocator_traits_detail5gozerEvEEEElLj1EEEvT0_T1_SJ_ ; -- Begin function _ZN6thrust23THRUST_200600_302600_NS11hip_rocprim14__parallel_for6kernelILj256ENS1_10for_each_fINS0_7pointerINS0_5tupleIilNS0_9null_typeES7_S7_S7_S7_S7_S7_S7_EENS1_5par_tENS0_11use_defaultESA_EENS0_6detail16wrapped_functionINSC_23allocator_traits_detail5gozerEvEEEElLj1EEEvT0_T1_SJ_
	.globl	_ZN6thrust23THRUST_200600_302600_NS11hip_rocprim14__parallel_for6kernelILj256ENS1_10for_each_fINS0_7pointerINS0_5tupleIilNS0_9null_typeES7_S7_S7_S7_S7_S7_S7_EENS1_5par_tENS0_11use_defaultESA_EENS0_6detail16wrapped_functionINSC_23allocator_traits_detail5gozerEvEEEElLj1EEEvT0_T1_SJ_
	.p2align	8
	.type	_ZN6thrust23THRUST_200600_302600_NS11hip_rocprim14__parallel_for6kernelILj256ENS1_10for_each_fINS0_7pointerINS0_5tupleIilNS0_9null_typeES7_S7_S7_S7_S7_S7_S7_EENS1_5par_tENS0_11use_defaultESA_EENS0_6detail16wrapped_functionINSC_23allocator_traits_detail5gozerEvEEEElLj1EEEvT0_T1_SJ_,@function
_ZN6thrust23THRUST_200600_302600_NS11hip_rocprim14__parallel_for6kernelILj256ENS1_10for_each_fINS0_7pointerINS0_5tupleIilNS0_9null_typeES7_S7_S7_S7_S7_S7_S7_EENS1_5par_tENS0_11use_defaultESA_EENS0_6detail16wrapped_functionINSC_23allocator_traits_detail5gozerEvEEEElLj1EEEvT0_T1_SJ_: ; @_ZN6thrust23THRUST_200600_302600_NS11hip_rocprim14__parallel_for6kernelILj256ENS1_10for_each_fINS0_7pointerINS0_5tupleIilNS0_9null_typeES7_S7_S7_S7_S7_S7_S7_EENS1_5par_tENS0_11use_defaultESA_EENS0_6detail16wrapped_functionINSC_23allocator_traits_detail5gozerEvEEEElLj1EEEvT0_T1_SJ_
; %bb.0:
	s_endpgm
	.section	.rodata,"a",@progbits
	.p2align	6, 0x0
	.amdhsa_kernel _ZN6thrust23THRUST_200600_302600_NS11hip_rocprim14__parallel_for6kernelILj256ENS1_10for_each_fINS0_7pointerINS0_5tupleIilNS0_9null_typeES7_S7_S7_S7_S7_S7_S7_EENS1_5par_tENS0_11use_defaultESA_EENS0_6detail16wrapped_functionINSC_23allocator_traits_detail5gozerEvEEEElLj1EEEvT0_T1_SJ_
		.amdhsa_group_segment_fixed_size 0
		.amdhsa_private_segment_fixed_size 0
		.amdhsa_kernarg_size 32
		.amdhsa_user_sgpr_count 6
		.amdhsa_user_sgpr_private_segment_buffer 1
		.amdhsa_user_sgpr_dispatch_ptr 0
		.amdhsa_user_sgpr_queue_ptr 0
		.amdhsa_user_sgpr_kernarg_segment_ptr 1
		.amdhsa_user_sgpr_dispatch_id 0
		.amdhsa_user_sgpr_flat_scratch_init 0
		.amdhsa_user_sgpr_kernarg_preload_length 0
		.amdhsa_user_sgpr_kernarg_preload_offset 0
		.amdhsa_user_sgpr_private_segment_size 0
		.amdhsa_uses_dynamic_stack 0
		.amdhsa_system_sgpr_private_segment_wavefront_offset 0
		.amdhsa_system_sgpr_workgroup_id_x 1
		.amdhsa_system_sgpr_workgroup_id_y 0
		.amdhsa_system_sgpr_workgroup_id_z 0
		.amdhsa_system_sgpr_workgroup_info 0
		.amdhsa_system_vgpr_workitem_id 0
		.amdhsa_next_free_vgpr 1
		.amdhsa_next_free_sgpr 0
		.amdhsa_accum_offset 4
		.amdhsa_reserve_vcc 0
		.amdhsa_reserve_flat_scratch 0
		.amdhsa_float_round_mode_32 0
		.amdhsa_float_round_mode_16_64 0
		.amdhsa_float_denorm_mode_32 3
		.amdhsa_float_denorm_mode_16_64 3
		.amdhsa_dx10_clamp 1
		.amdhsa_ieee_mode 1
		.amdhsa_fp16_overflow 0
		.amdhsa_tg_split 0
		.amdhsa_exception_fp_ieee_invalid_op 0
		.amdhsa_exception_fp_denorm_src 0
		.amdhsa_exception_fp_ieee_div_zero 0
		.amdhsa_exception_fp_ieee_overflow 0
		.amdhsa_exception_fp_ieee_underflow 0
		.amdhsa_exception_fp_ieee_inexact 0
		.amdhsa_exception_int_div_zero 0
	.end_amdhsa_kernel
	.section	.text._ZN6thrust23THRUST_200600_302600_NS11hip_rocprim14__parallel_for6kernelILj256ENS1_10for_each_fINS0_7pointerINS0_5tupleIilNS0_9null_typeES7_S7_S7_S7_S7_S7_S7_EENS1_5par_tENS0_11use_defaultESA_EENS0_6detail16wrapped_functionINSC_23allocator_traits_detail5gozerEvEEEElLj1EEEvT0_T1_SJ_,"axG",@progbits,_ZN6thrust23THRUST_200600_302600_NS11hip_rocprim14__parallel_for6kernelILj256ENS1_10for_each_fINS0_7pointerINS0_5tupleIilNS0_9null_typeES7_S7_S7_S7_S7_S7_S7_EENS1_5par_tENS0_11use_defaultESA_EENS0_6detail16wrapped_functionINSC_23allocator_traits_detail5gozerEvEEEElLj1EEEvT0_T1_SJ_,comdat
.Lfunc_end217:
	.size	_ZN6thrust23THRUST_200600_302600_NS11hip_rocprim14__parallel_for6kernelILj256ENS1_10for_each_fINS0_7pointerINS0_5tupleIilNS0_9null_typeES7_S7_S7_S7_S7_S7_S7_EENS1_5par_tENS0_11use_defaultESA_EENS0_6detail16wrapped_functionINSC_23allocator_traits_detail5gozerEvEEEElLj1EEEvT0_T1_SJ_, .Lfunc_end217-_ZN6thrust23THRUST_200600_302600_NS11hip_rocprim14__parallel_for6kernelILj256ENS1_10for_each_fINS0_7pointerINS0_5tupleIilNS0_9null_typeES7_S7_S7_S7_S7_S7_S7_EENS1_5par_tENS0_11use_defaultESA_EENS0_6detail16wrapped_functionINSC_23allocator_traits_detail5gozerEvEEEElLj1EEEvT0_T1_SJ_
                                        ; -- End function
	.section	.AMDGPU.csdata,"",@progbits
; Kernel info:
; codeLenInByte = 4
; NumSgprs: 4
; NumVgprs: 0
; NumAgprs: 0
; TotalNumVgprs: 0
; ScratchSize: 0
; MemoryBound: 0
; FloatMode: 240
; IeeeMode: 1
; LDSByteSize: 0 bytes/workgroup (compile time only)
; SGPRBlocks: 0
; VGPRBlocks: 0
; NumSGPRsForWavesPerEU: 4
; NumVGPRsForWavesPerEU: 1
; AccumOffset: 4
; Occupancy: 8
; WaveLimiterHint : 0
; COMPUTE_PGM_RSRC2:SCRATCH_EN: 0
; COMPUTE_PGM_RSRC2:USER_SGPR: 6
; COMPUTE_PGM_RSRC2:TRAP_HANDLER: 0
; COMPUTE_PGM_RSRC2:TGID_X_EN: 1
; COMPUTE_PGM_RSRC2:TGID_Y_EN: 0
; COMPUTE_PGM_RSRC2:TGID_Z_EN: 0
; COMPUTE_PGM_RSRC2:TIDIG_COMP_CNT: 0
; COMPUTE_PGM_RSRC3_GFX90A:ACCUM_OFFSET: 0
; COMPUTE_PGM_RSRC3_GFX90A:TG_SPLIT: 0
	.section	.text._ZN6thrust23THRUST_200600_302600_NS11hip_rocprim14__parallel_for6kernelILj256ENS1_20__uninitialized_copy7functorIPNS0_5tupleIilNS0_9null_typeES7_S7_S7_S7_S7_S7_S7_EENS0_7pointerIS8_NS1_5par_tENS0_11use_defaultESC_EEEEmLj1EEEvT0_T1_SG_,"axG",@progbits,_ZN6thrust23THRUST_200600_302600_NS11hip_rocprim14__parallel_for6kernelILj256ENS1_20__uninitialized_copy7functorIPNS0_5tupleIilNS0_9null_typeES7_S7_S7_S7_S7_S7_S7_EENS0_7pointerIS8_NS1_5par_tENS0_11use_defaultESC_EEEEmLj1EEEvT0_T1_SG_,comdat
	.protected	_ZN6thrust23THRUST_200600_302600_NS11hip_rocprim14__parallel_for6kernelILj256ENS1_20__uninitialized_copy7functorIPNS0_5tupleIilNS0_9null_typeES7_S7_S7_S7_S7_S7_S7_EENS0_7pointerIS8_NS1_5par_tENS0_11use_defaultESC_EEEEmLj1EEEvT0_T1_SG_ ; -- Begin function _ZN6thrust23THRUST_200600_302600_NS11hip_rocprim14__parallel_for6kernelILj256ENS1_20__uninitialized_copy7functorIPNS0_5tupleIilNS0_9null_typeES7_S7_S7_S7_S7_S7_S7_EENS0_7pointerIS8_NS1_5par_tENS0_11use_defaultESC_EEEEmLj1EEEvT0_T1_SG_
	.globl	_ZN6thrust23THRUST_200600_302600_NS11hip_rocprim14__parallel_for6kernelILj256ENS1_20__uninitialized_copy7functorIPNS0_5tupleIilNS0_9null_typeES7_S7_S7_S7_S7_S7_S7_EENS0_7pointerIS8_NS1_5par_tENS0_11use_defaultESC_EEEEmLj1EEEvT0_T1_SG_
	.p2align	8
	.type	_ZN6thrust23THRUST_200600_302600_NS11hip_rocprim14__parallel_for6kernelILj256ENS1_20__uninitialized_copy7functorIPNS0_5tupleIilNS0_9null_typeES7_S7_S7_S7_S7_S7_S7_EENS0_7pointerIS8_NS1_5par_tENS0_11use_defaultESC_EEEEmLj1EEEvT0_T1_SG_,@function
_ZN6thrust23THRUST_200600_302600_NS11hip_rocprim14__parallel_for6kernelILj256ENS1_20__uninitialized_copy7functorIPNS0_5tupleIilNS0_9null_typeES7_S7_S7_S7_S7_S7_S7_EENS0_7pointerIS8_NS1_5par_tENS0_11use_defaultESC_EEEEmLj1EEEvT0_T1_SG_: ; @_ZN6thrust23THRUST_200600_302600_NS11hip_rocprim14__parallel_for6kernelILj256ENS1_20__uninitialized_copy7functorIPNS0_5tupleIilNS0_9null_typeES7_S7_S7_S7_S7_S7_S7_EENS0_7pointerIS8_NS1_5par_tENS0_11use_defaultESC_EEEEmLj1EEEvT0_T1_SG_
; %bb.0:
	s_load_dwordx8 s[8:15], s[4:5], 0x0
	s_lshl_b32 s0, s6, 8
	v_mov_b32_e32 v2, 0x100
	v_mov_b32_e32 v3, 0
	s_waitcnt lgkmcnt(0)
	s_add_u32 s4, s0, s14
	s_addc_u32 s5, 0, s15
	s_sub_u32 s2, s12, s4
	s_subb_u32 s3, s13, s5
	v_cmp_lt_u64_e32 vcc, s[2:3], v[2:3]
	s_mov_b64 s[0:1], -1
	s_cbranch_vccnz .LBB218_3
; %bb.1:
	s_andn2_b64 vcc, exec, s[0:1]
	s_cbranch_vccz .LBB218_6
.LBB218_2:
	s_endpgm
.LBB218_3:
	v_cmp_gt_u32_e32 vcc, s2, v0
	s_and_saveexec_b64 s[0:1], vcc
	s_cbranch_execz .LBB218_5
; %bb.4:
	v_mov_b32_e32 v1, s5
	v_add_co_u32_e32 v2, vcc, s4, v0
	v_addc_co_u32_e32 v3, vcc, 0, v1, vcc
	v_lshlrev_b64 v[6:7], 4, v[2:3]
	v_mov_b32_e32 v1, s9
	v_add_co_u32_e32 v2, vcc, s8, v6
	v_addc_co_u32_e32 v3, vcc, v1, v7, vcc
	global_load_dwordx4 v[2:5], v[2:3], off
	v_mov_b32_e32 v1, s11
	v_add_co_u32_e32 v6, vcc, s10, v6
	v_addc_co_u32_e32 v7, vcc, v1, v7, vcc
	s_waitcnt vmcnt(0)
	flat_store_dwordx4 v[6:7], v[2:5]
.LBB218_5:
	s_or_b64 exec, exec, s[0:1]
	s_cbranch_execnz .LBB218_2
.LBB218_6:
	v_mov_b32_e32 v1, s5
	v_add_co_u32_e32 v0, vcc, s4, v0
	v_addc_co_u32_e32 v1, vcc, 0, v1, vcc
	v_lshlrev_b64 v[4:5], 4, v[0:1]
	v_mov_b32_e32 v1, s9
	v_add_co_u32_e32 v0, vcc, s8, v4
	v_addc_co_u32_e32 v1, vcc, v1, v5, vcc
	global_load_dwordx4 v[0:3], v[0:1], off
	v_mov_b32_e32 v6, s11
	v_add_co_u32_e32 v4, vcc, s10, v4
	v_addc_co_u32_e32 v5, vcc, v6, v5, vcc
	s_waitcnt vmcnt(0)
	flat_store_dwordx4 v[4:5], v[0:3]
	s_endpgm
	.section	.rodata,"a",@progbits
	.p2align	6, 0x0
	.amdhsa_kernel _ZN6thrust23THRUST_200600_302600_NS11hip_rocprim14__parallel_for6kernelILj256ENS1_20__uninitialized_copy7functorIPNS0_5tupleIilNS0_9null_typeES7_S7_S7_S7_S7_S7_S7_EENS0_7pointerIS8_NS1_5par_tENS0_11use_defaultESC_EEEEmLj1EEEvT0_T1_SG_
		.amdhsa_group_segment_fixed_size 0
		.amdhsa_private_segment_fixed_size 0
		.amdhsa_kernarg_size 32
		.amdhsa_user_sgpr_count 6
		.amdhsa_user_sgpr_private_segment_buffer 1
		.amdhsa_user_sgpr_dispatch_ptr 0
		.amdhsa_user_sgpr_queue_ptr 0
		.amdhsa_user_sgpr_kernarg_segment_ptr 1
		.amdhsa_user_sgpr_dispatch_id 0
		.amdhsa_user_sgpr_flat_scratch_init 0
		.amdhsa_user_sgpr_kernarg_preload_length 0
		.amdhsa_user_sgpr_kernarg_preload_offset 0
		.amdhsa_user_sgpr_private_segment_size 0
		.amdhsa_uses_dynamic_stack 0
		.amdhsa_system_sgpr_private_segment_wavefront_offset 0
		.amdhsa_system_sgpr_workgroup_id_x 1
		.amdhsa_system_sgpr_workgroup_id_y 0
		.amdhsa_system_sgpr_workgroup_id_z 0
		.amdhsa_system_sgpr_workgroup_info 0
		.amdhsa_system_vgpr_workitem_id 0
		.amdhsa_next_free_vgpr 8
		.amdhsa_next_free_sgpr 16
		.amdhsa_accum_offset 8
		.amdhsa_reserve_vcc 1
		.amdhsa_reserve_flat_scratch 0
		.amdhsa_float_round_mode_32 0
		.amdhsa_float_round_mode_16_64 0
		.amdhsa_float_denorm_mode_32 3
		.amdhsa_float_denorm_mode_16_64 3
		.amdhsa_dx10_clamp 1
		.amdhsa_ieee_mode 1
		.amdhsa_fp16_overflow 0
		.amdhsa_tg_split 0
		.amdhsa_exception_fp_ieee_invalid_op 0
		.amdhsa_exception_fp_denorm_src 0
		.amdhsa_exception_fp_ieee_div_zero 0
		.amdhsa_exception_fp_ieee_overflow 0
		.amdhsa_exception_fp_ieee_underflow 0
		.amdhsa_exception_fp_ieee_inexact 0
		.amdhsa_exception_int_div_zero 0
	.end_amdhsa_kernel
	.section	.text._ZN6thrust23THRUST_200600_302600_NS11hip_rocprim14__parallel_for6kernelILj256ENS1_20__uninitialized_copy7functorIPNS0_5tupleIilNS0_9null_typeES7_S7_S7_S7_S7_S7_S7_EENS0_7pointerIS8_NS1_5par_tENS0_11use_defaultESC_EEEEmLj1EEEvT0_T1_SG_,"axG",@progbits,_ZN6thrust23THRUST_200600_302600_NS11hip_rocprim14__parallel_for6kernelILj256ENS1_20__uninitialized_copy7functorIPNS0_5tupleIilNS0_9null_typeES7_S7_S7_S7_S7_S7_S7_EENS0_7pointerIS8_NS1_5par_tENS0_11use_defaultESC_EEEEmLj1EEEvT0_T1_SG_,comdat
.Lfunc_end218:
	.size	_ZN6thrust23THRUST_200600_302600_NS11hip_rocprim14__parallel_for6kernelILj256ENS1_20__uninitialized_copy7functorIPNS0_5tupleIilNS0_9null_typeES7_S7_S7_S7_S7_S7_S7_EENS0_7pointerIS8_NS1_5par_tENS0_11use_defaultESC_EEEEmLj1EEEvT0_T1_SG_, .Lfunc_end218-_ZN6thrust23THRUST_200600_302600_NS11hip_rocprim14__parallel_for6kernelILj256ENS1_20__uninitialized_copy7functorIPNS0_5tupleIilNS0_9null_typeES7_S7_S7_S7_S7_S7_S7_EENS0_7pointerIS8_NS1_5par_tENS0_11use_defaultESC_EEEEmLj1EEEvT0_T1_SG_
                                        ; -- End function
	.section	.AMDGPU.csdata,"",@progbits
; Kernel info:
; codeLenInByte = 220
; NumSgprs: 20
; NumVgprs: 8
; NumAgprs: 0
; TotalNumVgprs: 8
; ScratchSize: 0
; MemoryBound: 0
; FloatMode: 240
; IeeeMode: 1
; LDSByteSize: 0 bytes/workgroup (compile time only)
; SGPRBlocks: 2
; VGPRBlocks: 0
; NumSGPRsForWavesPerEU: 20
; NumVGPRsForWavesPerEU: 8
; AccumOffset: 8
; Occupancy: 8
; WaveLimiterHint : 0
; COMPUTE_PGM_RSRC2:SCRATCH_EN: 0
; COMPUTE_PGM_RSRC2:USER_SGPR: 6
; COMPUTE_PGM_RSRC2:TRAP_HANDLER: 0
; COMPUTE_PGM_RSRC2:TGID_X_EN: 1
; COMPUTE_PGM_RSRC2:TGID_Y_EN: 0
; COMPUTE_PGM_RSRC2:TGID_Z_EN: 0
; COMPUTE_PGM_RSRC2:TIDIG_COMP_CNT: 0
; COMPUTE_PGM_RSRC3_GFX90A:ACCUM_OFFSET: 1
; COMPUTE_PGM_RSRC3_GFX90A:TG_SPLIT: 0
	.section	.text._ZN7rocprim17ROCPRIM_400000_NS6detail17trampoline_kernelINS0_14default_configENS1_25partition_config_selectorILNS1_17partition_subalgoE5EiNS0_10empty_typeEbEEZZNS1_14partition_implILS5_5ELb0ES3_mPiPS6_N6thrust23THRUST_200600_302600_NS18transform_iteratorINSC_6detail9not_fun_tIN6dUtils10isMinusOneIiEEEES9_NSC_11use_defaultESK_EENS0_5tupleIJS9_S6_EEENSM_IJSA_SA_EEES6_PlJS6_EEE10hipError_tPvRmT3_T4_T5_T6_T7_T9_mT8_P12ihipStream_tbDpT10_ENKUlT_T0_E_clISt17integral_constantIbLb0EES19_EEDaS14_S15_EUlS14_E_NS1_11comp_targetILNS1_3genE0ELNS1_11target_archE4294967295ELNS1_3gpuE0ELNS1_3repE0EEENS1_30default_config_static_selectorELNS0_4arch9wavefront6targetE1EEEvT1_,"axG",@progbits,_ZN7rocprim17ROCPRIM_400000_NS6detail17trampoline_kernelINS0_14default_configENS1_25partition_config_selectorILNS1_17partition_subalgoE5EiNS0_10empty_typeEbEEZZNS1_14partition_implILS5_5ELb0ES3_mPiPS6_N6thrust23THRUST_200600_302600_NS18transform_iteratorINSC_6detail9not_fun_tIN6dUtils10isMinusOneIiEEEES9_NSC_11use_defaultESK_EENS0_5tupleIJS9_S6_EEENSM_IJSA_SA_EEES6_PlJS6_EEE10hipError_tPvRmT3_T4_T5_T6_T7_T9_mT8_P12ihipStream_tbDpT10_ENKUlT_T0_E_clISt17integral_constantIbLb0EES19_EEDaS14_S15_EUlS14_E_NS1_11comp_targetILNS1_3genE0ELNS1_11target_archE4294967295ELNS1_3gpuE0ELNS1_3repE0EEENS1_30default_config_static_selectorELNS0_4arch9wavefront6targetE1EEEvT1_,comdat
	.protected	_ZN7rocprim17ROCPRIM_400000_NS6detail17trampoline_kernelINS0_14default_configENS1_25partition_config_selectorILNS1_17partition_subalgoE5EiNS0_10empty_typeEbEEZZNS1_14partition_implILS5_5ELb0ES3_mPiPS6_N6thrust23THRUST_200600_302600_NS18transform_iteratorINSC_6detail9not_fun_tIN6dUtils10isMinusOneIiEEEES9_NSC_11use_defaultESK_EENS0_5tupleIJS9_S6_EEENSM_IJSA_SA_EEES6_PlJS6_EEE10hipError_tPvRmT3_T4_T5_T6_T7_T9_mT8_P12ihipStream_tbDpT10_ENKUlT_T0_E_clISt17integral_constantIbLb0EES19_EEDaS14_S15_EUlS14_E_NS1_11comp_targetILNS1_3genE0ELNS1_11target_archE4294967295ELNS1_3gpuE0ELNS1_3repE0EEENS1_30default_config_static_selectorELNS0_4arch9wavefront6targetE1EEEvT1_ ; -- Begin function _ZN7rocprim17ROCPRIM_400000_NS6detail17trampoline_kernelINS0_14default_configENS1_25partition_config_selectorILNS1_17partition_subalgoE5EiNS0_10empty_typeEbEEZZNS1_14partition_implILS5_5ELb0ES3_mPiPS6_N6thrust23THRUST_200600_302600_NS18transform_iteratorINSC_6detail9not_fun_tIN6dUtils10isMinusOneIiEEEES9_NSC_11use_defaultESK_EENS0_5tupleIJS9_S6_EEENSM_IJSA_SA_EEES6_PlJS6_EEE10hipError_tPvRmT3_T4_T5_T6_T7_T9_mT8_P12ihipStream_tbDpT10_ENKUlT_T0_E_clISt17integral_constantIbLb0EES19_EEDaS14_S15_EUlS14_E_NS1_11comp_targetILNS1_3genE0ELNS1_11target_archE4294967295ELNS1_3gpuE0ELNS1_3repE0EEENS1_30default_config_static_selectorELNS0_4arch9wavefront6targetE1EEEvT1_
	.globl	_ZN7rocprim17ROCPRIM_400000_NS6detail17trampoline_kernelINS0_14default_configENS1_25partition_config_selectorILNS1_17partition_subalgoE5EiNS0_10empty_typeEbEEZZNS1_14partition_implILS5_5ELb0ES3_mPiPS6_N6thrust23THRUST_200600_302600_NS18transform_iteratorINSC_6detail9not_fun_tIN6dUtils10isMinusOneIiEEEES9_NSC_11use_defaultESK_EENS0_5tupleIJS9_S6_EEENSM_IJSA_SA_EEES6_PlJS6_EEE10hipError_tPvRmT3_T4_T5_T6_T7_T9_mT8_P12ihipStream_tbDpT10_ENKUlT_T0_E_clISt17integral_constantIbLb0EES19_EEDaS14_S15_EUlS14_E_NS1_11comp_targetILNS1_3genE0ELNS1_11target_archE4294967295ELNS1_3gpuE0ELNS1_3repE0EEENS1_30default_config_static_selectorELNS0_4arch9wavefront6targetE1EEEvT1_
	.p2align	8
	.type	_ZN7rocprim17ROCPRIM_400000_NS6detail17trampoline_kernelINS0_14default_configENS1_25partition_config_selectorILNS1_17partition_subalgoE5EiNS0_10empty_typeEbEEZZNS1_14partition_implILS5_5ELb0ES3_mPiPS6_N6thrust23THRUST_200600_302600_NS18transform_iteratorINSC_6detail9not_fun_tIN6dUtils10isMinusOneIiEEEES9_NSC_11use_defaultESK_EENS0_5tupleIJS9_S6_EEENSM_IJSA_SA_EEES6_PlJS6_EEE10hipError_tPvRmT3_T4_T5_T6_T7_T9_mT8_P12ihipStream_tbDpT10_ENKUlT_T0_E_clISt17integral_constantIbLb0EES19_EEDaS14_S15_EUlS14_E_NS1_11comp_targetILNS1_3genE0ELNS1_11target_archE4294967295ELNS1_3gpuE0ELNS1_3repE0EEENS1_30default_config_static_selectorELNS0_4arch9wavefront6targetE1EEEvT1_,@function
_ZN7rocprim17ROCPRIM_400000_NS6detail17trampoline_kernelINS0_14default_configENS1_25partition_config_selectorILNS1_17partition_subalgoE5EiNS0_10empty_typeEbEEZZNS1_14partition_implILS5_5ELb0ES3_mPiPS6_N6thrust23THRUST_200600_302600_NS18transform_iteratorINSC_6detail9not_fun_tIN6dUtils10isMinusOneIiEEEES9_NSC_11use_defaultESK_EENS0_5tupleIJS9_S6_EEENSM_IJSA_SA_EEES6_PlJS6_EEE10hipError_tPvRmT3_T4_T5_T6_T7_T9_mT8_P12ihipStream_tbDpT10_ENKUlT_T0_E_clISt17integral_constantIbLb0EES19_EEDaS14_S15_EUlS14_E_NS1_11comp_targetILNS1_3genE0ELNS1_11target_archE4294967295ELNS1_3gpuE0ELNS1_3repE0EEENS1_30default_config_static_selectorELNS0_4arch9wavefront6targetE1EEEvT1_: ; @_ZN7rocprim17ROCPRIM_400000_NS6detail17trampoline_kernelINS0_14default_configENS1_25partition_config_selectorILNS1_17partition_subalgoE5EiNS0_10empty_typeEbEEZZNS1_14partition_implILS5_5ELb0ES3_mPiPS6_N6thrust23THRUST_200600_302600_NS18transform_iteratorINSC_6detail9not_fun_tIN6dUtils10isMinusOneIiEEEES9_NSC_11use_defaultESK_EENS0_5tupleIJS9_S6_EEENSM_IJSA_SA_EEES6_PlJS6_EEE10hipError_tPvRmT3_T4_T5_T6_T7_T9_mT8_P12ihipStream_tbDpT10_ENKUlT_T0_E_clISt17integral_constantIbLb0EES19_EEDaS14_S15_EUlS14_E_NS1_11comp_targetILNS1_3genE0ELNS1_11target_archE4294967295ELNS1_3gpuE0ELNS1_3repE0EEENS1_30default_config_static_selectorELNS0_4arch9wavefront6targetE1EEEvT1_
; %bb.0:
	.section	.rodata,"a",@progbits
	.p2align	6, 0x0
	.amdhsa_kernel _ZN7rocprim17ROCPRIM_400000_NS6detail17trampoline_kernelINS0_14default_configENS1_25partition_config_selectorILNS1_17partition_subalgoE5EiNS0_10empty_typeEbEEZZNS1_14partition_implILS5_5ELb0ES3_mPiPS6_N6thrust23THRUST_200600_302600_NS18transform_iteratorINSC_6detail9not_fun_tIN6dUtils10isMinusOneIiEEEES9_NSC_11use_defaultESK_EENS0_5tupleIJS9_S6_EEENSM_IJSA_SA_EEES6_PlJS6_EEE10hipError_tPvRmT3_T4_T5_T6_T7_T9_mT8_P12ihipStream_tbDpT10_ENKUlT_T0_E_clISt17integral_constantIbLb0EES19_EEDaS14_S15_EUlS14_E_NS1_11comp_targetILNS1_3genE0ELNS1_11target_archE4294967295ELNS1_3gpuE0ELNS1_3repE0EEENS1_30default_config_static_selectorELNS0_4arch9wavefront6targetE1EEEvT1_
		.amdhsa_group_segment_fixed_size 0
		.amdhsa_private_segment_fixed_size 0
		.amdhsa_kernarg_size 120
		.amdhsa_user_sgpr_count 6
		.amdhsa_user_sgpr_private_segment_buffer 1
		.amdhsa_user_sgpr_dispatch_ptr 0
		.amdhsa_user_sgpr_queue_ptr 0
		.amdhsa_user_sgpr_kernarg_segment_ptr 1
		.amdhsa_user_sgpr_dispatch_id 0
		.amdhsa_user_sgpr_flat_scratch_init 0
		.amdhsa_user_sgpr_kernarg_preload_length 0
		.amdhsa_user_sgpr_kernarg_preload_offset 0
		.amdhsa_user_sgpr_private_segment_size 0
		.amdhsa_uses_dynamic_stack 0
		.amdhsa_system_sgpr_private_segment_wavefront_offset 0
		.amdhsa_system_sgpr_workgroup_id_x 1
		.amdhsa_system_sgpr_workgroup_id_y 0
		.amdhsa_system_sgpr_workgroup_id_z 0
		.amdhsa_system_sgpr_workgroup_info 0
		.amdhsa_system_vgpr_workitem_id 0
		.amdhsa_next_free_vgpr 1
		.amdhsa_next_free_sgpr 0
		.amdhsa_accum_offset 4
		.amdhsa_reserve_vcc 0
		.amdhsa_reserve_flat_scratch 0
		.amdhsa_float_round_mode_32 0
		.amdhsa_float_round_mode_16_64 0
		.amdhsa_float_denorm_mode_32 3
		.amdhsa_float_denorm_mode_16_64 3
		.amdhsa_dx10_clamp 1
		.amdhsa_ieee_mode 1
		.amdhsa_fp16_overflow 0
		.amdhsa_tg_split 0
		.amdhsa_exception_fp_ieee_invalid_op 0
		.amdhsa_exception_fp_denorm_src 0
		.amdhsa_exception_fp_ieee_div_zero 0
		.amdhsa_exception_fp_ieee_overflow 0
		.amdhsa_exception_fp_ieee_underflow 0
		.amdhsa_exception_fp_ieee_inexact 0
		.amdhsa_exception_int_div_zero 0
	.end_amdhsa_kernel
	.section	.text._ZN7rocprim17ROCPRIM_400000_NS6detail17trampoline_kernelINS0_14default_configENS1_25partition_config_selectorILNS1_17partition_subalgoE5EiNS0_10empty_typeEbEEZZNS1_14partition_implILS5_5ELb0ES3_mPiPS6_N6thrust23THRUST_200600_302600_NS18transform_iteratorINSC_6detail9not_fun_tIN6dUtils10isMinusOneIiEEEES9_NSC_11use_defaultESK_EENS0_5tupleIJS9_S6_EEENSM_IJSA_SA_EEES6_PlJS6_EEE10hipError_tPvRmT3_T4_T5_T6_T7_T9_mT8_P12ihipStream_tbDpT10_ENKUlT_T0_E_clISt17integral_constantIbLb0EES19_EEDaS14_S15_EUlS14_E_NS1_11comp_targetILNS1_3genE0ELNS1_11target_archE4294967295ELNS1_3gpuE0ELNS1_3repE0EEENS1_30default_config_static_selectorELNS0_4arch9wavefront6targetE1EEEvT1_,"axG",@progbits,_ZN7rocprim17ROCPRIM_400000_NS6detail17trampoline_kernelINS0_14default_configENS1_25partition_config_selectorILNS1_17partition_subalgoE5EiNS0_10empty_typeEbEEZZNS1_14partition_implILS5_5ELb0ES3_mPiPS6_N6thrust23THRUST_200600_302600_NS18transform_iteratorINSC_6detail9not_fun_tIN6dUtils10isMinusOneIiEEEES9_NSC_11use_defaultESK_EENS0_5tupleIJS9_S6_EEENSM_IJSA_SA_EEES6_PlJS6_EEE10hipError_tPvRmT3_T4_T5_T6_T7_T9_mT8_P12ihipStream_tbDpT10_ENKUlT_T0_E_clISt17integral_constantIbLb0EES19_EEDaS14_S15_EUlS14_E_NS1_11comp_targetILNS1_3genE0ELNS1_11target_archE4294967295ELNS1_3gpuE0ELNS1_3repE0EEENS1_30default_config_static_selectorELNS0_4arch9wavefront6targetE1EEEvT1_,comdat
.Lfunc_end219:
	.size	_ZN7rocprim17ROCPRIM_400000_NS6detail17trampoline_kernelINS0_14default_configENS1_25partition_config_selectorILNS1_17partition_subalgoE5EiNS0_10empty_typeEbEEZZNS1_14partition_implILS5_5ELb0ES3_mPiPS6_N6thrust23THRUST_200600_302600_NS18transform_iteratorINSC_6detail9not_fun_tIN6dUtils10isMinusOneIiEEEES9_NSC_11use_defaultESK_EENS0_5tupleIJS9_S6_EEENSM_IJSA_SA_EEES6_PlJS6_EEE10hipError_tPvRmT3_T4_T5_T6_T7_T9_mT8_P12ihipStream_tbDpT10_ENKUlT_T0_E_clISt17integral_constantIbLb0EES19_EEDaS14_S15_EUlS14_E_NS1_11comp_targetILNS1_3genE0ELNS1_11target_archE4294967295ELNS1_3gpuE0ELNS1_3repE0EEENS1_30default_config_static_selectorELNS0_4arch9wavefront6targetE1EEEvT1_, .Lfunc_end219-_ZN7rocprim17ROCPRIM_400000_NS6detail17trampoline_kernelINS0_14default_configENS1_25partition_config_selectorILNS1_17partition_subalgoE5EiNS0_10empty_typeEbEEZZNS1_14partition_implILS5_5ELb0ES3_mPiPS6_N6thrust23THRUST_200600_302600_NS18transform_iteratorINSC_6detail9not_fun_tIN6dUtils10isMinusOneIiEEEES9_NSC_11use_defaultESK_EENS0_5tupleIJS9_S6_EEENSM_IJSA_SA_EEES6_PlJS6_EEE10hipError_tPvRmT3_T4_T5_T6_T7_T9_mT8_P12ihipStream_tbDpT10_ENKUlT_T0_E_clISt17integral_constantIbLb0EES19_EEDaS14_S15_EUlS14_E_NS1_11comp_targetILNS1_3genE0ELNS1_11target_archE4294967295ELNS1_3gpuE0ELNS1_3repE0EEENS1_30default_config_static_selectorELNS0_4arch9wavefront6targetE1EEEvT1_
                                        ; -- End function
	.section	.AMDGPU.csdata,"",@progbits
; Kernel info:
; codeLenInByte = 0
; NumSgprs: 4
; NumVgprs: 0
; NumAgprs: 0
; TotalNumVgprs: 0
; ScratchSize: 0
; MemoryBound: 0
; FloatMode: 240
; IeeeMode: 1
; LDSByteSize: 0 bytes/workgroup (compile time only)
; SGPRBlocks: 0
; VGPRBlocks: 0
; NumSGPRsForWavesPerEU: 4
; NumVGPRsForWavesPerEU: 1
; AccumOffset: 4
; Occupancy: 8
; WaveLimiterHint : 0
; COMPUTE_PGM_RSRC2:SCRATCH_EN: 0
; COMPUTE_PGM_RSRC2:USER_SGPR: 6
; COMPUTE_PGM_RSRC2:TRAP_HANDLER: 0
; COMPUTE_PGM_RSRC2:TGID_X_EN: 1
; COMPUTE_PGM_RSRC2:TGID_Y_EN: 0
; COMPUTE_PGM_RSRC2:TGID_Z_EN: 0
; COMPUTE_PGM_RSRC2:TIDIG_COMP_CNT: 0
; COMPUTE_PGM_RSRC3_GFX90A:ACCUM_OFFSET: 0
; COMPUTE_PGM_RSRC3_GFX90A:TG_SPLIT: 0
	.section	.text._ZN7rocprim17ROCPRIM_400000_NS6detail17trampoline_kernelINS0_14default_configENS1_25partition_config_selectorILNS1_17partition_subalgoE5EiNS0_10empty_typeEbEEZZNS1_14partition_implILS5_5ELb0ES3_mPiPS6_N6thrust23THRUST_200600_302600_NS18transform_iteratorINSC_6detail9not_fun_tIN6dUtils10isMinusOneIiEEEES9_NSC_11use_defaultESK_EENS0_5tupleIJS9_S6_EEENSM_IJSA_SA_EEES6_PlJS6_EEE10hipError_tPvRmT3_T4_T5_T6_T7_T9_mT8_P12ihipStream_tbDpT10_ENKUlT_T0_E_clISt17integral_constantIbLb0EES19_EEDaS14_S15_EUlS14_E_NS1_11comp_targetILNS1_3genE5ELNS1_11target_archE942ELNS1_3gpuE9ELNS1_3repE0EEENS1_30default_config_static_selectorELNS0_4arch9wavefront6targetE1EEEvT1_,"axG",@progbits,_ZN7rocprim17ROCPRIM_400000_NS6detail17trampoline_kernelINS0_14default_configENS1_25partition_config_selectorILNS1_17partition_subalgoE5EiNS0_10empty_typeEbEEZZNS1_14partition_implILS5_5ELb0ES3_mPiPS6_N6thrust23THRUST_200600_302600_NS18transform_iteratorINSC_6detail9not_fun_tIN6dUtils10isMinusOneIiEEEES9_NSC_11use_defaultESK_EENS0_5tupleIJS9_S6_EEENSM_IJSA_SA_EEES6_PlJS6_EEE10hipError_tPvRmT3_T4_T5_T6_T7_T9_mT8_P12ihipStream_tbDpT10_ENKUlT_T0_E_clISt17integral_constantIbLb0EES19_EEDaS14_S15_EUlS14_E_NS1_11comp_targetILNS1_3genE5ELNS1_11target_archE942ELNS1_3gpuE9ELNS1_3repE0EEENS1_30default_config_static_selectorELNS0_4arch9wavefront6targetE1EEEvT1_,comdat
	.protected	_ZN7rocprim17ROCPRIM_400000_NS6detail17trampoline_kernelINS0_14default_configENS1_25partition_config_selectorILNS1_17partition_subalgoE5EiNS0_10empty_typeEbEEZZNS1_14partition_implILS5_5ELb0ES3_mPiPS6_N6thrust23THRUST_200600_302600_NS18transform_iteratorINSC_6detail9not_fun_tIN6dUtils10isMinusOneIiEEEES9_NSC_11use_defaultESK_EENS0_5tupleIJS9_S6_EEENSM_IJSA_SA_EEES6_PlJS6_EEE10hipError_tPvRmT3_T4_T5_T6_T7_T9_mT8_P12ihipStream_tbDpT10_ENKUlT_T0_E_clISt17integral_constantIbLb0EES19_EEDaS14_S15_EUlS14_E_NS1_11comp_targetILNS1_3genE5ELNS1_11target_archE942ELNS1_3gpuE9ELNS1_3repE0EEENS1_30default_config_static_selectorELNS0_4arch9wavefront6targetE1EEEvT1_ ; -- Begin function _ZN7rocprim17ROCPRIM_400000_NS6detail17trampoline_kernelINS0_14default_configENS1_25partition_config_selectorILNS1_17partition_subalgoE5EiNS0_10empty_typeEbEEZZNS1_14partition_implILS5_5ELb0ES3_mPiPS6_N6thrust23THRUST_200600_302600_NS18transform_iteratorINSC_6detail9not_fun_tIN6dUtils10isMinusOneIiEEEES9_NSC_11use_defaultESK_EENS0_5tupleIJS9_S6_EEENSM_IJSA_SA_EEES6_PlJS6_EEE10hipError_tPvRmT3_T4_T5_T6_T7_T9_mT8_P12ihipStream_tbDpT10_ENKUlT_T0_E_clISt17integral_constantIbLb0EES19_EEDaS14_S15_EUlS14_E_NS1_11comp_targetILNS1_3genE5ELNS1_11target_archE942ELNS1_3gpuE9ELNS1_3repE0EEENS1_30default_config_static_selectorELNS0_4arch9wavefront6targetE1EEEvT1_
	.globl	_ZN7rocprim17ROCPRIM_400000_NS6detail17trampoline_kernelINS0_14default_configENS1_25partition_config_selectorILNS1_17partition_subalgoE5EiNS0_10empty_typeEbEEZZNS1_14partition_implILS5_5ELb0ES3_mPiPS6_N6thrust23THRUST_200600_302600_NS18transform_iteratorINSC_6detail9not_fun_tIN6dUtils10isMinusOneIiEEEES9_NSC_11use_defaultESK_EENS0_5tupleIJS9_S6_EEENSM_IJSA_SA_EEES6_PlJS6_EEE10hipError_tPvRmT3_T4_T5_T6_T7_T9_mT8_P12ihipStream_tbDpT10_ENKUlT_T0_E_clISt17integral_constantIbLb0EES19_EEDaS14_S15_EUlS14_E_NS1_11comp_targetILNS1_3genE5ELNS1_11target_archE942ELNS1_3gpuE9ELNS1_3repE0EEENS1_30default_config_static_selectorELNS0_4arch9wavefront6targetE1EEEvT1_
	.p2align	8
	.type	_ZN7rocprim17ROCPRIM_400000_NS6detail17trampoline_kernelINS0_14default_configENS1_25partition_config_selectorILNS1_17partition_subalgoE5EiNS0_10empty_typeEbEEZZNS1_14partition_implILS5_5ELb0ES3_mPiPS6_N6thrust23THRUST_200600_302600_NS18transform_iteratorINSC_6detail9not_fun_tIN6dUtils10isMinusOneIiEEEES9_NSC_11use_defaultESK_EENS0_5tupleIJS9_S6_EEENSM_IJSA_SA_EEES6_PlJS6_EEE10hipError_tPvRmT3_T4_T5_T6_T7_T9_mT8_P12ihipStream_tbDpT10_ENKUlT_T0_E_clISt17integral_constantIbLb0EES19_EEDaS14_S15_EUlS14_E_NS1_11comp_targetILNS1_3genE5ELNS1_11target_archE942ELNS1_3gpuE9ELNS1_3repE0EEENS1_30default_config_static_selectorELNS0_4arch9wavefront6targetE1EEEvT1_,@function
_ZN7rocprim17ROCPRIM_400000_NS6detail17trampoline_kernelINS0_14default_configENS1_25partition_config_selectorILNS1_17partition_subalgoE5EiNS0_10empty_typeEbEEZZNS1_14partition_implILS5_5ELb0ES3_mPiPS6_N6thrust23THRUST_200600_302600_NS18transform_iteratorINSC_6detail9not_fun_tIN6dUtils10isMinusOneIiEEEES9_NSC_11use_defaultESK_EENS0_5tupleIJS9_S6_EEENSM_IJSA_SA_EEES6_PlJS6_EEE10hipError_tPvRmT3_T4_T5_T6_T7_T9_mT8_P12ihipStream_tbDpT10_ENKUlT_T0_E_clISt17integral_constantIbLb0EES19_EEDaS14_S15_EUlS14_E_NS1_11comp_targetILNS1_3genE5ELNS1_11target_archE942ELNS1_3gpuE9ELNS1_3repE0EEENS1_30default_config_static_selectorELNS0_4arch9wavefront6targetE1EEEvT1_: ; @_ZN7rocprim17ROCPRIM_400000_NS6detail17trampoline_kernelINS0_14default_configENS1_25partition_config_selectorILNS1_17partition_subalgoE5EiNS0_10empty_typeEbEEZZNS1_14partition_implILS5_5ELb0ES3_mPiPS6_N6thrust23THRUST_200600_302600_NS18transform_iteratorINSC_6detail9not_fun_tIN6dUtils10isMinusOneIiEEEES9_NSC_11use_defaultESK_EENS0_5tupleIJS9_S6_EEENSM_IJSA_SA_EEES6_PlJS6_EEE10hipError_tPvRmT3_T4_T5_T6_T7_T9_mT8_P12ihipStream_tbDpT10_ENKUlT_T0_E_clISt17integral_constantIbLb0EES19_EEDaS14_S15_EUlS14_E_NS1_11comp_targetILNS1_3genE5ELNS1_11target_archE942ELNS1_3gpuE9ELNS1_3repE0EEENS1_30default_config_static_selectorELNS0_4arch9wavefront6targetE1EEEvT1_
; %bb.0:
	.section	.rodata,"a",@progbits
	.p2align	6, 0x0
	.amdhsa_kernel _ZN7rocprim17ROCPRIM_400000_NS6detail17trampoline_kernelINS0_14default_configENS1_25partition_config_selectorILNS1_17partition_subalgoE5EiNS0_10empty_typeEbEEZZNS1_14partition_implILS5_5ELb0ES3_mPiPS6_N6thrust23THRUST_200600_302600_NS18transform_iteratorINSC_6detail9not_fun_tIN6dUtils10isMinusOneIiEEEES9_NSC_11use_defaultESK_EENS0_5tupleIJS9_S6_EEENSM_IJSA_SA_EEES6_PlJS6_EEE10hipError_tPvRmT3_T4_T5_T6_T7_T9_mT8_P12ihipStream_tbDpT10_ENKUlT_T0_E_clISt17integral_constantIbLb0EES19_EEDaS14_S15_EUlS14_E_NS1_11comp_targetILNS1_3genE5ELNS1_11target_archE942ELNS1_3gpuE9ELNS1_3repE0EEENS1_30default_config_static_selectorELNS0_4arch9wavefront6targetE1EEEvT1_
		.amdhsa_group_segment_fixed_size 0
		.amdhsa_private_segment_fixed_size 0
		.amdhsa_kernarg_size 120
		.amdhsa_user_sgpr_count 6
		.amdhsa_user_sgpr_private_segment_buffer 1
		.amdhsa_user_sgpr_dispatch_ptr 0
		.amdhsa_user_sgpr_queue_ptr 0
		.amdhsa_user_sgpr_kernarg_segment_ptr 1
		.amdhsa_user_sgpr_dispatch_id 0
		.amdhsa_user_sgpr_flat_scratch_init 0
		.amdhsa_user_sgpr_kernarg_preload_length 0
		.amdhsa_user_sgpr_kernarg_preload_offset 0
		.amdhsa_user_sgpr_private_segment_size 0
		.amdhsa_uses_dynamic_stack 0
		.amdhsa_system_sgpr_private_segment_wavefront_offset 0
		.amdhsa_system_sgpr_workgroup_id_x 1
		.amdhsa_system_sgpr_workgroup_id_y 0
		.amdhsa_system_sgpr_workgroup_id_z 0
		.amdhsa_system_sgpr_workgroup_info 0
		.amdhsa_system_vgpr_workitem_id 0
		.amdhsa_next_free_vgpr 1
		.amdhsa_next_free_sgpr 0
		.amdhsa_accum_offset 4
		.amdhsa_reserve_vcc 0
		.amdhsa_reserve_flat_scratch 0
		.amdhsa_float_round_mode_32 0
		.amdhsa_float_round_mode_16_64 0
		.amdhsa_float_denorm_mode_32 3
		.amdhsa_float_denorm_mode_16_64 3
		.amdhsa_dx10_clamp 1
		.amdhsa_ieee_mode 1
		.amdhsa_fp16_overflow 0
		.amdhsa_tg_split 0
		.amdhsa_exception_fp_ieee_invalid_op 0
		.amdhsa_exception_fp_denorm_src 0
		.amdhsa_exception_fp_ieee_div_zero 0
		.amdhsa_exception_fp_ieee_overflow 0
		.amdhsa_exception_fp_ieee_underflow 0
		.amdhsa_exception_fp_ieee_inexact 0
		.amdhsa_exception_int_div_zero 0
	.end_amdhsa_kernel
	.section	.text._ZN7rocprim17ROCPRIM_400000_NS6detail17trampoline_kernelINS0_14default_configENS1_25partition_config_selectorILNS1_17partition_subalgoE5EiNS0_10empty_typeEbEEZZNS1_14partition_implILS5_5ELb0ES3_mPiPS6_N6thrust23THRUST_200600_302600_NS18transform_iteratorINSC_6detail9not_fun_tIN6dUtils10isMinusOneIiEEEES9_NSC_11use_defaultESK_EENS0_5tupleIJS9_S6_EEENSM_IJSA_SA_EEES6_PlJS6_EEE10hipError_tPvRmT3_T4_T5_T6_T7_T9_mT8_P12ihipStream_tbDpT10_ENKUlT_T0_E_clISt17integral_constantIbLb0EES19_EEDaS14_S15_EUlS14_E_NS1_11comp_targetILNS1_3genE5ELNS1_11target_archE942ELNS1_3gpuE9ELNS1_3repE0EEENS1_30default_config_static_selectorELNS0_4arch9wavefront6targetE1EEEvT1_,"axG",@progbits,_ZN7rocprim17ROCPRIM_400000_NS6detail17trampoline_kernelINS0_14default_configENS1_25partition_config_selectorILNS1_17partition_subalgoE5EiNS0_10empty_typeEbEEZZNS1_14partition_implILS5_5ELb0ES3_mPiPS6_N6thrust23THRUST_200600_302600_NS18transform_iteratorINSC_6detail9not_fun_tIN6dUtils10isMinusOneIiEEEES9_NSC_11use_defaultESK_EENS0_5tupleIJS9_S6_EEENSM_IJSA_SA_EEES6_PlJS6_EEE10hipError_tPvRmT3_T4_T5_T6_T7_T9_mT8_P12ihipStream_tbDpT10_ENKUlT_T0_E_clISt17integral_constantIbLb0EES19_EEDaS14_S15_EUlS14_E_NS1_11comp_targetILNS1_3genE5ELNS1_11target_archE942ELNS1_3gpuE9ELNS1_3repE0EEENS1_30default_config_static_selectorELNS0_4arch9wavefront6targetE1EEEvT1_,comdat
.Lfunc_end220:
	.size	_ZN7rocprim17ROCPRIM_400000_NS6detail17trampoline_kernelINS0_14default_configENS1_25partition_config_selectorILNS1_17partition_subalgoE5EiNS0_10empty_typeEbEEZZNS1_14partition_implILS5_5ELb0ES3_mPiPS6_N6thrust23THRUST_200600_302600_NS18transform_iteratorINSC_6detail9not_fun_tIN6dUtils10isMinusOneIiEEEES9_NSC_11use_defaultESK_EENS0_5tupleIJS9_S6_EEENSM_IJSA_SA_EEES6_PlJS6_EEE10hipError_tPvRmT3_T4_T5_T6_T7_T9_mT8_P12ihipStream_tbDpT10_ENKUlT_T0_E_clISt17integral_constantIbLb0EES19_EEDaS14_S15_EUlS14_E_NS1_11comp_targetILNS1_3genE5ELNS1_11target_archE942ELNS1_3gpuE9ELNS1_3repE0EEENS1_30default_config_static_selectorELNS0_4arch9wavefront6targetE1EEEvT1_, .Lfunc_end220-_ZN7rocprim17ROCPRIM_400000_NS6detail17trampoline_kernelINS0_14default_configENS1_25partition_config_selectorILNS1_17partition_subalgoE5EiNS0_10empty_typeEbEEZZNS1_14partition_implILS5_5ELb0ES3_mPiPS6_N6thrust23THRUST_200600_302600_NS18transform_iteratorINSC_6detail9not_fun_tIN6dUtils10isMinusOneIiEEEES9_NSC_11use_defaultESK_EENS0_5tupleIJS9_S6_EEENSM_IJSA_SA_EEES6_PlJS6_EEE10hipError_tPvRmT3_T4_T5_T6_T7_T9_mT8_P12ihipStream_tbDpT10_ENKUlT_T0_E_clISt17integral_constantIbLb0EES19_EEDaS14_S15_EUlS14_E_NS1_11comp_targetILNS1_3genE5ELNS1_11target_archE942ELNS1_3gpuE9ELNS1_3repE0EEENS1_30default_config_static_selectorELNS0_4arch9wavefront6targetE1EEEvT1_
                                        ; -- End function
	.section	.AMDGPU.csdata,"",@progbits
; Kernel info:
; codeLenInByte = 0
; NumSgprs: 4
; NumVgprs: 0
; NumAgprs: 0
; TotalNumVgprs: 0
; ScratchSize: 0
; MemoryBound: 0
; FloatMode: 240
; IeeeMode: 1
; LDSByteSize: 0 bytes/workgroup (compile time only)
; SGPRBlocks: 0
; VGPRBlocks: 0
; NumSGPRsForWavesPerEU: 4
; NumVGPRsForWavesPerEU: 1
; AccumOffset: 4
; Occupancy: 8
; WaveLimiterHint : 0
; COMPUTE_PGM_RSRC2:SCRATCH_EN: 0
; COMPUTE_PGM_RSRC2:USER_SGPR: 6
; COMPUTE_PGM_RSRC2:TRAP_HANDLER: 0
; COMPUTE_PGM_RSRC2:TGID_X_EN: 1
; COMPUTE_PGM_RSRC2:TGID_Y_EN: 0
; COMPUTE_PGM_RSRC2:TGID_Z_EN: 0
; COMPUTE_PGM_RSRC2:TIDIG_COMP_CNT: 0
; COMPUTE_PGM_RSRC3_GFX90A:ACCUM_OFFSET: 0
; COMPUTE_PGM_RSRC3_GFX90A:TG_SPLIT: 0
	.section	.text._ZN7rocprim17ROCPRIM_400000_NS6detail17trampoline_kernelINS0_14default_configENS1_25partition_config_selectorILNS1_17partition_subalgoE5EiNS0_10empty_typeEbEEZZNS1_14partition_implILS5_5ELb0ES3_mPiPS6_N6thrust23THRUST_200600_302600_NS18transform_iteratorINSC_6detail9not_fun_tIN6dUtils10isMinusOneIiEEEES9_NSC_11use_defaultESK_EENS0_5tupleIJS9_S6_EEENSM_IJSA_SA_EEES6_PlJS6_EEE10hipError_tPvRmT3_T4_T5_T6_T7_T9_mT8_P12ihipStream_tbDpT10_ENKUlT_T0_E_clISt17integral_constantIbLb0EES19_EEDaS14_S15_EUlS14_E_NS1_11comp_targetILNS1_3genE4ELNS1_11target_archE910ELNS1_3gpuE8ELNS1_3repE0EEENS1_30default_config_static_selectorELNS0_4arch9wavefront6targetE1EEEvT1_,"axG",@progbits,_ZN7rocprim17ROCPRIM_400000_NS6detail17trampoline_kernelINS0_14default_configENS1_25partition_config_selectorILNS1_17partition_subalgoE5EiNS0_10empty_typeEbEEZZNS1_14partition_implILS5_5ELb0ES3_mPiPS6_N6thrust23THRUST_200600_302600_NS18transform_iteratorINSC_6detail9not_fun_tIN6dUtils10isMinusOneIiEEEES9_NSC_11use_defaultESK_EENS0_5tupleIJS9_S6_EEENSM_IJSA_SA_EEES6_PlJS6_EEE10hipError_tPvRmT3_T4_T5_T6_T7_T9_mT8_P12ihipStream_tbDpT10_ENKUlT_T0_E_clISt17integral_constantIbLb0EES19_EEDaS14_S15_EUlS14_E_NS1_11comp_targetILNS1_3genE4ELNS1_11target_archE910ELNS1_3gpuE8ELNS1_3repE0EEENS1_30default_config_static_selectorELNS0_4arch9wavefront6targetE1EEEvT1_,comdat
	.protected	_ZN7rocprim17ROCPRIM_400000_NS6detail17trampoline_kernelINS0_14default_configENS1_25partition_config_selectorILNS1_17partition_subalgoE5EiNS0_10empty_typeEbEEZZNS1_14partition_implILS5_5ELb0ES3_mPiPS6_N6thrust23THRUST_200600_302600_NS18transform_iteratorINSC_6detail9not_fun_tIN6dUtils10isMinusOneIiEEEES9_NSC_11use_defaultESK_EENS0_5tupleIJS9_S6_EEENSM_IJSA_SA_EEES6_PlJS6_EEE10hipError_tPvRmT3_T4_T5_T6_T7_T9_mT8_P12ihipStream_tbDpT10_ENKUlT_T0_E_clISt17integral_constantIbLb0EES19_EEDaS14_S15_EUlS14_E_NS1_11comp_targetILNS1_3genE4ELNS1_11target_archE910ELNS1_3gpuE8ELNS1_3repE0EEENS1_30default_config_static_selectorELNS0_4arch9wavefront6targetE1EEEvT1_ ; -- Begin function _ZN7rocprim17ROCPRIM_400000_NS6detail17trampoline_kernelINS0_14default_configENS1_25partition_config_selectorILNS1_17partition_subalgoE5EiNS0_10empty_typeEbEEZZNS1_14partition_implILS5_5ELb0ES3_mPiPS6_N6thrust23THRUST_200600_302600_NS18transform_iteratorINSC_6detail9not_fun_tIN6dUtils10isMinusOneIiEEEES9_NSC_11use_defaultESK_EENS0_5tupleIJS9_S6_EEENSM_IJSA_SA_EEES6_PlJS6_EEE10hipError_tPvRmT3_T4_T5_T6_T7_T9_mT8_P12ihipStream_tbDpT10_ENKUlT_T0_E_clISt17integral_constantIbLb0EES19_EEDaS14_S15_EUlS14_E_NS1_11comp_targetILNS1_3genE4ELNS1_11target_archE910ELNS1_3gpuE8ELNS1_3repE0EEENS1_30default_config_static_selectorELNS0_4arch9wavefront6targetE1EEEvT1_
	.globl	_ZN7rocprim17ROCPRIM_400000_NS6detail17trampoline_kernelINS0_14default_configENS1_25partition_config_selectorILNS1_17partition_subalgoE5EiNS0_10empty_typeEbEEZZNS1_14partition_implILS5_5ELb0ES3_mPiPS6_N6thrust23THRUST_200600_302600_NS18transform_iteratorINSC_6detail9not_fun_tIN6dUtils10isMinusOneIiEEEES9_NSC_11use_defaultESK_EENS0_5tupleIJS9_S6_EEENSM_IJSA_SA_EEES6_PlJS6_EEE10hipError_tPvRmT3_T4_T5_T6_T7_T9_mT8_P12ihipStream_tbDpT10_ENKUlT_T0_E_clISt17integral_constantIbLb0EES19_EEDaS14_S15_EUlS14_E_NS1_11comp_targetILNS1_3genE4ELNS1_11target_archE910ELNS1_3gpuE8ELNS1_3repE0EEENS1_30default_config_static_selectorELNS0_4arch9wavefront6targetE1EEEvT1_
	.p2align	8
	.type	_ZN7rocprim17ROCPRIM_400000_NS6detail17trampoline_kernelINS0_14default_configENS1_25partition_config_selectorILNS1_17partition_subalgoE5EiNS0_10empty_typeEbEEZZNS1_14partition_implILS5_5ELb0ES3_mPiPS6_N6thrust23THRUST_200600_302600_NS18transform_iteratorINSC_6detail9not_fun_tIN6dUtils10isMinusOneIiEEEES9_NSC_11use_defaultESK_EENS0_5tupleIJS9_S6_EEENSM_IJSA_SA_EEES6_PlJS6_EEE10hipError_tPvRmT3_T4_T5_T6_T7_T9_mT8_P12ihipStream_tbDpT10_ENKUlT_T0_E_clISt17integral_constantIbLb0EES19_EEDaS14_S15_EUlS14_E_NS1_11comp_targetILNS1_3genE4ELNS1_11target_archE910ELNS1_3gpuE8ELNS1_3repE0EEENS1_30default_config_static_selectorELNS0_4arch9wavefront6targetE1EEEvT1_,@function
_ZN7rocprim17ROCPRIM_400000_NS6detail17trampoline_kernelINS0_14default_configENS1_25partition_config_selectorILNS1_17partition_subalgoE5EiNS0_10empty_typeEbEEZZNS1_14partition_implILS5_5ELb0ES3_mPiPS6_N6thrust23THRUST_200600_302600_NS18transform_iteratorINSC_6detail9not_fun_tIN6dUtils10isMinusOneIiEEEES9_NSC_11use_defaultESK_EENS0_5tupleIJS9_S6_EEENSM_IJSA_SA_EEES6_PlJS6_EEE10hipError_tPvRmT3_T4_T5_T6_T7_T9_mT8_P12ihipStream_tbDpT10_ENKUlT_T0_E_clISt17integral_constantIbLb0EES19_EEDaS14_S15_EUlS14_E_NS1_11comp_targetILNS1_3genE4ELNS1_11target_archE910ELNS1_3gpuE8ELNS1_3repE0EEENS1_30default_config_static_selectorELNS0_4arch9wavefront6targetE1EEEvT1_: ; @_ZN7rocprim17ROCPRIM_400000_NS6detail17trampoline_kernelINS0_14default_configENS1_25partition_config_selectorILNS1_17partition_subalgoE5EiNS0_10empty_typeEbEEZZNS1_14partition_implILS5_5ELb0ES3_mPiPS6_N6thrust23THRUST_200600_302600_NS18transform_iteratorINSC_6detail9not_fun_tIN6dUtils10isMinusOneIiEEEES9_NSC_11use_defaultESK_EENS0_5tupleIJS9_S6_EEENSM_IJSA_SA_EEES6_PlJS6_EEE10hipError_tPvRmT3_T4_T5_T6_T7_T9_mT8_P12ihipStream_tbDpT10_ENKUlT_T0_E_clISt17integral_constantIbLb0EES19_EEDaS14_S15_EUlS14_E_NS1_11comp_targetILNS1_3genE4ELNS1_11target_archE910ELNS1_3gpuE8ELNS1_3repE0EEENS1_30default_config_static_selectorELNS0_4arch9wavefront6targetE1EEEvT1_
; %bb.0:
	s_load_dwordx2 s[0:1], s[4:5], 0x58
	s_load_dwordx4 s[12:15], s[4:5], 0x8
	s_load_dwordx2 s[2:3], s[4:5], 0x20
	s_load_dwordx4 s[16:19], s[4:5], 0x48
	s_mul_i32 s10, s6, 0x700
	s_waitcnt lgkmcnt(0)
	v_mov_b32_e32 v3, s1
	s_load_dword s1, s[4:5], 0x70
	s_lshl_b64 s[8:9], s[14:15], 2
	s_add_u32 s24, s12, s8
	s_addc_u32 s25, s13, s9
	v_mov_b32_e32 v2, s0
	s_waitcnt lgkmcnt(0)
	s_add_i32 s12, s1, -1
	s_mulk_i32 s1, 0x700
	s_add_i32 s7, s1, s14
	s_sub_i32 s7, s0, s7
	s_addk_i32 s7, 0x700
	s_add_u32 s0, s14, s1
	s_addc_u32 s1, s15, 0
	s_cmp_eq_u32 s6, s12
	s_load_dwordx2 s[18:19], s[18:19], 0x0
	v_cmp_ge_u64_e32 vcc, s[0:1], v[2:3]
	s_cselect_b64 s[20:21], -1, 0
	s_mov_b32 s11, 0
	s_and_b64 s[12:13], s[20:21], vcc
	s_xor_b64 s[22:23], s[12:13], -1
	s_lshl_b64 s[10:11], s[10:11], 2
	s_add_u32 s12, s24, s10
	s_mov_b64 s[0:1], -1
	s_addc_u32 s13, s25, s11
	s_and_b64 vcc, exec, s[22:23]
	v_lshlrev_b32_e32 v1, 2, v0
	s_cbranch_vccz .LBB221_2
; %bb.1:
	v_mov_b32_e32 v2, s13
	v_add_co_u32_e32 v3, vcc, s12, v1
	v_addc_co_u32_e32 v4, vcc, 0, v2, vcc
	v_add_co_u32_e32 v2, vcc, 0x1000, v3
	v_addc_co_u32_e32 v3, vcc, 0, v4, vcc
	global_load_dword v5, v1, s[12:13]
	global_load_dword v6, v1, s[12:13] offset:1024
	global_load_dword v7, v1, s[12:13] offset:2048
	;; [unrolled: 1-line block ×3, first 2 shown]
	global_load_dword v4, v[2:3], off
	global_load_dword v9, v[2:3], off offset:1024
	global_load_dword v10, v[2:3], off offset:2048
	s_mov_b64 s[0:1], 0
	s_waitcnt vmcnt(5)
	ds_write2st64_b32 v1, v5, v6 offset1:4
	s_waitcnt vmcnt(3)
	ds_write2st64_b32 v1, v7, v8 offset0:8 offset1:12
	s_waitcnt vmcnt(1)
	ds_write2st64_b32 v1, v4, v9 offset0:16 offset1:20
	s_waitcnt vmcnt(0)
	ds_write_b32 v1, v10 offset:6144
	s_waitcnt lgkmcnt(0)
	s_barrier
.LBB221_2:
	s_andn2_b64 vcc, exec, s[0:1]
	v_cmp_gt_u32_e64 s[0:1], s7, v0
	s_cbranch_vccnz .LBB221_18
; %bb.3:
                                        ; implicit-def: $vgpr2_vgpr3_vgpr4_vgpr5_vgpr6_vgpr7_vgpr8
	s_and_saveexec_b64 s[14:15], s[0:1]
	s_cbranch_execz .LBB221_5
; %bb.4:
	global_load_dword v2, v1, s[12:13]
.LBB221_5:
	s_or_b64 exec, exec, s[14:15]
	v_or_b32_e32 v9, 0x100, v0
	v_cmp_gt_u32_e32 vcc, s7, v9
	s_and_saveexec_b64 s[0:1], vcc
	s_cbranch_execz .LBB221_7
; %bb.6:
	global_load_dword v3, v1, s[12:13] offset:1024
.LBB221_7:
	s_or_b64 exec, exec, s[0:1]
	v_or_b32_e32 v9, 0x200, v0
	v_cmp_gt_u32_e32 vcc, s7, v9
	s_and_saveexec_b64 s[0:1], vcc
	s_cbranch_execz .LBB221_9
; %bb.8:
	global_load_dword v4, v1, s[12:13] offset:2048
.LBB221_9:
	;; [unrolled: 8-line block ×3, first 2 shown]
	s_or_b64 exec, exec, s[0:1]
	v_or_b32_e32 v9, 0x400, v0
	v_cmp_gt_u32_e32 vcc, s7, v9
	s_and_saveexec_b64 s[0:1], vcc
	s_cbranch_execz .LBB221_13
; %bb.12:
	v_lshlrev_b32_e32 v6, 2, v9
	global_load_dword v6, v6, s[12:13]
.LBB221_13:
	s_or_b64 exec, exec, s[0:1]
	v_or_b32_e32 v9, 0x500, v0
	v_cmp_gt_u32_e32 vcc, s7, v9
	s_and_saveexec_b64 s[0:1], vcc
	s_cbranch_execz .LBB221_15
; %bb.14:
	v_lshlrev_b32_e32 v7, 2, v9
	global_load_dword v7, v7, s[12:13]
.LBB221_15:
	;; [unrolled: 9-line block ×3, first 2 shown]
	s_or_b64 exec, exec, s[0:1]
	s_waitcnt vmcnt(0)
	ds_write2st64_b32 v1, v2, v3 offset1:4
	ds_write2st64_b32 v1, v4, v5 offset0:8 offset1:12
	ds_write2st64_b32 v1, v6, v7 offset0:16 offset1:20
	ds_write_b32 v1, v8 offset:6144
	s_waitcnt lgkmcnt(0)
	s_barrier
.LBB221_18:
	v_mul_u32_u24_e32 v2, 7, v0
	v_lshlrev_b32_e32 v2, 2, v2
	s_waitcnt lgkmcnt(0)
	ds_read2_b32 v[14:15], v2 offset1:1
	ds_read2_b32 v[12:13], v2 offset0:2 offset1:3
	ds_read2_b32 v[10:11], v2 offset0:4 offset1:5
	ds_read_b32 v17, v2 offset:24
	s_add_u32 s0, s2, s8
	s_addc_u32 s1, s3, s9
	s_add_u32 s0, s0, s10
	s_addc_u32 s1, s1, s11
	s_mov_b64 s[2:3], -1
	s_and_b64 vcc, exec, s[22:23]
	s_waitcnt lgkmcnt(0)
	s_barrier
	s_cbranch_vccz .LBB221_20
; %bb.19:
	global_load_dword v6, v1, s[0:1]
	global_load_dword v7, v1, s[0:1] offset:1024
	v_mov_b32_e32 v3, s1
	v_add_co_u32_e32 v4, vcc, s0, v1
	v_addc_co_u32_e32 v3, vcc, 0, v3, vcc
	global_load_dword v8, v1, s[0:1] offset:2048
	global_load_dword v9, v1, s[0:1] offset:3072
	s_movk_i32 s2, 0x1000
	v_add_co_u32_e32 v4, vcc, s2, v4
	v_addc_co_u32_e32 v5, vcc, 0, v3, vcc
	global_load_dword v3, v[4:5], off
	global_load_dword v16, v[4:5], off offset:1024
	global_load_dword v18, v[4:5], off offset:2048
	s_mov_b64 s[2:3], 0
	s_waitcnt vmcnt(6)
	v_cmp_ne_u32_e32 vcc, -1, v6
	v_cndmask_b32_e64 v4, 0, 1, vcc
	s_waitcnt vmcnt(5)
	v_cmp_ne_u32_e32 vcc, -1, v7
	v_cndmask_b32_e64 v5, 0, 1, vcc
	;; [unrolled: 3-line block ×4, first 2 shown]
	ds_write_b8 v0, v4
	ds_write_b8 v0, v5 offset:256
	ds_write_b8 v0, v6 offset:512
	;; [unrolled: 1-line block ×3, first 2 shown]
	s_waitcnt vmcnt(2)
	v_cmp_ne_u32_e32 vcc, -1, v3
	v_cndmask_b32_e64 v3, 0, 1, vcc
	s_waitcnt vmcnt(1)
	v_cmp_ne_u32_e32 vcc, -1, v16
	v_cndmask_b32_e64 v4, 0, 1, vcc
	;; [unrolled: 3-line block ×3, first 2 shown]
	ds_write_b8 v0, v3 offset:1024
	ds_write_b8 v0, v4 offset:1280
	;; [unrolled: 1-line block ×3, first 2 shown]
	s_waitcnt lgkmcnt(0)
	s_barrier
.LBB221_20:
	s_load_dwordx2 s[24:25], s[4:5], 0x68
	s_andn2_b64 vcc, exec, s[2:3]
	s_cbranch_vccnz .LBB221_36
; %bb.21:
	v_cmp_gt_u32_e32 vcc, s7, v0
	v_mov_b32_e32 v3, 0
	v_mov_b32_e32 v4, 0
	s_and_saveexec_b64 s[2:3], vcc
	s_cbranch_execz .LBB221_23
; %bb.22:
	global_load_dword v4, v1, s[0:1]
	s_waitcnt vmcnt(0)
	v_cmp_ne_u32_e32 vcc, -1, v4
	v_cndmask_b32_e64 v4, 0, 1, vcc
.LBB221_23:
	s_or_b64 exec, exec, s[2:3]
	v_or_b32_e32 v5, 0x100, v0
	v_cmp_gt_u32_e32 vcc, s7, v5
	s_and_saveexec_b64 s[2:3], vcc
	s_cbranch_execz .LBB221_25
; %bb.24:
	global_load_dword v3, v1, s[0:1] offset:1024
	s_waitcnt vmcnt(0)
	v_cmp_ne_u32_e32 vcc, -1, v3
	v_cndmask_b32_e64 v3, 0, 1, vcc
.LBB221_25:
	s_or_b64 exec, exec, s[2:3]
	v_or_b32_e32 v5, 0x200, v0
	v_cmp_gt_u32_e32 vcc, s7, v5
	v_mov_b32_e32 v5, 0
	v_mov_b32_e32 v6, 0
	s_and_saveexec_b64 s[2:3], vcc
	s_cbranch_execz .LBB221_27
; %bb.26:
	global_load_dword v6, v1, s[0:1] offset:2048
	s_waitcnt vmcnt(0)
	v_cmp_ne_u32_e32 vcc, -1, v6
	v_cndmask_b32_e64 v6, 0, 1, vcc
.LBB221_27:
	s_or_b64 exec, exec, s[2:3]
	v_or_b32_e32 v7, 0x300, v0
	v_cmp_gt_u32_e32 vcc, s7, v7
	s_and_saveexec_b64 s[2:3], vcc
	s_cbranch_execz .LBB221_29
; %bb.28:
	global_load_dword v1, v1, s[0:1] offset:3072
	s_waitcnt vmcnt(0)
	v_cmp_ne_u32_e32 vcc, -1, v1
	v_cndmask_b32_e64 v5, 0, 1, vcc
.LBB221_29:
	s_or_b64 exec, exec, s[2:3]
	v_or_b32_e32 v8, 0x400, v0
	v_cmp_gt_u32_e32 vcc, s7, v8
	v_mov_b32_e32 v1, 0
	v_mov_b32_e32 v7, 0
	s_and_saveexec_b64 s[2:3], vcc
	s_cbranch_execz .LBB221_31
; %bb.30:
	v_lshlrev_b32_e32 v7, 2, v8
	global_load_dword v7, v7, s[0:1]
	s_waitcnt vmcnt(0)
	v_cmp_ne_u32_e32 vcc, -1, v7
	v_cndmask_b32_e64 v7, 0, 1, vcc
.LBB221_31:
	s_or_b64 exec, exec, s[2:3]
	v_or_b32_e32 v8, 0x500, v0
	v_cmp_gt_u32_e32 vcc, s7, v8
	s_and_saveexec_b64 s[2:3], vcc
	s_cbranch_execz .LBB221_33
; %bb.32:
	v_lshlrev_b32_e32 v1, 2, v8
	global_load_dword v1, v1, s[0:1]
	s_waitcnt vmcnt(0)
	v_cmp_ne_u32_e32 vcc, -1, v1
	v_cndmask_b32_e64 v1, 0, 1, vcc
.LBB221_33:
	s_or_b64 exec, exec, s[2:3]
	v_or_b32_e32 v9, 0x600, v0
	v_cmp_gt_u32_e32 vcc, s7, v9
	v_mov_b32_e32 v8, 0
	s_and_saveexec_b64 s[2:3], vcc
	s_cbranch_execz .LBB221_35
; %bb.34:
	v_lshlrev_b32_e32 v8, 2, v9
	global_load_dword v8, v8, s[0:1]
	s_waitcnt vmcnt(0)
	v_cmp_ne_u32_e32 vcc, -1, v8
	v_cndmask_b32_e64 v8, 0, 1, vcc
.LBB221_35:
	s_or_b64 exec, exec, s[2:3]
	ds_write_b8 v0, v4
	ds_write_b8 v0, v3 offset:256
	ds_write_b8 v0, v6 offset:512
	;; [unrolled: 1-line block ×6, first 2 shown]
	s_waitcnt lgkmcnt(0)
	s_barrier
.LBB221_36:
	s_movk_i32 s0, 0xffeb
	v_mad_i32_i24 v23, v0, s0, v2
	s_waitcnt lgkmcnt(0)
	ds_read_u8 v1, v23
	ds_read_u8 v2, v23 offset:1
	ds_read_u8 v3, v23 offset:2
	;; [unrolled: 1-line block ×6, first 2 shown]
	s_waitcnt lgkmcnt(6)
	v_and_b32_e32 v26, 1, v1
	s_waitcnt lgkmcnt(5)
	v_and_b32_e32 v24, 1, v2
	;; [unrolled: 2-line block ×3, first 2 shown]
	v_add_co_u32_e32 v2, vcc, v24, v26
	v_addc_co_u32_e64 v3, s[0:1], 0, 0, vcc
	v_add_co_u32_e32 v2, vcc, v2, v22
	s_waitcnt lgkmcnt(3)
	v_and_b32_e32 v20, 1, v4
	v_addc_co_u32_e32 v3, vcc, 0, v3, vcc
	v_add_co_u32_e32 v2, vcc, v2, v20
	s_waitcnt lgkmcnt(2)
	v_and_b32_e32 v18, 1, v5
	v_addc_co_u32_e32 v3, vcc, 0, v3, vcc
	v_add_co_u32_e32 v2, vcc, v2, v18
	s_waitcnt lgkmcnt(1)
	v_and_b32_e32 v16, 1, v6
	v_addc_co_u32_e32 v3, vcc, 0, v3, vcc
	v_add_co_u32_e32 v2, vcc, v2, v16
	s_waitcnt lgkmcnt(0)
	v_and_b32_e32 v19, 1, v7
	v_addc_co_u32_e32 v3, vcc, 0, v3, vcc
	v_add_co_u32_e32 v28, vcc, v2, v19
	v_mbcnt_lo_u32_b32 v2, -1, 0
	v_mbcnt_hi_u32_b32 v21, -1, v2
	v_addc_co_u32_e32 v29, vcc, 0, v3, vcc
	v_and_b32_e32 v27, 15, v21
	s_cmp_lg_u32 s6, 0
	v_mov_b32_e32 v1, 0
	v_cmp_eq_u32_e64 s[2:3], 0, v27
	v_cmp_lt_u32_e64 s[0:1], 1, v27
	v_cmp_lt_u32_e64 s[10:11], 3, v27
	;; [unrolled: 1-line block ×3, first 2 shown]
	v_and_b32_e32 v25, 16, v21
	v_cmp_eq_u32_e64 s[12:13], 0, v21
	v_cmp_ne_u32_e32 vcc, 0, v21
	s_barrier
	s_cbranch_scc0 .LBB221_65
; %bb.37:
	v_mov_b32_dpp v2, v28 row_shr:1 row_mask:0xf bank_mask:0xf
	v_add_co_u32_e64 v2, s[14:15], v28, v2
	v_addc_co_u32_e64 v3, s[14:15], 0, v29, s[14:15]
	v_mov_b32_dpp v1, v1 row_shr:1 row_mask:0xf bank_mask:0xf
	v_add_co_u32_e64 v4, s[14:15], 0, v2
	v_addc_co_u32_e64 v1, s[14:15], v1, v3, s[14:15]
	v_cndmask_b32_e64 v2, v2, v28, s[2:3]
	v_cndmask_b32_e64 v3, v1, 0, s[2:3]
	v_cndmask_b32_e64 v4, v4, v28, s[2:3]
	v_mov_b32_dpp v5, v2 row_shr:2 row_mask:0xf bank_mask:0xf
	v_cndmask_b32_e64 v1, v1, v29, s[2:3]
	v_mov_b32_dpp v6, v3 row_shr:2 row_mask:0xf bank_mask:0xf
	v_add_co_u32_e64 v5, s[14:15], v5, v4
	v_addc_co_u32_e64 v6, s[14:15], v6, v1, s[14:15]
	v_cndmask_b32_e64 v2, v2, v5, s[0:1]
	v_cndmask_b32_e64 v3, v3, v6, s[0:1]
	v_cndmask_b32_e64 v4, v4, v5, s[0:1]
	v_mov_b32_dpp v5, v2 row_shr:4 row_mask:0xf bank_mask:0xf
	v_cndmask_b32_e64 v1, v1, v6, s[0:1]
	;; [unrolled: 8-line block ×3, first 2 shown]
	v_mov_b32_dpp v6, v3 row_shr:8 row_mask:0xf bank_mask:0xf
	v_add_co_u32_e64 v5, s[10:11], v5, v4
	v_addc_co_u32_e64 v6, s[10:11], v6, v1, s[10:11]
	v_cndmask_b32_e64 v2, v2, v5, s[8:9]
	v_cndmask_b32_e64 v3, v3, v6, s[8:9]
	;; [unrolled: 1-line block ×3, first 2 shown]
	v_mov_b32_dpp v5, v2 row_bcast:15 row_mask:0xf bank_mask:0xf
	v_cndmask_b32_e64 v1, v1, v6, s[8:9]
	v_mov_b32_dpp v6, v3 row_bcast:15 row_mask:0xf bank_mask:0xf
	v_add_co_u32_e64 v5, s[8:9], v5, v4
	v_addc_co_u32_e64 v7, s[8:9], v6, v1, s[8:9]
	v_cmp_eq_u32_e64 s[8:9], 0, v25
	v_cndmask_b32_e64 v3, v7, v3, s[8:9]
	v_cndmask_b32_e64 v2, v5, v2, s[8:9]
	s_nop 0
	v_mov_b32_dpp v8, v3 row_bcast:31 row_mask:0xf bank_mask:0xf
	v_mov_b32_dpp v6, v2 row_bcast:31 row_mask:0xf bank_mask:0xf
	v_pk_mov_b32 v[2:3], v[28:29], v[28:29] op_sel:[0,1]
	s_and_saveexec_b64 s[10:11], vcc
; %bb.38:
	v_cmp_lt_u32_e32 vcc, 31, v21
	v_cndmask_b32_e64 v2, v5, v4, s[8:9]
	v_cndmask_b32_e32 v4, 0, v6, vcc
	v_cndmask_b32_e64 v1, v7, v1, s[8:9]
	v_cndmask_b32_e32 v3, 0, v8, vcc
	v_add_co_u32_e32 v2, vcc, v4, v2
	v_addc_co_u32_e32 v3, vcc, v3, v1, vcc
; %bb.39:
	s_or_b64 exec, exec, s[10:11]
	v_or_b32_e32 v4, 63, v0
	v_lshrrev_b32_e32 v1, 6, v0
	v_cmp_eq_u32_e32 vcc, v4, v0
	s_and_saveexec_b64 s[8:9], vcc
	s_cbranch_execz .LBB221_41
; %bb.40:
	v_lshlrev_b32_e32 v4, 3, v1
	ds_write_b64 v4, v[2:3]
.LBB221_41:
	s_or_b64 exec, exec, s[8:9]
	v_cmp_gt_u32_e32 vcc, 4, v0
	s_waitcnt lgkmcnt(0)
	s_barrier
	s_and_saveexec_b64 s[10:11], vcc
	s_cbranch_execz .LBB221_43
; %bb.42:
	v_lshlrev_b32_e32 v6, 3, v0
	ds_read_b64 v[4:5], v6
	v_and_b32_e32 v7, 3, v21
	v_cmp_ne_u32_e64 s[8:9], 1, v7
	s_waitcnt lgkmcnt(0)
	v_mov_b32_dpp v8, v4 row_shr:1 row_mask:0xf bank_mask:0xf
	v_add_co_u32_e32 v8, vcc, v4, v8
	v_addc_co_u32_e32 v30, vcc, 0, v5, vcc
	v_mov_b32_dpp v9, v5 row_shr:1 row_mask:0xf bank_mask:0xf
	v_add_co_u32_e32 v31, vcc, 0, v8
	v_addc_co_u32_e32 v9, vcc, v9, v30, vcc
	v_cmp_eq_u32_e32 vcc, 0, v7
	v_cndmask_b32_e32 v8, v8, v4, vcc
	v_cndmask_b32_e32 v30, v9, v5, vcc
	s_nop 0
	v_mov_b32_dpp v8, v8 row_shr:2 row_mask:0xf bank_mask:0xf
	v_mov_b32_dpp v30, v30 row_shr:2 row_mask:0xf bank_mask:0xf
	v_cndmask_b32_e64 v7, 0, v8, s[8:9]
	v_cndmask_b32_e64 v8, 0, v30, s[8:9]
	v_add_co_u32_e64 v7, s[8:9], v7, v31
	v_addc_co_u32_e64 v8, s[8:9], v8, v9, s[8:9]
	v_cndmask_b32_e32 v5, v8, v5, vcc
	v_cndmask_b32_e32 v4, v7, v4, vcc
	ds_write_b64 v6, v[4:5]
.LBB221_43:
	s_or_b64 exec, exec, s[10:11]
	v_cmp_gt_u32_e32 vcc, 64, v0
	v_cmp_lt_u32_e64 s[8:9], 63, v0
	s_waitcnt lgkmcnt(0)
	s_barrier
	s_waitcnt lgkmcnt(0)
                                        ; implicit-def: $vgpr30_vgpr31
	s_and_saveexec_b64 s[10:11], s[8:9]
	s_cbranch_execz .LBB221_45
; %bb.44:
	v_lshl_add_u32 v1, v1, 3, -8
	ds_read_b64 v[30:31], v1
	s_waitcnt lgkmcnt(0)
	v_add_co_u32_e64 v2, s[8:9], v30, v2
	v_addc_co_u32_e64 v3, s[8:9], v31, v3, s[8:9]
.LBB221_45:
	s_or_b64 exec, exec, s[10:11]
	v_add_u32_e32 v1, -1, v21
	v_and_b32_e32 v4, 64, v21
	v_cmp_lt_i32_e64 s[8:9], v1, v4
	v_cndmask_b32_e64 v1, v1, v21, s[8:9]
	v_lshlrev_b32_e32 v4, 2, v1
	ds_bpermute_b32 v1, v4, v2
	ds_bpermute_b32 v38, v4, v3
	s_and_saveexec_b64 s[14:15], vcc
	s_cbranch_execz .LBB221_64
; %bb.46:
	v_mov_b32_e32 v5, 0
	ds_read_b64 v[2:3], v5 offset:24
	s_and_saveexec_b64 s[8:9], s[12:13]
	s_cbranch_execz .LBB221_48
; %bb.47:
	s_add_i32 s10, s6, 64
	s_mov_b32 s11, 0
	s_lshl_b64 s[10:11], s[10:11], 4
	s_add_u32 s10, s24, s10
	s_addc_u32 s11, s25, s11
	v_mov_b32_e32 v4, 1
	v_pk_mov_b32 v[6:7], s[10:11], s[10:11] op_sel:[0,1]
	s_waitcnt lgkmcnt(0)
	;;#ASMSTART
	global_store_dwordx4 v[6:7], v[2:5] off	
s_waitcnt vmcnt(0)
	;;#ASMEND
.LBB221_48:
	s_or_b64 exec, exec, s[8:9]
	v_xad_u32 v32, v21, -1, s6
	v_add_u32_e32 v4, 64, v32
	v_lshlrev_b64 v[6:7], 4, v[4:5]
	v_mov_b32_e32 v4, s25
	v_add_co_u32_e32 v34, vcc, s24, v6
	v_addc_co_u32_e32 v35, vcc, v4, v7, vcc
	;;#ASMSTART
	global_load_dwordx4 v[6:9], v[34:35] off glc	
s_waitcnt vmcnt(0)
	;;#ASMEND
	v_and_b32_e32 v4, 0xff, v7
	v_and_b32_e32 v9, 0xff00, v7
	v_or3_b32 v4, 0, v4, v9
	v_or3_b32 v6, v6, 0, 0
	v_and_b32_e32 v9, 0xff000000, v7
	v_and_b32_e32 v7, 0xff0000, v7
	v_or3_b32 v7, v4, v7, v9
	v_or3_b32 v6, v6, 0, 0
	v_cmp_eq_u16_sdwa s[10:11], v8, v5 src0_sel:BYTE_0 src1_sel:DWORD
	s_and_saveexec_b64 s[8:9], s[10:11]
	s_cbranch_execz .LBB221_52
; %bb.49:
	s_mov_b64 s[10:11], 0
	v_mov_b32_e32 v4, 0
.LBB221_50:                             ; =>This Inner Loop Header: Depth=1
	;;#ASMSTART
	global_load_dwordx4 v[6:9], v[34:35] off glc	
s_waitcnt vmcnt(0)
	;;#ASMEND
	v_cmp_ne_u16_sdwa s[26:27], v8, v4 src0_sel:BYTE_0 src1_sel:DWORD
	s_or_b64 s[10:11], s[26:27], s[10:11]
	s_andn2_b64 exec, exec, s[10:11]
	s_cbranch_execnz .LBB221_50
; %bb.51:
	s_or_b64 exec, exec, s[10:11]
.LBB221_52:
	s_or_b64 exec, exec, s[8:9]
	v_and_b32_e32 v40, 63, v21
	v_mov_b32_e32 v39, 2
	v_cmp_ne_u32_e32 vcc, 63, v40
	v_cmp_eq_u16_sdwa s[8:9], v8, v39 src0_sel:BYTE_0 src1_sel:DWORD
	v_lshlrev_b64 v[34:35], v21, -1
	v_addc_co_u32_e32 v9, vcc, 0, v21, vcc
	v_and_b32_e32 v4, s9, v35
	v_lshlrev_b32_e32 v41, 2, v9
	v_or_b32_e32 v4, 0x80000000, v4
	ds_bpermute_b32 v9, v41, v6
	v_and_b32_e32 v5, s8, v34
	v_ffbl_b32_e32 v4, v4
	v_add_u32_e32 v4, 32, v4
	v_ffbl_b32_e32 v5, v5
	v_min_u32_e32 v4, v5, v4
	ds_bpermute_b32 v5, v41, v7
	s_waitcnt lgkmcnt(1)
	v_add_co_u32_e32 v9, vcc, v6, v9
	v_addc_co_u32_e32 v36, vcc, 0, v7, vcc
	v_add_co_u32_e32 v37, vcc, 0, v9
	v_cmp_gt_u32_e64 s[8:9], 62, v40
	s_waitcnt lgkmcnt(0)
	v_addc_co_u32_e32 v5, vcc, v5, v36, vcc
	v_cndmask_b32_e64 v36, 0, 1, s[8:9]
	v_cmp_lt_u32_e32 vcc, v40, v4
	v_lshlrev_b32_e32 v36, 1, v36
	v_cndmask_b32_e32 v9, v6, v9, vcc
	v_add_lshl_u32 v42, v36, v21, 2
	v_cndmask_b32_e32 v5, v7, v5, vcc
	ds_bpermute_b32 v36, v42, v9
	ds_bpermute_b32 v44, v42, v5
	v_cndmask_b32_e32 v37, v6, v37, vcc
	v_add_u32_e32 v43, 2, v40
	v_cmp_gt_u32_e64 s[10:11], 60, v40
	s_waitcnt lgkmcnt(1)
	v_add_co_u32_e64 v36, s[8:9], v36, v37
	s_waitcnt lgkmcnt(0)
	v_addc_co_u32_e64 v44, s[8:9], v44, v5, s[8:9]
	v_cmp_gt_u32_e64 s[8:9], v43, v4
	v_cndmask_b32_e64 v5, v44, v5, s[8:9]
	v_cndmask_b32_e64 v44, 0, 1, s[10:11]
	v_lshlrev_b32_e32 v44, 2, v44
	v_cndmask_b32_e64 v9, v36, v9, s[8:9]
	v_add_lshl_u32 v44, v44, v21, 2
	ds_bpermute_b32 v46, v44, v9
	v_cndmask_b32_e64 v36, v36, v37, s[8:9]
	ds_bpermute_b32 v37, v44, v5
	v_add_u32_e32 v45, 4, v40
	v_cmp_gt_u32_e64 s[10:11], 56, v40
	s_waitcnt lgkmcnt(1)
	v_add_co_u32_e64 v47, s[8:9], v46, v36
	s_waitcnt lgkmcnt(0)
	v_addc_co_u32_e64 v37, s[8:9], v37, v5, s[8:9]
	v_cmp_gt_u32_e64 s[8:9], v45, v4
	v_cndmask_b32_e64 v5, v37, v5, s[8:9]
	v_cndmask_b32_e64 v37, 0, 1, s[10:11]
	v_lshlrev_b32_e32 v37, 3, v37
	v_cndmask_b32_e64 v9, v47, v9, s[8:9]
	v_add_lshl_u32 v46, v37, v21, 2
	ds_bpermute_b32 v37, v46, v9
	ds_bpermute_b32 v48, v46, v5
	v_cndmask_b32_e64 v36, v47, v36, s[8:9]
	v_add_u32_e32 v47, 8, v40
	v_cmp_gt_u32_e64 s[10:11], 48, v40
	s_waitcnt lgkmcnt(1)
	v_add_co_u32_e64 v37, s[8:9], v37, v36
	s_waitcnt lgkmcnt(0)
	v_addc_co_u32_e64 v48, s[8:9], v48, v5, s[8:9]
	v_cmp_gt_u32_e64 s[8:9], v47, v4
	v_cndmask_b32_e64 v5, v48, v5, s[8:9]
	v_cndmask_b32_e64 v48, 0, 1, s[10:11]
	v_lshlrev_b32_e32 v48, 4, v48
	v_cndmask_b32_e64 v9, v37, v9, s[8:9]
	v_add_lshl_u32 v48, v48, v21, 2
	ds_bpermute_b32 v50, v48, v9
	v_cndmask_b32_e64 v36, v37, v36, s[8:9]
	ds_bpermute_b32 v37, v48, v5
	v_cmp_gt_u32_e64 s[10:11], 32, v40
	v_add_u32_e32 v49, 16, v40
	s_waitcnt lgkmcnt(1)
	v_add_co_u32_e64 v52, s[8:9], v50, v36
	s_waitcnt lgkmcnt(0)
	v_addc_co_u32_e64 v37, s[8:9], v37, v5, s[8:9]
	v_cndmask_b32_e64 v50, 0, 1, s[10:11]
	v_cmp_gt_u32_e64 s[8:9], v49, v4
	v_lshlrev_b32_e32 v50, 5, v50
	v_cndmask_b32_e64 v9, v52, v9, s[8:9]
	v_add_lshl_u32 v50, v50, v21, 2
	v_cndmask_b32_e64 v5, v37, v5, s[8:9]
	ds_bpermute_b32 v9, v50, v9
	ds_bpermute_b32 v37, v50, v5
	v_add_u32_e32 v51, 32, v40
	v_cndmask_b32_e64 v36, v52, v36, s[8:9]
	v_cmp_le_u32_e64 s[8:9], v51, v4
	s_waitcnt lgkmcnt(1)
	v_cndmask_b32_e64 v9, 0, v9, s[8:9]
	s_waitcnt lgkmcnt(0)
	v_cndmask_b32_e64 v4, 0, v37, s[8:9]
	v_add_co_u32_e64 v9, s[8:9], v9, v36
	v_addc_co_u32_e64 v4, s[8:9], v4, v5, s[8:9]
	v_mov_b32_e32 v33, 0
	v_cndmask_b32_e32 v7, v7, v4, vcc
	v_cndmask_b32_e32 v6, v6, v9, vcc
	s_branch .LBB221_54
.LBB221_53:                             ;   in Loop: Header=BB221_54 Depth=1
	s_or_b64 exec, exec, s[8:9]
	v_cmp_eq_u16_sdwa s[8:9], v8, v39 src0_sel:BYTE_0 src1_sel:DWORD
	v_and_b32_e32 v9, s9, v35
	v_or_b32_e32 v9, 0x80000000, v9
	ds_bpermute_b32 v37, v41, v6
	v_and_b32_e32 v36, s8, v34
	v_ffbl_b32_e32 v9, v9
	v_add_u32_e32 v9, 32, v9
	v_ffbl_b32_e32 v36, v36
	v_min_u32_e32 v9, v36, v9
	ds_bpermute_b32 v36, v41, v7
	s_waitcnt lgkmcnt(1)
	v_add_co_u32_e32 v37, vcc, v6, v37
	v_addc_co_u32_e32 v52, vcc, 0, v7, vcc
	v_add_co_u32_e32 v53, vcc, 0, v37
	s_waitcnt lgkmcnt(0)
	v_addc_co_u32_e32 v36, vcc, v36, v52, vcc
	v_cmp_lt_u32_e32 vcc, v40, v9
	v_cndmask_b32_e32 v37, v6, v37, vcc
	ds_bpermute_b32 v52, v42, v37
	v_cndmask_b32_e32 v36, v7, v36, vcc
	ds_bpermute_b32 v54, v42, v36
	v_cndmask_b32_e32 v53, v6, v53, vcc
	v_subrev_u32_e32 v32, 64, v32
	s_waitcnt lgkmcnt(1)
	v_add_co_u32_e64 v52, s[8:9], v52, v53
	s_waitcnt lgkmcnt(0)
	v_addc_co_u32_e64 v54, s[8:9], v54, v36, s[8:9]
	v_cmp_gt_u32_e64 s[8:9], v43, v9
	v_cndmask_b32_e64 v37, v52, v37, s[8:9]
	ds_bpermute_b32 v55, v44, v37
	v_cndmask_b32_e64 v36, v54, v36, s[8:9]
	ds_bpermute_b32 v54, v44, v36
	v_cndmask_b32_e64 v52, v52, v53, s[8:9]
	s_waitcnt lgkmcnt(1)
	v_add_co_u32_e64 v53, s[8:9], v55, v52
	s_waitcnt lgkmcnt(0)
	v_addc_co_u32_e64 v54, s[8:9], v54, v36, s[8:9]
	v_cmp_gt_u32_e64 s[8:9], v45, v9
	v_cndmask_b32_e64 v37, v53, v37, s[8:9]
	ds_bpermute_b32 v55, v46, v37
	v_cndmask_b32_e64 v36, v54, v36, s[8:9]
	ds_bpermute_b32 v54, v46, v36
	v_cndmask_b32_e64 v52, v53, v52, s[8:9]
	;; [unrolled: 10-line block ×3, first 2 shown]
	s_waitcnt lgkmcnt(1)
	v_add_co_u32_e64 v53, s[8:9], v55, v52
	s_waitcnt lgkmcnt(0)
	v_addc_co_u32_e64 v54, s[8:9], v54, v36, s[8:9]
	v_cmp_gt_u32_e64 s[8:9], v49, v9
	v_cndmask_b32_e64 v37, v53, v37, s[8:9]
	v_cndmask_b32_e64 v36, v54, v36, s[8:9]
	ds_bpermute_b32 v37, v50, v37
	ds_bpermute_b32 v54, v50, v36
	v_cndmask_b32_e64 v52, v53, v52, s[8:9]
	v_cmp_le_u32_e64 s[8:9], v51, v9
	s_waitcnt lgkmcnt(1)
	v_cndmask_b32_e64 v37, 0, v37, s[8:9]
	s_waitcnt lgkmcnt(0)
	v_cndmask_b32_e64 v9, 0, v54, s[8:9]
	v_add_co_u32_e64 v37, s[8:9], v37, v52
	v_addc_co_u32_e64 v9, s[8:9], v9, v36, s[8:9]
	v_cndmask_b32_e32 v6, v6, v37, vcc
	v_cndmask_b32_e32 v7, v7, v9, vcc
	v_add_co_u32_e32 v6, vcc, v6, v4
	v_addc_co_u32_e32 v7, vcc, v7, v5, vcc
.LBB221_54:                             ; =>This Loop Header: Depth=1
                                        ;     Child Loop BB221_57 Depth 2
	v_cmp_ne_u16_sdwa s[8:9], v8, v39 src0_sel:BYTE_0 src1_sel:DWORD
	v_cndmask_b32_e64 v4, 0, 1, s[8:9]
	;;#ASMSTART
	;;#ASMEND
	v_cmp_ne_u32_e32 vcc, 0, v4
	s_cmp_lg_u64 vcc, exec
	v_pk_mov_b32 v[4:5], v[6:7], v[6:7] op_sel:[0,1]
	s_cbranch_scc1 .LBB221_59
; %bb.55:                               ;   in Loop: Header=BB221_54 Depth=1
	v_lshlrev_b64 v[6:7], 4, v[32:33]
	v_mov_b32_e32 v8, s25
	v_add_co_u32_e32 v36, vcc, s24, v6
	v_addc_co_u32_e32 v37, vcc, v8, v7, vcc
	;;#ASMSTART
	global_load_dwordx4 v[6:9], v[36:37] off glc	
s_waitcnt vmcnt(0)
	;;#ASMEND
	v_and_b32_e32 v9, 0xff, v7
	v_and_b32_e32 v52, 0xff00, v7
	v_or3_b32 v9, 0, v9, v52
	v_or3_b32 v6, v6, 0, 0
	v_and_b32_e32 v52, 0xff000000, v7
	v_and_b32_e32 v7, 0xff0000, v7
	v_or3_b32 v7, v9, v7, v52
	v_or3_b32 v6, v6, 0, 0
	v_cmp_eq_u16_sdwa s[10:11], v8, v33 src0_sel:BYTE_0 src1_sel:DWORD
	s_and_saveexec_b64 s[8:9], s[10:11]
	s_cbranch_execz .LBB221_53
; %bb.56:                               ;   in Loop: Header=BB221_54 Depth=1
	s_mov_b64 s[10:11], 0
.LBB221_57:                             ;   Parent Loop BB221_54 Depth=1
                                        ; =>  This Inner Loop Header: Depth=2
	;;#ASMSTART
	global_load_dwordx4 v[6:9], v[36:37] off glc	
s_waitcnt vmcnt(0)
	;;#ASMEND
	v_cmp_ne_u16_sdwa s[26:27], v8, v33 src0_sel:BYTE_0 src1_sel:DWORD
	s_or_b64 s[10:11], s[26:27], s[10:11]
	s_andn2_b64 exec, exec, s[10:11]
	s_cbranch_execnz .LBB221_57
; %bb.58:                               ;   in Loop: Header=BB221_54 Depth=1
	s_or_b64 exec, exec, s[10:11]
	s_branch .LBB221_53
.LBB221_59:                             ;   in Loop: Header=BB221_54 Depth=1
                                        ; implicit-def: $vgpr6_vgpr7
                                        ; implicit-def: $vgpr8
	s_cbranch_execz .LBB221_54
; %bb.60:
	s_and_saveexec_b64 s[8:9], s[12:13]
	s_cbranch_execz .LBB221_62
; %bb.61:
	s_add_i32 s6, s6, 64
	s_mov_b32 s7, 0
	s_lshl_b64 s[6:7], s[6:7], 4
	s_add_u32 s6, s24, s6
	v_add_co_u32_e32 v6, vcc, v4, v2
	s_addc_u32 s7, s25, s7
	v_addc_co_u32_e32 v7, vcc, v5, v3, vcc
	v_mov_b32_e32 v8, 2
	v_mov_b32_e32 v9, 0
	v_pk_mov_b32 v[32:33], s[6:7], s[6:7] op_sel:[0,1]
	;;#ASMSTART
	global_store_dwordx4 v[32:33], v[6:9] off	
s_waitcnt vmcnt(0)
	;;#ASMEND
	ds_write_b128 v9, v[2:5] offset:7168
.LBB221_62:
	s_or_b64 exec, exec, s[8:9]
	v_cmp_eq_u32_e32 vcc, 0, v0
	s_and_b64 exec, exec, vcc
	s_cbranch_execz .LBB221_64
; %bb.63:
	v_mov_b32_e32 v2, 0
	ds_write_b64 v2, v[4:5] offset:24
.LBB221_64:
	s_or_b64 exec, exec, s[14:15]
	v_mov_b32_e32 v5, 0
	s_waitcnt lgkmcnt(0)
	s_barrier
	ds_read_b64 v[2:3], v5 offset:24
	v_cndmask_b32_e64 v1, v1, v30, s[12:13]
	v_cmp_ne_u32_e32 vcc, 0, v0
	v_cndmask_b32_e64 v4, v38, v31, s[12:13]
	v_cndmask_b32_e32 v1, 0, v1, vcc
	v_cndmask_b32_e32 v4, 0, v4, vcc
	s_waitcnt lgkmcnt(0)
	v_add_co_u32_e32 v38, vcc, v2, v1
	v_addc_co_u32_e32 v39, vcc, v3, v4, vcc
	v_add_co_u32_e32 v36, vcc, v38, v26
	v_addc_co_u32_e32 v37, vcc, 0, v39, vcc
	;; [unrolled: 2-line block ×4, first 2 shown]
	v_add_co_u32_e32 v30, vcc, v32, v20
	s_barrier
	ds_read_b128 v[4:7], v5 offset:7168
	v_addc_co_u32_e32 v31, vcc, 0, v33, vcc
	v_add_co_u32_e32 v2, vcc, v30, v18
	v_addc_co_u32_e32 v3, vcc, 0, v31, vcc
	v_add_co_u32_e32 v8, vcc, v2, v16
	v_addc_co_u32_e32 v9, vcc, 0, v3, vcc
	s_waitcnt lgkmcnt(0)
	v_readfirstlane_b32 s9, v7
	v_readfirstlane_b32 s8, v6
	s_load_dwordx2 s[6:7], s[4:5], 0x30
	s_branch .LBB221_77
.LBB221_65:
                                        ; implicit-def: $sgpr8_sgpr9
                                        ; implicit-def: $vgpr4_vgpr5
                                        ; implicit-def: $vgpr8_vgpr9
                                        ; implicit-def: $vgpr2_vgpr3
                                        ; implicit-def: $vgpr30_vgpr31
                                        ; implicit-def: $vgpr32_vgpr33
                                        ; implicit-def: $vgpr34_vgpr35
                                        ; implicit-def: $vgpr36_vgpr37
                                        ; implicit-def: $vgpr38_vgpr39
	s_load_dwordx2 s[6:7], s[4:5], 0x30
	s_cbranch_execz .LBB221_77
; %bb.66:
	v_mov_b32_dpp v1, v28 row_shr:1 row_mask:0xf bank_mask:0xf
	v_add_co_u32_e32 v1, vcc, v28, v1
	v_mov_b32_e32 v2, 0
	v_addc_co_u32_e32 v3, vcc, 0, v29, vcc
	s_nop 0
	v_mov_b32_dpp v2, v2 row_shr:1 row_mask:0xf bank_mask:0xf
	v_add_co_u32_e32 v4, vcc, 0, v1
	v_addc_co_u32_e32 v2, vcc, v2, v3, vcc
	v_cndmask_b32_e64 v1, v1, v28, s[2:3]
	v_cndmask_b32_e64 v3, v2, 0, s[2:3]
	;; [unrolled: 1-line block ×3, first 2 shown]
	v_mov_b32_dpp v5, v1 row_shr:2 row_mask:0xf bank_mask:0xf
	v_cndmask_b32_e64 v2, v2, v29, s[2:3]
	v_mov_b32_dpp v6, v3 row_shr:2 row_mask:0xf bank_mask:0xf
	v_add_co_u32_e32 v5, vcc, v5, v4
	v_addc_co_u32_e32 v6, vcc, v6, v2, vcc
	v_cndmask_b32_e64 v1, v1, v5, s[0:1]
	v_cndmask_b32_e64 v3, v3, v6, s[0:1]
	;; [unrolled: 1-line block ×3, first 2 shown]
	v_mov_b32_dpp v5, v1 row_shr:4 row_mask:0xf bank_mask:0xf
	v_cndmask_b32_e64 v2, v2, v6, s[0:1]
	v_mov_b32_dpp v6, v3 row_shr:4 row_mask:0xf bank_mask:0xf
	v_add_co_u32_e32 v5, vcc, v5, v4
	v_addc_co_u32_e32 v6, vcc, v6, v2, vcc
	v_cmp_lt_u32_e32 vcc, 3, v27
	v_cndmask_b32_e32 v1, v1, v5, vcc
	v_cndmask_b32_e32 v3, v3, v6, vcc
	v_cndmask_b32_e32 v4, v4, v5, vcc
	v_mov_b32_dpp v5, v1 row_shr:8 row_mask:0xf bank_mask:0xf
	v_cndmask_b32_e32 v2, v2, v6, vcc
	v_mov_b32_dpp v6, v3 row_shr:8 row_mask:0xf bank_mask:0xf
	v_add_co_u32_e32 v5, vcc, v5, v4
	v_addc_co_u32_e32 v6, vcc, v6, v2, vcc
	v_cmp_lt_u32_e32 vcc, 7, v27
	v_cndmask_b32_e32 v8, v1, v5, vcc
	v_cndmask_b32_e32 v7, v3, v6, vcc
	;; [unrolled: 1-line block ×4, first 2 shown]
	v_mov_b32_dpp v3, v8 row_bcast:15 row_mask:0xf bank_mask:0xf
	v_mov_b32_dpp v4, v7 row_bcast:15 row_mask:0xf bank_mask:0xf
	v_add_co_u32_e32 v3, vcc, v3, v2
	v_addc_co_u32_e32 v5, vcc, v4, v1, vcc
	v_cmp_eq_u32_e64 s[0:1], 0, v25
	v_cndmask_b32_e64 v6, v5, v7, s[0:1]
	v_cndmask_b32_e64 v4, v3, v8, s[0:1]
	v_cmp_eq_u32_e32 vcc, 0, v21
	v_mov_b32_dpp v6, v6 row_bcast:31 row_mask:0xf bank_mask:0xf
	v_mov_b32_dpp v4, v4 row_bcast:31 row_mask:0xf bank_mask:0xf
	v_cmp_ne_u32_e64 s[2:3], 0, v21
	s_and_saveexec_b64 s[4:5], s[2:3]
; %bb.67:
	v_cndmask_b32_e64 v1, v5, v1, s[0:1]
	v_cndmask_b32_e64 v2, v3, v2, s[0:1]
	v_cmp_lt_u32_e64 s[0:1], 31, v21
	v_cndmask_b32_e64 v4, 0, v4, s[0:1]
	v_cndmask_b32_e64 v3, 0, v6, s[0:1]
	v_add_co_u32_e64 v28, s[0:1], v4, v2
	v_addc_co_u32_e64 v29, s[0:1], v3, v1, s[0:1]
; %bb.68:
	s_or_b64 exec, exec, s[4:5]
	v_or_b32_e32 v2, 63, v0
	v_lshrrev_b32_e32 v1, 6, v0
	v_cmp_eq_u32_e64 s[0:1], v2, v0
	s_and_saveexec_b64 s[2:3], s[0:1]
	s_cbranch_execz .LBB221_70
; %bb.69:
	v_lshlrev_b32_e32 v2, 3, v1
	ds_write_b64 v2, v[28:29]
.LBB221_70:
	s_or_b64 exec, exec, s[2:3]
	v_cmp_gt_u32_e64 s[0:1], 4, v0
	s_waitcnt lgkmcnt(0)
	s_barrier
	s_and_saveexec_b64 s[4:5], s[0:1]
	s_cbranch_execz .LBB221_72
; %bb.71:
	v_add_u32_e32 v4, v23, v0
	ds_read_b64 v[2:3], v4
	v_and_b32_e32 v5, 3, v21
	v_cmp_ne_u32_e64 s[2:3], 1, v5
	s_waitcnt lgkmcnt(0)
	v_mov_b32_dpp v6, v2 row_shr:1 row_mask:0xf bank_mask:0xf
	v_add_co_u32_e64 v6, s[0:1], v2, v6
	v_addc_co_u32_e64 v8, s[0:1], 0, v3, s[0:1]
	v_mov_b32_dpp v7, v3 row_shr:1 row_mask:0xf bank_mask:0xf
	v_add_co_u32_e64 v9, s[0:1], 0, v6
	v_addc_co_u32_e64 v7, s[0:1], v7, v8, s[0:1]
	v_cmp_eq_u32_e64 s[0:1], 0, v5
	v_cndmask_b32_e64 v6, v6, v2, s[0:1]
	v_cndmask_b32_e64 v8, v7, v3, s[0:1]
	s_nop 0
	v_mov_b32_dpp v6, v6 row_shr:2 row_mask:0xf bank_mask:0xf
	v_mov_b32_dpp v8, v8 row_shr:2 row_mask:0xf bank_mask:0xf
	v_cndmask_b32_e64 v5, 0, v6, s[2:3]
	v_cndmask_b32_e64 v6, 0, v8, s[2:3]
	v_add_co_u32_e64 v5, s[2:3], v5, v9
	v_addc_co_u32_e64 v6, s[2:3], v6, v7, s[2:3]
	v_cndmask_b32_e64 v3, v6, v3, s[0:1]
	v_cndmask_b32_e64 v2, v5, v2, s[0:1]
	ds_write_b64 v4, v[2:3]
.LBB221_72:
	s_or_b64 exec, exec, s[4:5]
	v_cmp_lt_u32_e64 s[0:1], 63, v0
	v_pk_mov_b32 v[2:3], 0, 0
	s_waitcnt lgkmcnt(0)
	s_barrier
	s_and_saveexec_b64 s[2:3], s[0:1]
	s_cbranch_execz .LBB221_74
; %bb.73:
	v_lshl_add_u32 v1, v1, 3, -8
	ds_read_b64 v[2:3], v1
.LBB221_74:
	s_or_b64 exec, exec, s[2:3]
	s_waitcnt lgkmcnt(0)
	v_add_co_u32_e64 v1, s[0:1], v2, v28
	v_addc_co_u32_e64 v4, s[0:1], v3, v29, s[0:1]
	v_add_u32_e32 v5, -1, v21
	v_and_b32_e32 v6, 64, v21
	v_cmp_lt_i32_e64 s[0:1], v5, v6
	v_cndmask_b32_e64 v5, v5, v21, s[0:1]
	v_lshlrev_b32_e32 v5, 2, v5
	v_mov_b32_e32 v7, 0
	ds_bpermute_b32 v1, v5, v1
	ds_bpermute_b32 v8, v5, v4
	ds_read_b64 v[4:5], v7 offset:24
	v_cmp_eq_u32_e64 s[0:1], 0, v0
	s_and_saveexec_b64 s[2:3], s[0:1]
	s_cbranch_execz .LBB221_76
; %bb.75:
	s_add_u32 s4, s24, 0x400
	s_addc_u32 s5, s25, 0
	v_mov_b32_e32 v6, 2
	v_pk_mov_b32 v[28:29], s[4:5], s[4:5] op_sel:[0,1]
	s_waitcnt lgkmcnt(0)
	;;#ASMSTART
	global_store_dwordx4 v[28:29], v[4:7] off	
s_waitcnt vmcnt(0)
	;;#ASMEND
.LBB221_76:
	s_or_b64 exec, exec, s[2:3]
	s_waitcnt lgkmcnt(2)
	v_cndmask_b32_e32 v1, v1, v2, vcc
	s_waitcnt lgkmcnt(1)
	v_cndmask_b32_e32 v2, v8, v3, vcc
	v_cndmask_b32_e64 v38, v1, 0, s[0:1]
	v_cndmask_b32_e64 v39, v2, 0, s[0:1]
	v_add_co_u32_e32 v36, vcc, v38, v26
	v_addc_co_u32_e32 v37, vcc, 0, v39, vcc
	v_add_co_u32_e32 v34, vcc, v36, v24
	v_addc_co_u32_e32 v35, vcc, 0, v37, vcc
	;; [unrolled: 2-line block ×6, first 2 shown]
	s_waitcnt lgkmcnt(0)
	s_barrier
	s_mov_b64 s[8:9], 0
.LBB221_77:
	s_mov_b64 s[0:1], 0x101
	v_cmp_gt_u64_e32 vcc, s[0:1], v[4:5]
	s_mov_b64 s[0:1], -1
	s_cbranch_vccnz .LBB221_81
; %bb.78:
	s_and_b64 vcc, exec, s[0:1]
	s_cbranch_vccnz .LBB221_103
.LBB221_79:
	v_cmp_eq_u32_e32 vcc, 0, v0
	s_and_b64 s[0:1], vcc, s[20:21]
	s_and_saveexec_b64 s[2:3], s[0:1]
	s_cbranch_execnz .LBB221_122
.LBB221_80:
	s_endpgm
.LBB221_81:
	v_mov_b32_e32 v1, s9
	v_add_co_u32_e32 v6, vcc, s8, v4
	v_addc_co_u32_e32 v7, vcc, v1, v5, vcc
	s_lshl_b64 s[0:1], s[18:19], 2
	s_waitcnt lgkmcnt(0)
	s_add_u32 s2, s6, s0
	v_cmp_lt_u64_e32 vcc, v[38:39], v[6:7]
	s_addc_u32 s3, s7, s1
	s_or_b64 s[4:5], s[22:23], vcc
	s_and_saveexec_b64 s[0:1], s[4:5]
	s_cbranch_execz .LBB221_84
; %bb.82:
	v_cmp_eq_u32_e32 vcc, 1, v26
	s_and_b64 exec, exec, vcc
	s_cbranch_execz .LBB221_84
; %bb.83:
	v_lshlrev_b64 v[28:29], 2, v[38:39]
	v_mov_b32_e32 v1, s3
	v_add_co_u32_e32 v28, vcc, s2, v28
	v_addc_co_u32_e32 v29, vcc, v1, v29, vcc
	global_store_dword v[28:29], v14, off
.LBB221_84:
	s_or_b64 exec, exec, s[0:1]
	v_cmp_lt_u64_e32 vcc, v[36:37], v[6:7]
	s_or_b64 s[4:5], s[22:23], vcc
	s_and_saveexec_b64 s[0:1], s[4:5]
	s_cbranch_execz .LBB221_87
; %bb.85:
	v_cmp_eq_u32_e32 vcc, 1, v24
	s_and_b64 exec, exec, vcc
	s_cbranch_execz .LBB221_87
; %bb.86:
	v_lshlrev_b64 v[28:29], 2, v[36:37]
	v_mov_b32_e32 v1, s3
	v_add_co_u32_e32 v28, vcc, s2, v28
	v_addc_co_u32_e32 v29, vcc, v1, v29, vcc
	global_store_dword v[28:29], v15, off
.LBB221_87:
	s_or_b64 exec, exec, s[0:1]
	v_cmp_lt_u64_e32 vcc, v[34:35], v[6:7]
	s_or_b64 s[4:5], s[22:23], vcc
	s_and_saveexec_b64 s[0:1], s[4:5]
	s_cbranch_execz .LBB221_90
; %bb.88:
	v_cmp_eq_u32_e32 vcc, 1, v22
	s_and_b64 exec, exec, vcc
	s_cbranch_execz .LBB221_90
; %bb.89:
	v_lshlrev_b64 v[28:29], 2, v[34:35]
	v_mov_b32_e32 v1, s3
	v_add_co_u32_e32 v28, vcc, s2, v28
	v_addc_co_u32_e32 v29, vcc, v1, v29, vcc
	global_store_dword v[28:29], v12, off
.LBB221_90:
	s_or_b64 exec, exec, s[0:1]
	v_cmp_lt_u64_e32 vcc, v[32:33], v[6:7]
	s_or_b64 s[4:5], s[22:23], vcc
	s_and_saveexec_b64 s[0:1], s[4:5]
	s_cbranch_execz .LBB221_93
; %bb.91:
	v_cmp_eq_u32_e32 vcc, 1, v20
	s_and_b64 exec, exec, vcc
	s_cbranch_execz .LBB221_93
; %bb.92:
	v_lshlrev_b64 v[28:29], 2, v[32:33]
	v_mov_b32_e32 v1, s3
	v_add_co_u32_e32 v28, vcc, s2, v28
	v_addc_co_u32_e32 v29, vcc, v1, v29, vcc
	global_store_dword v[28:29], v13, off
.LBB221_93:
	s_or_b64 exec, exec, s[0:1]
	v_cmp_lt_u64_e32 vcc, v[30:31], v[6:7]
	s_or_b64 s[4:5], s[22:23], vcc
	s_and_saveexec_b64 s[0:1], s[4:5]
	s_cbranch_execz .LBB221_96
; %bb.94:
	v_cmp_eq_u32_e32 vcc, 1, v18
	s_and_b64 exec, exec, vcc
	s_cbranch_execz .LBB221_96
; %bb.95:
	v_lshlrev_b64 v[28:29], 2, v[30:31]
	v_mov_b32_e32 v1, s3
	v_add_co_u32_e32 v28, vcc, s2, v28
	v_addc_co_u32_e32 v29, vcc, v1, v29, vcc
	global_store_dword v[28:29], v10, off
.LBB221_96:
	s_or_b64 exec, exec, s[0:1]
	v_cmp_lt_u64_e32 vcc, v[2:3], v[6:7]
	s_or_b64 s[4:5], s[22:23], vcc
	s_and_saveexec_b64 s[0:1], s[4:5]
	s_cbranch_execz .LBB221_99
; %bb.97:
	v_cmp_eq_u32_e32 vcc, 1, v16
	s_and_b64 exec, exec, vcc
	s_cbranch_execz .LBB221_99
; %bb.98:
	v_lshlrev_b64 v[28:29], 2, v[2:3]
	v_mov_b32_e32 v1, s3
	v_add_co_u32_e32 v28, vcc, s2, v28
	v_addc_co_u32_e32 v29, vcc, v1, v29, vcc
	global_store_dword v[28:29], v11, off
.LBB221_99:
	s_or_b64 exec, exec, s[0:1]
	v_cmp_lt_u64_e32 vcc, v[8:9], v[6:7]
	s_or_b64 s[4:5], s[22:23], vcc
	s_and_saveexec_b64 s[0:1], s[4:5]
	s_cbranch_execz .LBB221_102
; %bb.100:
	v_cmp_eq_u32_e32 vcc, 1, v19
	s_and_b64 exec, exec, vcc
	s_cbranch_execz .LBB221_102
; %bb.101:
	v_lshlrev_b64 v[6:7], 2, v[8:9]
	v_mov_b32_e32 v1, s3
	v_add_co_u32_e32 v6, vcc, s2, v6
	v_addc_co_u32_e32 v7, vcc, v1, v7, vcc
	global_store_dword v[6:7], v17, off
.LBB221_102:
	s_or_b64 exec, exec, s[0:1]
	s_branch .LBB221_79
.LBB221_103:
	v_cmp_eq_u32_e32 vcc, 1, v26
	s_and_saveexec_b64 s[0:1], vcc
	s_cbranch_execnz .LBB221_123
; %bb.104:
	s_or_b64 exec, exec, s[0:1]
	v_cmp_eq_u32_e32 vcc, 1, v24
	s_and_saveexec_b64 s[0:1], vcc
	s_cbranch_execnz .LBB221_124
.LBB221_105:
	s_or_b64 exec, exec, s[0:1]
	v_cmp_eq_u32_e32 vcc, 1, v22
	s_and_saveexec_b64 s[0:1], vcc
	s_cbranch_execnz .LBB221_125
.LBB221_106:
	s_or_b64 exec, exec, s[0:1]
	v_cmp_eq_u32_e32 vcc, 1, v20
	s_and_saveexec_b64 s[0:1], vcc
	s_cbranch_execnz .LBB221_126
.LBB221_107:
	s_or_b64 exec, exec, s[0:1]
	v_cmp_eq_u32_e32 vcc, 1, v18
	s_and_saveexec_b64 s[0:1], vcc
	s_cbranch_execnz .LBB221_127
.LBB221_108:
	s_or_b64 exec, exec, s[0:1]
	v_cmp_eq_u32_e32 vcc, 1, v16
	s_and_saveexec_b64 s[0:1], vcc
	s_cbranch_execnz .LBB221_128
.LBB221_109:
	s_or_b64 exec, exec, s[0:1]
	v_cmp_eq_u32_e32 vcc, 1, v19
	s_and_saveexec_b64 s[0:1], vcc
	s_cbranch_execz .LBB221_111
.LBB221_110:
	v_subrev_u32_e32 v1, s8, v8
	v_lshlrev_b32_e32 v1, 2, v1
	ds_write_b32 v1, v17
.LBB221_111:
	s_or_b64 exec, exec, s[0:1]
	v_mov_b32_e32 v1, 0
	v_cmp_gt_u64_e32 vcc, v[4:5], v[0:1]
	s_waitcnt lgkmcnt(0)
	s_barrier
	s_and_saveexec_b64 s[10:11], vcc
	s_cbranch_execz .LBB221_121
; %bb.112:
	v_not_b32_e32 v3, v0
	v_not_b32_e32 v2, 0
	v_add_co_u32_e32 v6, vcc, v4, v3
	v_addc_co_u32_e32 v7, vcc, v5, v2, vcc
	s_mov_b64 s[0:1], 0x2f00
	s_mov_b64 s[2:3], 0x2eff
	v_cmp_gt_u64_e64 s[0:1], s[0:1], v[6:7]
	v_cmp_lt_u64_e32 vcc, s[2:3], v[6:7]
	v_mov_b32_e32 v8, v0
	v_pk_mov_b32 v[2:3], v[0:1], v[0:1] op_sel:[0,1]
	s_and_saveexec_b64 s[12:13], vcc
	s_cbranch_execz .LBB221_118
; %bb.113:
	v_alignbit_b32 v2, v7, v6, 8
	s_mov_b32 s2, 0xffffff
	s_mov_b32 s4, -1
	v_lshlrev_b32_e32 v3, 8, v2
	v_cmp_lt_u32_e32 vcc, s2, v2
	v_not_b32_e32 v2, v0
	s_movk_i32 s5, 0xff
	v_cmp_gt_u32_e64 s[2:3], v3, v2
	v_xor_b32_e32 v2, 0xfffffeff, v0
	v_cmp_lt_u64_e64 s[4:5], s[4:5], v[6:7]
	s_or_b64 s[14:15], s[2:3], vcc
	v_cmp_lt_u32_e64 s[2:3], v2, v3
	s_or_b64 s[4:5], vcc, s[4:5]
	s_or_b64 s[2:3], s[4:5], s[2:3]
	s_or_b64 s[4:5], s[14:15], s[2:3]
	s_mov_b64 s[2:3], -1
	s_xor_b64 s[14:15], s[4:5], -1
	v_mov_b32_e32 v8, v0
	v_pk_mov_b32 v[2:3], v[0:1], v[0:1] op_sel:[0,1]
	s_and_saveexec_b64 s[4:5], s[14:15]
	s_cbranch_execz .LBB221_117
; %bb.114:
	s_lshl_b64 s[2:3], s[8:9], 2
	s_lshl_b64 s[14:15], s[18:19], 2
	s_add_u32 s2, s2, s14
	v_lshrrev_b64 v[2:3], 8, v[6:7]
	s_addc_u32 s3, s3, s15
	v_add_co_u32_e32 v10, vcc, 1, v2
	s_add_u32 s2, s6, s2
	v_addc_co_u32_e32 v11, vcc, 0, v3, vcc
	v_lshlrev_b32_e32 v6, 2, v0
	s_addc_u32 s3, s7, s3
	v_mov_b32_e32 v7, s3
	v_add_co_u32_e32 v6, vcc, s2, v6
	v_addc_co_u32_e32 v7, vcc, 0, v7, vcc
	s_movk_i32 s2, 0x400
	v_or_b32_e32 v2, 0x100, v0
	v_mov_b32_e32 v3, v1
	v_add_co_u32_e32 v14, vcc, s2, v6
	v_and_b32_e32 v12, -2, v10
	v_mov_b32_e32 v13, v11
	v_addc_co_u32_e32 v15, vcc, 0, v7, vcc
	v_pk_mov_b32 v[8:9], v[2:3], v[2:3] op_sel:[0,1]
	s_mov_b64 s[14:15], 0
	v_pk_mov_b32 v[16:17], v[12:13], v[12:13] op_sel:[0,1]
	v_pk_mov_b32 v[6:7], v[0:1], v[0:1] op_sel:[0,1]
.LBB221_115:                            ; =>This Inner Loop Header: Depth=1
	v_lshlrev_b32_e32 v1, 2, v6
	v_lshlrev_b32_e32 v2, 2, v8
	ds_read_b32 v1, v1
	ds_read_b32 v2, v2
	v_add_co_u32_e32 v8, vcc, 0x200, v8
	v_addc_co_u32_e32 v9, vcc, 0, v9, vcc
	v_add_co_u32_e64 v16, s[2:3], -2, v16
	v_add_co_u32_e32 v6, vcc, 0x200, v6
	v_addc_co_u32_e64 v17, s[2:3], -1, v17, s[2:3]
	v_addc_co_u32_e32 v7, vcc, 0, v7, vcc
	v_cmp_eq_u64_e64 s[2:3], 0, v[16:17]
	s_waitcnt lgkmcnt(1)
	global_store_dword v[14:15], v1, off offset:-1024
	s_waitcnt lgkmcnt(0)
	global_store_dword v[14:15], v2, off
	v_add_co_u32_e32 v14, vcc, 0x800, v14
	s_or_b64 s[14:15], s[2:3], s[14:15]
	v_addc_co_u32_e32 v15, vcc, 0, v15, vcc
	s_andn2_b64 exec, exec, s[14:15]
	s_cbranch_execnz .LBB221_115
; %bb.116:
	s_or_b64 exec, exec, s[14:15]
	v_lshlrev_b64 v[2:3], 8, v[12:13]
	v_cmp_ne_u64_e32 vcc, v[10:11], v[12:13]
	v_or_b32_e32 v3, 0, v3
	v_or_b32_e32 v2, v2, v0
	v_lshl_or_b32 v8, v12, 8, v0
	s_orn2_b64 s[2:3], vcc, exec
.LBB221_117:
	s_or_b64 exec, exec, s[4:5]
	s_andn2_b64 s[0:1], s[0:1], exec
	s_and_b64 s[2:3], s[2:3], exec
	s_or_b64 s[0:1], s[0:1], s[2:3]
.LBB221_118:
	s_or_b64 exec, exec, s[12:13]
	s_and_b64 exec, exec, s[0:1]
	s_cbranch_execz .LBB221_121
; %bb.119:
	s_lshl_b64 s[0:1], s[8:9], 2
	s_add_u32 s2, s6, s0
	s_addc_u32 s3, s7, s1
	s_lshl_b64 s[0:1], s[18:19], 2
	s_add_u32 s4, s2, s0
	s_addc_u32 s0, s3, s1
	v_add_u32_e32 v6, 0x100, v8
	s_mov_b64 s[2:3], 0
	v_mov_b32_e32 v1, s0
	v_mov_b32_e32 v7, 0
.LBB221_120:                            ; =>This Inner Loop Header: Depth=1
	v_lshlrev_b32_e32 v10, 2, v2
	ds_read_b32 v10, v10
	v_lshlrev_b64 v[8:9], 2, v[2:3]
	v_cmp_le_u64_e32 vcc, v[4:5], v[6:7]
	v_add_co_u32_e64 v8, s[0:1], s4, v8
	v_pk_mov_b32 v[2:3], v[6:7], v[6:7] op_sel:[0,1]
	v_add_u32_e32 v6, 0x100, v6
	v_addc_co_u32_e64 v9, s[0:1], v1, v9, s[0:1]
	s_or_b64 s[2:3], vcc, s[2:3]
	s_waitcnt lgkmcnt(0)
	global_store_dword v[8:9], v10, off
	s_andn2_b64 exec, exec, s[2:3]
	s_cbranch_execnz .LBB221_120
.LBB221_121:
	s_or_b64 exec, exec, s[10:11]
	v_cmp_eq_u32_e32 vcc, 0, v0
	s_and_b64 s[0:1], vcc, s[20:21]
	s_and_saveexec_b64 s[2:3], s[0:1]
	s_cbranch_execz .LBB221_80
.LBB221_122:
	v_mov_b32_e32 v0, s9
	v_add_co_u32_e32 v1, vcc, s8, v4
	v_addc_co_u32_e32 v3, vcc, v0, v5, vcc
	v_mov_b32_e32 v4, s19
	v_add_co_u32_e32 v0, vcc, s18, v1
	v_mov_b32_e32 v2, 0
	v_addc_co_u32_e32 v1, vcc, v3, v4, vcc
	global_store_dwordx2 v2, v[0:1], s[16:17]
	s_endpgm
.LBB221_123:
	v_subrev_u32_e32 v1, s8, v38
	v_lshlrev_b32_e32 v1, 2, v1
	ds_write_b32 v1, v14
	s_or_b64 exec, exec, s[0:1]
	v_cmp_eq_u32_e32 vcc, 1, v24
	s_and_saveexec_b64 s[0:1], vcc
	s_cbranch_execz .LBB221_105
.LBB221_124:
	v_subrev_u32_e32 v1, s8, v36
	v_lshlrev_b32_e32 v1, 2, v1
	ds_write_b32 v1, v15
	s_or_b64 exec, exec, s[0:1]
	v_cmp_eq_u32_e32 vcc, 1, v22
	s_and_saveexec_b64 s[0:1], vcc
	s_cbranch_execz .LBB221_106
.LBB221_125:
	v_subrev_u32_e32 v1, s8, v34
	v_lshlrev_b32_e32 v1, 2, v1
	ds_write_b32 v1, v12
	s_or_b64 exec, exec, s[0:1]
	v_cmp_eq_u32_e32 vcc, 1, v20
	s_and_saveexec_b64 s[0:1], vcc
	s_cbranch_execz .LBB221_107
.LBB221_126:
	v_subrev_u32_e32 v1, s8, v32
	v_lshlrev_b32_e32 v1, 2, v1
	ds_write_b32 v1, v13
	s_or_b64 exec, exec, s[0:1]
	v_cmp_eq_u32_e32 vcc, 1, v18
	s_and_saveexec_b64 s[0:1], vcc
	s_cbranch_execz .LBB221_108
.LBB221_127:
	v_subrev_u32_e32 v1, s8, v30
	v_lshlrev_b32_e32 v1, 2, v1
	ds_write_b32 v1, v10
	s_or_b64 exec, exec, s[0:1]
	v_cmp_eq_u32_e32 vcc, 1, v16
	s_and_saveexec_b64 s[0:1], vcc
	s_cbranch_execz .LBB221_109
.LBB221_128:
	v_subrev_u32_e32 v1, s8, v2
	v_lshlrev_b32_e32 v1, 2, v1
	ds_write_b32 v1, v11
	s_or_b64 exec, exec, s[0:1]
	v_cmp_eq_u32_e32 vcc, 1, v19
	s_and_saveexec_b64 s[0:1], vcc
	s_cbranch_execnz .LBB221_110
	s_branch .LBB221_111
	.section	.rodata,"a",@progbits
	.p2align	6, 0x0
	.amdhsa_kernel _ZN7rocprim17ROCPRIM_400000_NS6detail17trampoline_kernelINS0_14default_configENS1_25partition_config_selectorILNS1_17partition_subalgoE5EiNS0_10empty_typeEbEEZZNS1_14partition_implILS5_5ELb0ES3_mPiPS6_N6thrust23THRUST_200600_302600_NS18transform_iteratorINSC_6detail9not_fun_tIN6dUtils10isMinusOneIiEEEES9_NSC_11use_defaultESK_EENS0_5tupleIJS9_S6_EEENSM_IJSA_SA_EEES6_PlJS6_EEE10hipError_tPvRmT3_T4_T5_T6_T7_T9_mT8_P12ihipStream_tbDpT10_ENKUlT_T0_E_clISt17integral_constantIbLb0EES19_EEDaS14_S15_EUlS14_E_NS1_11comp_targetILNS1_3genE4ELNS1_11target_archE910ELNS1_3gpuE8ELNS1_3repE0EEENS1_30default_config_static_selectorELNS0_4arch9wavefront6targetE1EEEvT1_
		.amdhsa_group_segment_fixed_size 7184
		.amdhsa_private_segment_fixed_size 0
		.amdhsa_kernarg_size 120
		.amdhsa_user_sgpr_count 6
		.amdhsa_user_sgpr_private_segment_buffer 1
		.amdhsa_user_sgpr_dispatch_ptr 0
		.amdhsa_user_sgpr_queue_ptr 0
		.amdhsa_user_sgpr_kernarg_segment_ptr 1
		.amdhsa_user_sgpr_dispatch_id 0
		.amdhsa_user_sgpr_flat_scratch_init 0
		.amdhsa_user_sgpr_kernarg_preload_length 0
		.amdhsa_user_sgpr_kernarg_preload_offset 0
		.amdhsa_user_sgpr_private_segment_size 0
		.amdhsa_uses_dynamic_stack 0
		.amdhsa_system_sgpr_private_segment_wavefront_offset 0
		.amdhsa_system_sgpr_workgroup_id_x 1
		.amdhsa_system_sgpr_workgroup_id_y 0
		.amdhsa_system_sgpr_workgroup_id_z 0
		.amdhsa_system_sgpr_workgroup_info 0
		.amdhsa_system_vgpr_workitem_id 0
		.amdhsa_next_free_vgpr 56
		.amdhsa_next_free_sgpr 28
		.amdhsa_accum_offset 56
		.amdhsa_reserve_vcc 1
		.amdhsa_reserve_flat_scratch 0
		.amdhsa_float_round_mode_32 0
		.amdhsa_float_round_mode_16_64 0
		.amdhsa_float_denorm_mode_32 3
		.amdhsa_float_denorm_mode_16_64 3
		.amdhsa_dx10_clamp 1
		.amdhsa_ieee_mode 1
		.amdhsa_fp16_overflow 0
		.amdhsa_tg_split 0
		.amdhsa_exception_fp_ieee_invalid_op 0
		.amdhsa_exception_fp_denorm_src 0
		.amdhsa_exception_fp_ieee_div_zero 0
		.amdhsa_exception_fp_ieee_overflow 0
		.amdhsa_exception_fp_ieee_underflow 0
		.amdhsa_exception_fp_ieee_inexact 0
		.amdhsa_exception_int_div_zero 0
	.end_amdhsa_kernel
	.section	.text._ZN7rocprim17ROCPRIM_400000_NS6detail17trampoline_kernelINS0_14default_configENS1_25partition_config_selectorILNS1_17partition_subalgoE5EiNS0_10empty_typeEbEEZZNS1_14partition_implILS5_5ELb0ES3_mPiPS6_N6thrust23THRUST_200600_302600_NS18transform_iteratorINSC_6detail9not_fun_tIN6dUtils10isMinusOneIiEEEES9_NSC_11use_defaultESK_EENS0_5tupleIJS9_S6_EEENSM_IJSA_SA_EEES6_PlJS6_EEE10hipError_tPvRmT3_T4_T5_T6_T7_T9_mT8_P12ihipStream_tbDpT10_ENKUlT_T0_E_clISt17integral_constantIbLb0EES19_EEDaS14_S15_EUlS14_E_NS1_11comp_targetILNS1_3genE4ELNS1_11target_archE910ELNS1_3gpuE8ELNS1_3repE0EEENS1_30default_config_static_selectorELNS0_4arch9wavefront6targetE1EEEvT1_,"axG",@progbits,_ZN7rocprim17ROCPRIM_400000_NS6detail17trampoline_kernelINS0_14default_configENS1_25partition_config_selectorILNS1_17partition_subalgoE5EiNS0_10empty_typeEbEEZZNS1_14partition_implILS5_5ELb0ES3_mPiPS6_N6thrust23THRUST_200600_302600_NS18transform_iteratorINSC_6detail9not_fun_tIN6dUtils10isMinusOneIiEEEES9_NSC_11use_defaultESK_EENS0_5tupleIJS9_S6_EEENSM_IJSA_SA_EEES6_PlJS6_EEE10hipError_tPvRmT3_T4_T5_T6_T7_T9_mT8_P12ihipStream_tbDpT10_ENKUlT_T0_E_clISt17integral_constantIbLb0EES19_EEDaS14_S15_EUlS14_E_NS1_11comp_targetILNS1_3genE4ELNS1_11target_archE910ELNS1_3gpuE8ELNS1_3repE0EEENS1_30default_config_static_selectorELNS0_4arch9wavefront6targetE1EEEvT1_,comdat
.Lfunc_end221:
	.size	_ZN7rocprim17ROCPRIM_400000_NS6detail17trampoline_kernelINS0_14default_configENS1_25partition_config_selectorILNS1_17partition_subalgoE5EiNS0_10empty_typeEbEEZZNS1_14partition_implILS5_5ELb0ES3_mPiPS6_N6thrust23THRUST_200600_302600_NS18transform_iteratorINSC_6detail9not_fun_tIN6dUtils10isMinusOneIiEEEES9_NSC_11use_defaultESK_EENS0_5tupleIJS9_S6_EEENSM_IJSA_SA_EEES6_PlJS6_EEE10hipError_tPvRmT3_T4_T5_T6_T7_T9_mT8_P12ihipStream_tbDpT10_ENKUlT_T0_E_clISt17integral_constantIbLb0EES19_EEDaS14_S15_EUlS14_E_NS1_11comp_targetILNS1_3genE4ELNS1_11target_archE910ELNS1_3gpuE8ELNS1_3repE0EEENS1_30default_config_static_selectorELNS0_4arch9wavefront6targetE1EEEvT1_, .Lfunc_end221-_ZN7rocprim17ROCPRIM_400000_NS6detail17trampoline_kernelINS0_14default_configENS1_25partition_config_selectorILNS1_17partition_subalgoE5EiNS0_10empty_typeEbEEZZNS1_14partition_implILS5_5ELb0ES3_mPiPS6_N6thrust23THRUST_200600_302600_NS18transform_iteratorINSC_6detail9not_fun_tIN6dUtils10isMinusOneIiEEEES9_NSC_11use_defaultESK_EENS0_5tupleIJS9_S6_EEENSM_IJSA_SA_EEES6_PlJS6_EEE10hipError_tPvRmT3_T4_T5_T6_T7_T9_mT8_P12ihipStream_tbDpT10_ENKUlT_T0_E_clISt17integral_constantIbLb0EES19_EEDaS14_S15_EUlS14_E_NS1_11comp_targetILNS1_3genE4ELNS1_11target_archE910ELNS1_3gpuE8ELNS1_3repE0EEENS1_30default_config_static_selectorELNS0_4arch9wavefront6targetE1EEEvT1_
                                        ; -- End function
	.section	.AMDGPU.csdata,"",@progbits
; Kernel info:
; codeLenInByte = 6604
; NumSgprs: 32
; NumVgprs: 56
; NumAgprs: 0
; TotalNumVgprs: 56
; ScratchSize: 0
; MemoryBound: 0
; FloatMode: 240
; IeeeMode: 1
; LDSByteSize: 7184 bytes/workgroup (compile time only)
; SGPRBlocks: 3
; VGPRBlocks: 6
; NumSGPRsForWavesPerEU: 32
; NumVGPRsForWavesPerEU: 56
; AccumOffset: 56
; Occupancy: 8
; WaveLimiterHint : 1
; COMPUTE_PGM_RSRC2:SCRATCH_EN: 0
; COMPUTE_PGM_RSRC2:USER_SGPR: 6
; COMPUTE_PGM_RSRC2:TRAP_HANDLER: 0
; COMPUTE_PGM_RSRC2:TGID_X_EN: 1
; COMPUTE_PGM_RSRC2:TGID_Y_EN: 0
; COMPUTE_PGM_RSRC2:TGID_Z_EN: 0
; COMPUTE_PGM_RSRC2:TIDIG_COMP_CNT: 0
; COMPUTE_PGM_RSRC3_GFX90A:ACCUM_OFFSET: 13
; COMPUTE_PGM_RSRC3_GFX90A:TG_SPLIT: 0
	.section	.text._ZN7rocprim17ROCPRIM_400000_NS6detail17trampoline_kernelINS0_14default_configENS1_25partition_config_selectorILNS1_17partition_subalgoE5EiNS0_10empty_typeEbEEZZNS1_14partition_implILS5_5ELb0ES3_mPiPS6_N6thrust23THRUST_200600_302600_NS18transform_iteratorINSC_6detail9not_fun_tIN6dUtils10isMinusOneIiEEEES9_NSC_11use_defaultESK_EENS0_5tupleIJS9_S6_EEENSM_IJSA_SA_EEES6_PlJS6_EEE10hipError_tPvRmT3_T4_T5_T6_T7_T9_mT8_P12ihipStream_tbDpT10_ENKUlT_T0_E_clISt17integral_constantIbLb0EES19_EEDaS14_S15_EUlS14_E_NS1_11comp_targetILNS1_3genE3ELNS1_11target_archE908ELNS1_3gpuE7ELNS1_3repE0EEENS1_30default_config_static_selectorELNS0_4arch9wavefront6targetE1EEEvT1_,"axG",@progbits,_ZN7rocprim17ROCPRIM_400000_NS6detail17trampoline_kernelINS0_14default_configENS1_25partition_config_selectorILNS1_17partition_subalgoE5EiNS0_10empty_typeEbEEZZNS1_14partition_implILS5_5ELb0ES3_mPiPS6_N6thrust23THRUST_200600_302600_NS18transform_iteratorINSC_6detail9not_fun_tIN6dUtils10isMinusOneIiEEEES9_NSC_11use_defaultESK_EENS0_5tupleIJS9_S6_EEENSM_IJSA_SA_EEES6_PlJS6_EEE10hipError_tPvRmT3_T4_T5_T6_T7_T9_mT8_P12ihipStream_tbDpT10_ENKUlT_T0_E_clISt17integral_constantIbLb0EES19_EEDaS14_S15_EUlS14_E_NS1_11comp_targetILNS1_3genE3ELNS1_11target_archE908ELNS1_3gpuE7ELNS1_3repE0EEENS1_30default_config_static_selectorELNS0_4arch9wavefront6targetE1EEEvT1_,comdat
	.protected	_ZN7rocprim17ROCPRIM_400000_NS6detail17trampoline_kernelINS0_14default_configENS1_25partition_config_selectorILNS1_17partition_subalgoE5EiNS0_10empty_typeEbEEZZNS1_14partition_implILS5_5ELb0ES3_mPiPS6_N6thrust23THRUST_200600_302600_NS18transform_iteratorINSC_6detail9not_fun_tIN6dUtils10isMinusOneIiEEEES9_NSC_11use_defaultESK_EENS0_5tupleIJS9_S6_EEENSM_IJSA_SA_EEES6_PlJS6_EEE10hipError_tPvRmT3_T4_T5_T6_T7_T9_mT8_P12ihipStream_tbDpT10_ENKUlT_T0_E_clISt17integral_constantIbLb0EES19_EEDaS14_S15_EUlS14_E_NS1_11comp_targetILNS1_3genE3ELNS1_11target_archE908ELNS1_3gpuE7ELNS1_3repE0EEENS1_30default_config_static_selectorELNS0_4arch9wavefront6targetE1EEEvT1_ ; -- Begin function _ZN7rocprim17ROCPRIM_400000_NS6detail17trampoline_kernelINS0_14default_configENS1_25partition_config_selectorILNS1_17partition_subalgoE5EiNS0_10empty_typeEbEEZZNS1_14partition_implILS5_5ELb0ES3_mPiPS6_N6thrust23THRUST_200600_302600_NS18transform_iteratorINSC_6detail9not_fun_tIN6dUtils10isMinusOneIiEEEES9_NSC_11use_defaultESK_EENS0_5tupleIJS9_S6_EEENSM_IJSA_SA_EEES6_PlJS6_EEE10hipError_tPvRmT3_T4_T5_T6_T7_T9_mT8_P12ihipStream_tbDpT10_ENKUlT_T0_E_clISt17integral_constantIbLb0EES19_EEDaS14_S15_EUlS14_E_NS1_11comp_targetILNS1_3genE3ELNS1_11target_archE908ELNS1_3gpuE7ELNS1_3repE0EEENS1_30default_config_static_selectorELNS0_4arch9wavefront6targetE1EEEvT1_
	.globl	_ZN7rocprim17ROCPRIM_400000_NS6detail17trampoline_kernelINS0_14default_configENS1_25partition_config_selectorILNS1_17partition_subalgoE5EiNS0_10empty_typeEbEEZZNS1_14partition_implILS5_5ELb0ES3_mPiPS6_N6thrust23THRUST_200600_302600_NS18transform_iteratorINSC_6detail9not_fun_tIN6dUtils10isMinusOneIiEEEES9_NSC_11use_defaultESK_EENS0_5tupleIJS9_S6_EEENSM_IJSA_SA_EEES6_PlJS6_EEE10hipError_tPvRmT3_T4_T5_T6_T7_T9_mT8_P12ihipStream_tbDpT10_ENKUlT_T0_E_clISt17integral_constantIbLb0EES19_EEDaS14_S15_EUlS14_E_NS1_11comp_targetILNS1_3genE3ELNS1_11target_archE908ELNS1_3gpuE7ELNS1_3repE0EEENS1_30default_config_static_selectorELNS0_4arch9wavefront6targetE1EEEvT1_
	.p2align	8
	.type	_ZN7rocprim17ROCPRIM_400000_NS6detail17trampoline_kernelINS0_14default_configENS1_25partition_config_selectorILNS1_17partition_subalgoE5EiNS0_10empty_typeEbEEZZNS1_14partition_implILS5_5ELb0ES3_mPiPS6_N6thrust23THRUST_200600_302600_NS18transform_iteratorINSC_6detail9not_fun_tIN6dUtils10isMinusOneIiEEEES9_NSC_11use_defaultESK_EENS0_5tupleIJS9_S6_EEENSM_IJSA_SA_EEES6_PlJS6_EEE10hipError_tPvRmT3_T4_T5_T6_T7_T9_mT8_P12ihipStream_tbDpT10_ENKUlT_T0_E_clISt17integral_constantIbLb0EES19_EEDaS14_S15_EUlS14_E_NS1_11comp_targetILNS1_3genE3ELNS1_11target_archE908ELNS1_3gpuE7ELNS1_3repE0EEENS1_30default_config_static_selectorELNS0_4arch9wavefront6targetE1EEEvT1_,@function
_ZN7rocprim17ROCPRIM_400000_NS6detail17trampoline_kernelINS0_14default_configENS1_25partition_config_selectorILNS1_17partition_subalgoE5EiNS0_10empty_typeEbEEZZNS1_14partition_implILS5_5ELb0ES3_mPiPS6_N6thrust23THRUST_200600_302600_NS18transform_iteratorINSC_6detail9not_fun_tIN6dUtils10isMinusOneIiEEEES9_NSC_11use_defaultESK_EENS0_5tupleIJS9_S6_EEENSM_IJSA_SA_EEES6_PlJS6_EEE10hipError_tPvRmT3_T4_T5_T6_T7_T9_mT8_P12ihipStream_tbDpT10_ENKUlT_T0_E_clISt17integral_constantIbLb0EES19_EEDaS14_S15_EUlS14_E_NS1_11comp_targetILNS1_3genE3ELNS1_11target_archE908ELNS1_3gpuE7ELNS1_3repE0EEENS1_30default_config_static_selectorELNS0_4arch9wavefront6targetE1EEEvT1_: ; @_ZN7rocprim17ROCPRIM_400000_NS6detail17trampoline_kernelINS0_14default_configENS1_25partition_config_selectorILNS1_17partition_subalgoE5EiNS0_10empty_typeEbEEZZNS1_14partition_implILS5_5ELb0ES3_mPiPS6_N6thrust23THRUST_200600_302600_NS18transform_iteratorINSC_6detail9not_fun_tIN6dUtils10isMinusOneIiEEEES9_NSC_11use_defaultESK_EENS0_5tupleIJS9_S6_EEENSM_IJSA_SA_EEES6_PlJS6_EEE10hipError_tPvRmT3_T4_T5_T6_T7_T9_mT8_P12ihipStream_tbDpT10_ENKUlT_T0_E_clISt17integral_constantIbLb0EES19_EEDaS14_S15_EUlS14_E_NS1_11comp_targetILNS1_3genE3ELNS1_11target_archE908ELNS1_3gpuE7ELNS1_3repE0EEENS1_30default_config_static_selectorELNS0_4arch9wavefront6targetE1EEEvT1_
; %bb.0:
	.section	.rodata,"a",@progbits
	.p2align	6, 0x0
	.amdhsa_kernel _ZN7rocprim17ROCPRIM_400000_NS6detail17trampoline_kernelINS0_14default_configENS1_25partition_config_selectorILNS1_17partition_subalgoE5EiNS0_10empty_typeEbEEZZNS1_14partition_implILS5_5ELb0ES3_mPiPS6_N6thrust23THRUST_200600_302600_NS18transform_iteratorINSC_6detail9not_fun_tIN6dUtils10isMinusOneIiEEEES9_NSC_11use_defaultESK_EENS0_5tupleIJS9_S6_EEENSM_IJSA_SA_EEES6_PlJS6_EEE10hipError_tPvRmT3_T4_T5_T6_T7_T9_mT8_P12ihipStream_tbDpT10_ENKUlT_T0_E_clISt17integral_constantIbLb0EES19_EEDaS14_S15_EUlS14_E_NS1_11comp_targetILNS1_3genE3ELNS1_11target_archE908ELNS1_3gpuE7ELNS1_3repE0EEENS1_30default_config_static_selectorELNS0_4arch9wavefront6targetE1EEEvT1_
		.amdhsa_group_segment_fixed_size 0
		.amdhsa_private_segment_fixed_size 0
		.amdhsa_kernarg_size 120
		.amdhsa_user_sgpr_count 6
		.amdhsa_user_sgpr_private_segment_buffer 1
		.amdhsa_user_sgpr_dispatch_ptr 0
		.amdhsa_user_sgpr_queue_ptr 0
		.amdhsa_user_sgpr_kernarg_segment_ptr 1
		.amdhsa_user_sgpr_dispatch_id 0
		.amdhsa_user_sgpr_flat_scratch_init 0
		.amdhsa_user_sgpr_kernarg_preload_length 0
		.amdhsa_user_sgpr_kernarg_preload_offset 0
		.amdhsa_user_sgpr_private_segment_size 0
		.amdhsa_uses_dynamic_stack 0
		.amdhsa_system_sgpr_private_segment_wavefront_offset 0
		.amdhsa_system_sgpr_workgroup_id_x 1
		.amdhsa_system_sgpr_workgroup_id_y 0
		.amdhsa_system_sgpr_workgroup_id_z 0
		.amdhsa_system_sgpr_workgroup_info 0
		.amdhsa_system_vgpr_workitem_id 0
		.amdhsa_next_free_vgpr 1
		.amdhsa_next_free_sgpr 0
		.amdhsa_accum_offset 4
		.amdhsa_reserve_vcc 0
		.amdhsa_reserve_flat_scratch 0
		.amdhsa_float_round_mode_32 0
		.amdhsa_float_round_mode_16_64 0
		.amdhsa_float_denorm_mode_32 3
		.amdhsa_float_denorm_mode_16_64 3
		.amdhsa_dx10_clamp 1
		.amdhsa_ieee_mode 1
		.amdhsa_fp16_overflow 0
		.amdhsa_tg_split 0
		.amdhsa_exception_fp_ieee_invalid_op 0
		.amdhsa_exception_fp_denorm_src 0
		.amdhsa_exception_fp_ieee_div_zero 0
		.amdhsa_exception_fp_ieee_overflow 0
		.amdhsa_exception_fp_ieee_underflow 0
		.amdhsa_exception_fp_ieee_inexact 0
		.amdhsa_exception_int_div_zero 0
	.end_amdhsa_kernel
	.section	.text._ZN7rocprim17ROCPRIM_400000_NS6detail17trampoline_kernelINS0_14default_configENS1_25partition_config_selectorILNS1_17partition_subalgoE5EiNS0_10empty_typeEbEEZZNS1_14partition_implILS5_5ELb0ES3_mPiPS6_N6thrust23THRUST_200600_302600_NS18transform_iteratorINSC_6detail9not_fun_tIN6dUtils10isMinusOneIiEEEES9_NSC_11use_defaultESK_EENS0_5tupleIJS9_S6_EEENSM_IJSA_SA_EEES6_PlJS6_EEE10hipError_tPvRmT3_T4_T5_T6_T7_T9_mT8_P12ihipStream_tbDpT10_ENKUlT_T0_E_clISt17integral_constantIbLb0EES19_EEDaS14_S15_EUlS14_E_NS1_11comp_targetILNS1_3genE3ELNS1_11target_archE908ELNS1_3gpuE7ELNS1_3repE0EEENS1_30default_config_static_selectorELNS0_4arch9wavefront6targetE1EEEvT1_,"axG",@progbits,_ZN7rocprim17ROCPRIM_400000_NS6detail17trampoline_kernelINS0_14default_configENS1_25partition_config_selectorILNS1_17partition_subalgoE5EiNS0_10empty_typeEbEEZZNS1_14partition_implILS5_5ELb0ES3_mPiPS6_N6thrust23THRUST_200600_302600_NS18transform_iteratorINSC_6detail9not_fun_tIN6dUtils10isMinusOneIiEEEES9_NSC_11use_defaultESK_EENS0_5tupleIJS9_S6_EEENSM_IJSA_SA_EEES6_PlJS6_EEE10hipError_tPvRmT3_T4_T5_T6_T7_T9_mT8_P12ihipStream_tbDpT10_ENKUlT_T0_E_clISt17integral_constantIbLb0EES19_EEDaS14_S15_EUlS14_E_NS1_11comp_targetILNS1_3genE3ELNS1_11target_archE908ELNS1_3gpuE7ELNS1_3repE0EEENS1_30default_config_static_selectorELNS0_4arch9wavefront6targetE1EEEvT1_,comdat
.Lfunc_end222:
	.size	_ZN7rocprim17ROCPRIM_400000_NS6detail17trampoline_kernelINS0_14default_configENS1_25partition_config_selectorILNS1_17partition_subalgoE5EiNS0_10empty_typeEbEEZZNS1_14partition_implILS5_5ELb0ES3_mPiPS6_N6thrust23THRUST_200600_302600_NS18transform_iteratorINSC_6detail9not_fun_tIN6dUtils10isMinusOneIiEEEES9_NSC_11use_defaultESK_EENS0_5tupleIJS9_S6_EEENSM_IJSA_SA_EEES6_PlJS6_EEE10hipError_tPvRmT3_T4_T5_T6_T7_T9_mT8_P12ihipStream_tbDpT10_ENKUlT_T0_E_clISt17integral_constantIbLb0EES19_EEDaS14_S15_EUlS14_E_NS1_11comp_targetILNS1_3genE3ELNS1_11target_archE908ELNS1_3gpuE7ELNS1_3repE0EEENS1_30default_config_static_selectorELNS0_4arch9wavefront6targetE1EEEvT1_, .Lfunc_end222-_ZN7rocprim17ROCPRIM_400000_NS6detail17trampoline_kernelINS0_14default_configENS1_25partition_config_selectorILNS1_17partition_subalgoE5EiNS0_10empty_typeEbEEZZNS1_14partition_implILS5_5ELb0ES3_mPiPS6_N6thrust23THRUST_200600_302600_NS18transform_iteratorINSC_6detail9not_fun_tIN6dUtils10isMinusOneIiEEEES9_NSC_11use_defaultESK_EENS0_5tupleIJS9_S6_EEENSM_IJSA_SA_EEES6_PlJS6_EEE10hipError_tPvRmT3_T4_T5_T6_T7_T9_mT8_P12ihipStream_tbDpT10_ENKUlT_T0_E_clISt17integral_constantIbLb0EES19_EEDaS14_S15_EUlS14_E_NS1_11comp_targetILNS1_3genE3ELNS1_11target_archE908ELNS1_3gpuE7ELNS1_3repE0EEENS1_30default_config_static_selectorELNS0_4arch9wavefront6targetE1EEEvT1_
                                        ; -- End function
	.section	.AMDGPU.csdata,"",@progbits
; Kernel info:
; codeLenInByte = 0
; NumSgprs: 4
; NumVgprs: 0
; NumAgprs: 0
; TotalNumVgprs: 0
; ScratchSize: 0
; MemoryBound: 0
; FloatMode: 240
; IeeeMode: 1
; LDSByteSize: 0 bytes/workgroup (compile time only)
; SGPRBlocks: 0
; VGPRBlocks: 0
; NumSGPRsForWavesPerEU: 4
; NumVGPRsForWavesPerEU: 1
; AccumOffset: 4
; Occupancy: 8
; WaveLimiterHint : 0
; COMPUTE_PGM_RSRC2:SCRATCH_EN: 0
; COMPUTE_PGM_RSRC2:USER_SGPR: 6
; COMPUTE_PGM_RSRC2:TRAP_HANDLER: 0
; COMPUTE_PGM_RSRC2:TGID_X_EN: 1
; COMPUTE_PGM_RSRC2:TGID_Y_EN: 0
; COMPUTE_PGM_RSRC2:TGID_Z_EN: 0
; COMPUTE_PGM_RSRC2:TIDIG_COMP_CNT: 0
; COMPUTE_PGM_RSRC3_GFX90A:ACCUM_OFFSET: 0
; COMPUTE_PGM_RSRC3_GFX90A:TG_SPLIT: 0
	.section	.text._ZN7rocprim17ROCPRIM_400000_NS6detail17trampoline_kernelINS0_14default_configENS1_25partition_config_selectorILNS1_17partition_subalgoE5EiNS0_10empty_typeEbEEZZNS1_14partition_implILS5_5ELb0ES3_mPiPS6_N6thrust23THRUST_200600_302600_NS18transform_iteratorINSC_6detail9not_fun_tIN6dUtils10isMinusOneIiEEEES9_NSC_11use_defaultESK_EENS0_5tupleIJS9_S6_EEENSM_IJSA_SA_EEES6_PlJS6_EEE10hipError_tPvRmT3_T4_T5_T6_T7_T9_mT8_P12ihipStream_tbDpT10_ENKUlT_T0_E_clISt17integral_constantIbLb0EES19_EEDaS14_S15_EUlS14_E_NS1_11comp_targetILNS1_3genE2ELNS1_11target_archE906ELNS1_3gpuE6ELNS1_3repE0EEENS1_30default_config_static_selectorELNS0_4arch9wavefront6targetE1EEEvT1_,"axG",@progbits,_ZN7rocprim17ROCPRIM_400000_NS6detail17trampoline_kernelINS0_14default_configENS1_25partition_config_selectorILNS1_17partition_subalgoE5EiNS0_10empty_typeEbEEZZNS1_14partition_implILS5_5ELb0ES3_mPiPS6_N6thrust23THRUST_200600_302600_NS18transform_iteratorINSC_6detail9not_fun_tIN6dUtils10isMinusOneIiEEEES9_NSC_11use_defaultESK_EENS0_5tupleIJS9_S6_EEENSM_IJSA_SA_EEES6_PlJS6_EEE10hipError_tPvRmT3_T4_T5_T6_T7_T9_mT8_P12ihipStream_tbDpT10_ENKUlT_T0_E_clISt17integral_constantIbLb0EES19_EEDaS14_S15_EUlS14_E_NS1_11comp_targetILNS1_3genE2ELNS1_11target_archE906ELNS1_3gpuE6ELNS1_3repE0EEENS1_30default_config_static_selectorELNS0_4arch9wavefront6targetE1EEEvT1_,comdat
	.protected	_ZN7rocprim17ROCPRIM_400000_NS6detail17trampoline_kernelINS0_14default_configENS1_25partition_config_selectorILNS1_17partition_subalgoE5EiNS0_10empty_typeEbEEZZNS1_14partition_implILS5_5ELb0ES3_mPiPS6_N6thrust23THRUST_200600_302600_NS18transform_iteratorINSC_6detail9not_fun_tIN6dUtils10isMinusOneIiEEEES9_NSC_11use_defaultESK_EENS0_5tupleIJS9_S6_EEENSM_IJSA_SA_EEES6_PlJS6_EEE10hipError_tPvRmT3_T4_T5_T6_T7_T9_mT8_P12ihipStream_tbDpT10_ENKUlT_T0_E_clISt17integral_constantIbLb0EES19_EEDaS14_S15_EUlS14_E_NS1_11comp_targetILNS1_3genE2ELNS1_11target_archE906ELNS1_3gpuE6ELNS1_3repE0EEENS1_30default_config_static_selectorELNS0_4arch9wavefront6targetE1EEEvT1_ ; -- Begin function _ZN7rocprim17ROCPRIM_400000_NS6detail17trampoline_kernelINS0_14default_configENS1_25partition_config_selectorILNS1_17partition_subalgoE5EiNS0_10empty_typeEbEEZZNS1_14partition_implILS5_5ELb0ES3_mPiPS6_N6thrust23THRUST_200600_302600_NS18transform_iteratorINSC_6detail9not_fun_tIN6dUtils10isMinusOneIiEEEES9_NSC_11use_defaultESK_EENS0_5tupleIJS9_S6_EEENSM_IJSA_SA_EEES6_PlJS6_EEE10hipError_tPvRmT3_T4_T5_T6_T7_T9_mT8_P12ihipStream_tbDpT10_ENKUlT_T0_E_clISt17integral_constantIbLb0EES19_EEDaS14_S15_EUlS14_E_NS1_11comp_targetILNS1_3genE2ELNS1_11target_archE906ELNS1_3gpuE6ELNS1_3repE0EEENS1_30default_config_static_selectorELNS0_4arch9wavefront6targetE1EEEvT1_
	.globl	_ZN7rocprim17ROCPRIM_400000_NS6detail17trampoline_kernelINS0_14default_configENS1_25partition_config_selectorILNS1_17partition_subalgoE5EiNS0_10empty_typeEbEEZZNS1_14partition_implILS5_5ELb0ES3_mPiPS6_N6thrust23THRUST_200600_302600_NS18transform_iteratorINSC_6detail9not_fun_tIN6dUtils10isMinusOneIiEEEES9_NSC_11use_defaultESK_EENS0_5tupleIJS9_S6_EEENSM_IJSA_SA_EEES6_PlJS6_EEE10hipError_tPvRmT3_T4_T5_T6_T7_T9_mT8_P12ihipStream_tbDpT10_ENKUlT_T0_E_clISt17integral_constantIbLb0EES19_EEDaS14_S15_EUlS14_E_NS1_11comp_targetILNS1_3genE2ELNS1_11target_archE906ELNS1_3gpuE6ELNS1_3repE0EEENS1_30default_config_static_selectorELNS0_4arch9wavefront6targetE1EEEvT1_
	.p2align	8
	.type	_ZN7rocprim17ROCPRIM_400000_NS6detail17trampoline_kernelINS0_14default_configENS1_25partition_config_selectorILNS1_17partition_subalgoE5EiNS0_10empty_typeEbEEZZNS1_14partition_implILS5_5ELb0ES3_mPiPS6_N6thrust23THRUST_200600_302600_NS18transform_iteratorINSC_6detail9not_fun_tIN6dUtils10isMinusOneIiEEEES9_NSC_11use_defaultESK_EENS0_5tupleIJS9_S6_EEENSM_IJSA_SA_EEES6_PlJS6_EEE10hipError_tPvRmT3_T4_T5_T6_T7_T9_mT8_P12ihipStream_tbDpT10_ENKUlT_T0_E_clISt17integral_constantIbLb0EES19_EEDaS14_S15_EUlS14_E_NS1_11comp_targetILNS1_3genE2ELNS1_11target_archE906ELNS1_3gpuE6ELNS1_3repE0EEENS1_30default_config_static_selectorELNS0_4arch9wavefront6targetE1EEEvT1_,@function
_ZN7rocprim17ROCPRIM_400000_NS6detail17trampoline_kernelINS0_14default_configENS1_25partition_config_selectorILNS1_17partition_subalgoE5EiNS0_10empty_typeEbEEZZNS1_14partition_implILS5_5ELb0ES3_mPiPS6_N6thrust23THRUST_200600_302600_NS18transform_iteratorINSC_6detail9not_fun_tIN6dUtils10isMinusOneIiEEEES9_NSC_11use_defaultESK_EENS0_5tupleIJS9_S6_EEENSM_IJSA_SA_EEES6_PlJS6_EEE10hipError_tPvRmT3_T4_T5_T6_T7_T9_mT8_P12ihipStream_tbDpT10_ENKUlT_T0_E_clISt17integral_constantIbLb0EES19_EEDaS14_S15_EUlS14_E_NS1_11comp_targetILNS1_3genE2ELNS1_11target_archE906ELNS1_3gpuE6ELNS1_3repE0EEENS1_30default_config_static_selectorELNS0_4arch9wavefront6targetE1EEEvT1_: ; @_ZN7rocprim17ROCPRIM_400000_NS6detail17trampoline_kernelINS0_14default_configENS1_25partition_config_selectorILNS1_17partition_subalgoE5EiNS0_10empty_typeEbEEZZNS1_14partition_implILS5_5ELb0ES3_mPiPS6_N6thrust23THRUST_200600_302600_NS18transform_iteratorINSC_6detail9not_fun_tIN6dUtils10isMinusOneIiEEEES9_NSC_11use_defaultESK_EENS0_5tupleIJS9_S6_EEENSM_IJSA_SA_EEES6_PlJS6_EEE10hipError_tPvRmT3_T4_T5_T6_T7_T9_mT8_P12ihipStream_tbDpT10_ENKUlT_T0_E_clISt17integral_constantIbLb0EES19_EEDaS14_S15_EUlS14_E_NS1_11comp_targetILNS1_3genE2ELNS1_11target_archE906ELNS1_3gpuE6ELNS1_3repE0EEENS1_30default_config_static_selectorELNS0_4arch9wavefront6targetE1EEEvT1_
; %bb.0:
	.section	.rodata,"a",@progbits
	.p2align	6, 0x0
	.amdhsa_kernel _ZN7rocprim17ROCPRIM_400000_NS6detail17trampoline_kernelINS0_14default_configENS1_25partition_config_selectorILNS1_17partition_subalgoE5EiNS0_10empty_typeEbEEZZNS1_14partition_implILS5_5ELb0ES3_mPiPS6_N6thrust23THRUST_200600_302600_NS18transform_iteratorINSC_6detail9not_fun_tIN6dUtils10isMinusOneIiEEEES9_NSC_11use_defaultESK_EENS0_5tupleIJS9_S6_EEENSM_IJSA_SA_EEES6_PlJS6_EEE10hipError_tPvRmT3_T4_T5_T6_T7_T9_mT8_P12ihipStream_tbDpT10_ENKUlT_T0_E_clISt17integral_constantIbLb0EES19_EEDaS14_S15_EUlS14_E_NS1_11comp_targetILNS1_3genE2ELNS1_11target_archE906ELNS1_3gpuE6ELNS1_3repE0EEENS1_30default_config_static_selectorELNS0_4arch9wavefront6targetE1EEEvT1_
		.amdhsa_group_segment_fixed_size 0
		.amdhsa_private_segment_fixed_size 0
		.amdhsa_kernarg_size 120
		.amdhsa_user_sgpr_count 6
		.amdhsa_user_sgpr_private_segment_buffer 1
		.amdhsa_user_sgpr_dispatch_ptr 0
		.amdhsa_user_sgpr_queue_ptr 0
		.amdhsa_user_sgpr_kernarg_segment_ptr 1
		.amdhsa_user_sgpr_dispatch_id 0
		.amdhsa_user_sgpr_flat_scratch_init 0
		.amdhsa_user_sgpr_kernarg_preload_length 0
		.amdhsa_user_sgpr_kernarg_preload_offset 0
		.amdhsa_user_sgpr_private_segment_size 0
		.amdhsa_uses_dynamic_stack 0
		.amdhsa_system_sgpr_private_segment_wavefront_offset 0
		.amdhsa_system_sgpr_workgroup_id_x 1
		.amdhsa_system_sgpr_workgroup_id_y 0
		.amdhsa_system_sgpr_workgroup_id_z 0
		.amdhsa_system_sgpr_workgroup_info 0
		.amdhsa_system_vgpr_workitem_id 0
		.amdhsa_next_free_vgpr 1
		.amdhsa_next_free_sgpr 0
		.amdhsa_accum_offset 4
		.amdhsa_reserve_vcc 0
		.amdhsa_reserve_flat_scratch 0
		.amdhsa_float_round_mode_32 0
		.amdhsa_float_round_mode_16_64 0
		.amdhsa_float_denorm_mode_32 3
		.amdhsa_float_denorm_mode_16_64 3
		.amdhsa_dx10_clamp 1
		.amdhsa_ieee_mode 1
		.amdhsa_fp16_overflow 0
		.amdhsa_tg_split 0
		.amdhsa_exception_fp_ieee_invalid_op 0
		.amdhsa_exception_fp_denorm_src 0
		.amdhsa_exception_fp_ieee_div_zero 0
		.amdhsa_exception_fp_ieee_overflow 0
		.amdhsa_exception_fp_ieee_underflow 0
		.amdhsa_exception_fp_ieee_inexact 0
		.amdhsa_exception_int_div_zero 0
	.end_amdhsa_kernel
	.section	.text._ZN7rocprim17ROCPRIM_400000_NS6detail17trampoline_kernelINS0_14default_configENS1_25partition_config_selectorILNS1_17partition_subalgoE5EiNS0_10empty_typeEbEEZZNS1_14partition_implILS5_5ELb0ES3_mPiPS6_N6thrust23THRUST_200600_302600_NS18transform_iteratorINSC_6detail9not_fun_tIN6dUtils10isMinusOneIiEEEES9_NSC_11use_defaultESK_EENS0_5tupleIJS9_S6_EEENSM_IJSA_SA_EEES6_PlJS6_EEE10hipError_tPvRmT3_T4_T5_T6_T7_T9_mT8_P12ihipStream_tbDpT10_ENKUlT_T0_E_clISt17integral_constantIbLb0EES19_EEDaS14_S15_EUlS14_E_NS1_11comp_targetILNS1_3genE2ELNS1_11target_archE906ELNS1_3gpuE6ELNS1_3repE0EEENS1_30default_config_static_selectorELNS0_4arch9wavefront6targetE1EEEvT1_,"axG",@progbits,_ZN7rocprim17ROCPRIM_400000_NS6detail17trampoline_kernelINS0_14default_configENS1_25partition_config_selectorILNS1_17partition_subalgoE5EiNS0_10empty_typeEbEEZZNS1_14partition_implILS5_5ELb0ES3_mPiPS6_N6thrust23THRUST_200600_302600_NS18transform_iteratorINSC_6detail9not_fun_tIN6dUtils10isMinusOneIiEEEES9_NSC_11use_defaultESK_EENS0_5tupleIJS9_S6_EEENSM_IJSA_SA_EEES6_PlJS6_EEE10hipError_tPvRmT3_T4_T5_T6_T7_T9_mT8_P12ihipStream_tbDpT10_ENKUlT_T0_E_clISt17integral_constantIbLb0EES19_EEDaS14_S15_EUlS14_E_NS1_11comp_targetILNS1_3genE2ELNS1_11target_archE906ELNS1_3gpuE6ELNS1_3repE0EEENS1_30default_config_static_selectorELNS0_4arch9wavefront6targetE1EEEvT1_,comdat
.Lfunc_end223:
	.size	_ZN7rocprim17ROCPRIM_400000_NS6detail17trampoline_kernelINS0_14default_configENS1_25partition_config_selectorILNS1_17partition_subalgoE5EiNS0_10empty_typeEbEEZZNS1_14partition_implILS5_5ELb0ES3_mPiPS6_N6thrust23THRUST_200600_302600_NS18transform_iteratorINSC_6detail9not_fun_tIN6dUtils10isMinusOneIiEEEES9_NSC_11use_defaultESK_EENS0_5tupleIJS9_S6_EEENSM_IJSA_SA_EEES6_PlJS6_EEE10hipError_tPvRmT3_T4_T5_T6_T7_T9_mT8_P12ihipStream_tbDpT10_ENKUlT_T0_E_clISt17integral_constantIbLb0EES19_EEDaS14_S15_EUlS14_E_NS1_11comp_targetILNS1_3genE2ELNS1_11target_archE906ELNS1_3gpuE6ELNS1_3repE0EEENS1_30default_config_static_selectorELNS0_4arch9wavefront6targetE1EEEvT1_, .Lfunc_end223-_ZN7rocprim17ROCPRIM_400000_NS6detail17trampoline_kernelINS0_14default_configENS1_25partition_config_selectorILNS1_17partition_subalgoE5EiNS0_10empty_typeEbEEZZNS1_14partition_implILS5_5ELb0ES3_mPiPS6_N6thrust23THRUST_200600_302600_NS18transform_iteratorINSC_6detail9not_fun_tIN6dUtils10isMinusOneIiEEEES9_NSC_11use_defaultESK_EENS0_5tupleIJS9_S6_EEENSM_IJSA_SA_EEES6_PlJS6_EEE10hipError_tPvRmT3_T4_T5_T6_T7_T9_mT8_P12ihipStream_tbDpT10_ENKUlT_T0_E_clISt17integral_constantIbLb0EES19_EEDaS14_S15_EUlS14_E_NS1_11comp_targetILNS1_3genE2ELNS1_11target_archE906ELNS1_3gpuE6ELNS1_3repE0EEENS1_30default_config_static_selectorELNS0_4arch9wavefront6targetE1EEEvT1_
                                        ; -- End function
	.section	.AMDGPU.csdata,"",@progbits
; Kernel info:
; codeLenInByte = 0
; NumSgprs: 4
; NumVgprs: 0
; NumAgprs: 0
; TotalNumVgprs: 0
; ScratchSize: 0
; MemoryBound: 0
; FloatMode: 240
; IeeeMode: 1
; LDSByteSize: 0 bytes/workgroup (compile time only)
; SGPRBlocks: 0
; VGPRBlocks: 0
; NumSGPRsForWavesPerEU: 4
; NumVGPRsForWavesPerEU: 1
; AccumOffset: 4
; Occupancy: 8
; WaveLimiterHint : 0
; COMPUTE_PGM_RSRC2:SCRATCH_EN: 0
; COMPUTE_PGM_RSRC2:USER_SGPR: 6
; COMPUTE_PGM_RSRC2:TRAP_HANDLER: 0
; COMPUTE_PGM_RSRC2:TGID_X_EN: 1
; COMPUTE_PGM_RSRC2:TGID_Y_EN: 0
; COMPUTE_PGM_RSRC2:TGID_Z_EN: 0
; COMPUTE_PGM_RSRC2:TIDIG_COMP_CNT: 0
; COMPUTE_PGM_RSRC3_GFX90A:ACCUM_OFFSET: 0
; COMPUTE_PGM_RSRC3_GFX90A:TG_SPLIT: 0
	.section	.text._ZN7rocprim17ROCPRIM_400000_NS6detail17trampoline_kernelINS0_14default_configENS1_25partition_config_selectorILNS1_17partition_subalgoE5EiNS0_10empty_typeEbEEZZNS1_14partition_implILS5_5ELb0ES3_mPiPS6_N6thrust23THRUST_200600_302600_NS18transform_iteratorINSC_6detail9not_fun_tIN6dUtils10isMinusOneIiEEEES9_NSC_11use_defaultESK_EENS0_5tupleIJS9_S6_EEENSM_IJSA_SA_EEES6_PlJS6_EEE10hipError_tPvRmT3_T4_T5_T6_T7_T9_mT8_P12ihipStream_tbDpT10_ENKUlT_T0_E_clISt17integral_constantIbLb0EES19_EEDaS14_S15_EUlS14_E_NS1_11comp_targetILNS1_3genE10ELNS1_11target_archE1200ELNS1_3gpuE4ELNS1_3repE0EEENS1_30default_config_static_selectorELNS0_4arch9wavefront6targetE1EEEvT1_,"axG",@progbits,_ZN7rocprim17ROCPRIM_400000_NS6detail17trampoline_kernelINS0_14default_configENS1_25partition_config_selectorILNS1_17partition_subalgoE5EiNS0_10empty_typeEbEEZZNS1_14partition_implILS5_5ELb0ES3_mPiPS6_N6thrust23THRUST_200600_302600_NS18transform_iteratorINSC_6detail9not_fun_tIN6dUtils10isMinusOneIiEEEES9_NSC_11use_defaultESK_EENS0_5tupleIJS9_S6_EEENSM_IJSA_SA_EEES6_PlJS6_EEE10hipError_tPvRmT3_T4_T5_T6_T7_T9_mT8_P12ihipStream_tbDpT10_ENKUlT_T0_E_clISt17integral_constantIbLb0EES19_EEDaS14_S15_EUlS14_E_NS1_11comp_targetILNS1_3genE10ELNS1_11target_archE1200ELNS1_3gpuE4ELNS1_3repE0EEENS1_30default_config_static_selectorELNS0_4arch9wavefront6targetE1EEEvT1_,comdat
	.protected	_ZN7rocprim17ROCPRIM_400000_NS6detail17trampoline_kernelINS0_14default_configENS1_25partition_config_selectorILNS1_17partition_subalgoE5EiNS0_10empty_typeEbEEZZNS1_14partition_implILS5_5ELb0ES3_mPiPS6_N6thrust23THRUST_200600_302600_NS18transform_iteratorINSC_6detail9not_fun_tIN6dUtils10isMinusOneIiEEEES9_NSC_11use_defaultESK_EENS0_5tupleIJS9_S6_EEENSM_IJSA_SA_EEES6_PlJS6_EEE10hipError_tPvRmT3_T4_T5_T6_T7_T9_mT8_P12ihipStream_tbDpT10_ENKUlT_T0_E_clISt17integral_constantIbLb0EES19_EEDaS14_S15_EUlS14_E_NS1_11comp_targetILNS1_3genE10ELNS1_11target_archE1200ELNS1_3gpuE4ELNS1_3repE0EEENS1_30default_config_static_selectorELNS0_4arch9wavefront6targetE1EEEvT1_ ; -- Begin function _ZN7rocprim17ROCPRIM_400000_NS6detail17trampoline_kernelINS0_14default_configENS1_25partition_config_selectorILNS1_17partition_subalgoE5EiNS0_10empty_typeEbEEZZNS1_14partition_implILS5_5ELb0ES3_mPiPS6_N6thrust23THRUST_200600_302600_NS18transform_iteratorINSC_6detail9not_fun_tIN6dUtils10isMinusOneIiEEEES9_NSC_11use_defaultESK_EENS0_5tupleIJS9_S6_EEENSM_IJSA_SA_EEES6_PlJS6_EEE10hipError_tPvRmT3_T4_T5_T6_T7_T9_mT8_P12ihipStream_tbDpT10_ENKUlT_T0_E_clISt17integral_constantIbLb0EES19_EEDaS14_S15_EUlS14_E_NS1_11comp_targetILNS1_3genE10ELNS1_11target_archE1200ELNS1_3gpuE4ELNS1_3repE0EEENS1_30default_config_static_selectorELNS0_4arch9wavefront6targetE1EEEvT1_
	.globl	_ZN7rocprim17ROCPRIM_400000_NS6detail17trampoline_kernelINS0_14default_configENS1_25partition_config_selectorILNS1_17partition_subalgoE5EiNS0_10empty_typeEbEEZZNS1_14partition_implILS5_5ELb0ES3_mPiPS6_N6thrust23THRUST_200600_302600_NS18transform_iteratorINSC_6detail9not_fun_tIN6dUtils10isMinusOneIiEEEES9_NSC_11use_defaultESK_EENS0_5tupleIJS9_S6_EEENSM_IJSA_SA_EEES6_PlJS6_EEE10hipError_tPvRmT3_T4_T5_T6_T7_T9_mT8_P12ihipStream_tbDpT10_ENKUlT_T0_E_clISt17integral_constantIbLb0EES19_EEDaS14_S15_EUlS14_E_NS1_11comp_targetILNS1_3genE10ELNS1_11target_archE1200ELNS1_3gpuE4ELNS1_3repE0EEENS1_30default_config_static_selectorELNS0_4arch9wavefront6targetE1EEEvT1_
	.p2align	8
	.type	_ZN7rocprim17ROCPRIM_400000_NS6detail17trampoline_kernelINS0_14default_configENS1_25partition_config_selectorILNS1_17partition_subalgoE5EiNS0_10empty_typeEbEEZZNS1_14partition_implILS5_5ELb0ES3_mPiPS6_N6thrust23THRUST_200600_302600_NS18transform_iteratorINSC_6detail9not_fun_tIN6dUtils10isMinusOneIiEEEES9_NSC_11use_defaultESK_EENS0_5tupleIJS9_S6_EEENSM_IJSA_SA_EEES6_PlJS6_EEE10hipError_tPvRmT3_T4_T5_T6_T7_T9_mT8_P12ihipStream_tbDpT10_ENKUlT_T0_E_clISt17integral_constantIbLb0EES19_EEDaS14_S15_EUlS14_E_NS1_11comp_targetILNS1_3genE10ELNS1_11target_archE1200ELNS1_3gpuE4ELNS1_3repE0EEENS1_30default_config_static_selectorELNS0_4arch9wavefront6targetE1EEEvT1_,@function
_ZN7rocprim17ROCPRIM_400000_NS6detail17trampoline_kernelINS0_14default_configENS1_25partition_config_selectorILNS1_17partition_subalgoE5EiNS0_10empty_typeEbEEZZNS1_14partition_implILS5_5ELb0ES3_mPiPS6_N6thrust23THRUST_200600_302600_NS18transform_iteratorINSC_6detail9not_fun_tIN6dUtils10isMinusOneIiEEEES9_NSC_11use_defaultESK_EENS0_5tupleIJS9_S6_EEENSM_IJSA_SA_EEES6_PlJS6_EEE10hipError_tPvRmT3_T4_T5_T6_T7_T9_mT8_P12ihipStream_tbDpT10_ENKUlT_T0_E_clISt17integral_constantIbLb0EES19_EEDaS14_S15_EUlS14_E_NS1_11comp_targetILNS1_3genE10ELNS1_11target_archE1200ELNS1_3gpuE4ELNS1_3repE0EEENS1_30default_config_static_selectorELNS0_4arch9wavefront6targetE1EEEvT1_: ; @_ZN7rocprim17ROCPRIM_400000_NS6detail17trampoline_kernelINS0_14default_configENS1_25partition_config_selectorILNS1_17partition_subalgoE5EiNS0_10empty_typeEbEEZZNS1_14partition_implILS5_5ELb0ES3_mPiPS6_N6thrust23THRUST_200600_302600_NS18transform_iteratorINSC_6detail9not_fun_tIN6dUtils10isMinusOneIiEEEES9_NSC_11use_defaultESK_EENS0_5tupleIJS9_S6_EEENSM_IJSA_SA_EEES6_PlJS6_EEE10hipError_tPvRmT3_T4_T5_T6_T7_T9_mT8_P12ihipStream_tbDpT10_ENKUlT_T0_E_clISt17integral_constantIbLb0EES19_EEDaS14_S15_EUlS14_E_NS1_11comp_targetILNS1_3genE10ELNS1_11target_archE1200ELNS1_3gpuE4ELNS1_3repE0EEENS1_30default_config_static_selectorELNS0_4arch9wavefront6targetE1EEEvT1_
; %bb.0:
	.section	.rodata,"a",@progbits
	.p2align	6, 0x0
	.amdhsa_kernel _ZN7rocprim17ROCPRIM_400000_NS6detail17trampoline_kernelINS0_14default_configENS1_25partition_config_selectorILNS1_17partition_subalgoE5EiNS0_10empty_typeEbEEZZNS1_14partition_implILS5_5ELb0ES3_mPiPS6_N6thrust23THRUST_200600_302600_NS18transform_iteratorINSC_6detail9not_fun_tIN6dUtils10isMinusOneIiEEEES9_NSC_11use_defaultESK_EENS0_5tupleIJS9_S6_EEENSM_IJSA_SA_EEES6_PlJS6_EEE10hipError_tPvRmT3_T4_T5_T6_T7_T9_mT8_P12ihipStream_tbDpT10_ENKUlT_T0_E_clISt17integral_constantIbLb0EES19_EEDaS14_S15_EUlS14_E_NS1_11comp_targetILNS1_3genE10ELNS1_11target_archE1200ELNS1_3gpuE4ELNS1_3repE0EEENS1_30default_config_static_selectorELNS0_4arch9wavefront6targetE1EEEvT1_
		.amdhsa_group_segment_fixed_size 0
		.amdhsa_private_segment_fixed_size 0
		.amdhsa_kernarg_size 120
		.amdhsa_user_sgpr_count 6
		.amdhsa_user_sgpr_private_segment_buffer 1
		.amdhsa_user_sgpr_dispatch_ptr 0
		.amdhsa_user_sgpr_queue_ptr 0
		.amdhsa_user_sgpr_kernarg_segment_ptr 1
		.amdhsa_user_sgpr_dispatch_id 0
		.amdhsa_user_sgpr_flat_scratch_init 0
		.amdhsa_user_sgpr_kernarg_preload_length 0
		.amdhsa_user_sgpr_kernarg_preload_offset 0
		.amdhsa_user_sgpr_private_segment_size 0
		.amdhsa_uses_dynamic_stack 0
		.amdhsa_system_sgpr_private_segment_wavefront_offset 0
		.amdhsa_system_sgpr_workgroup_id_x 1
		.amdhsa_system_sgpr_workgroup_id_y 0
		.amdhsa_system_sgpr_workgroup_id_z 0
		.amdhsa_system_sgpr_workgroup_info 0
		.amdhsa_system_vgpr_workitem_id 0
		.amdhsa_next_free_vgpr 1
		.amdhsa_next_free_sgpr 0
		.amdhsa_accum_offset 4
		.amdhsa_reserve_vcc 0
		.amdhsa_reserve_flat_scratch 0
		.amdhsa_float_round_mode_32 0
		.amdhsa_float_round_mode_16_64 0
		.amdhsa_float_denorm_mode_32 3
		.amdhsa_float_denorm_mode_16_64 3
		.amdhsa_dx10_clamp 1
		.amdhsa_ieee_mode 1
		.amdhsa_fp16_overflow 0
		.amdhsa_tg_split 0
		.amdhsa_exception_fp_ieee_invalid_op 0
		.amdhsa_exception_fp_denorm_src 0
		.amdhsa_exception_fp_ieee_div_zero 0
		.amdhsa_exception_fp_ieee_overflow 0
		.amdhsa_exception_fp_ieee_underflow 0
		.amdhsa_exception_fp_ieee_inexact 0
		.amdhsa_exception_int_div_zero 0
	.end_amdhsa_kernel
	.section	.text._ZN7rocprim17ROCPRIM_400000_NS6detail17trampoline_kernelINS0_14default_configENS1_25partition_config_selectorILNS1_17partition_subalgoE5EiNS0_10empty_typeEbEEZZNS1_14partition_implILS5_5ELb0ES3_mPiPS6_N6thrust23THRUST_200600_302600_NS18transform_iteratorINSC_6detail9not_fun_tIN6dUtils10isMinusOneIiEEEES9_NSC_11use_defaultESK_EENS0_5tupleIJS9_S6_EEENSM_IJSA_SA_EEES6_PlJS6_EEE10hipError_tPvRmT3_T4_T5_T6_T7_T9_mT8_P12ihipStream_tbDpT10_ENKUlT_T0_E_clISt17integral_constantIbLb0EES19_EEDaS14_S15_EUlS14_E_NS1_11comp_targetILNS1_3genE10ELNS1_11target_archE1200ELNS1_3gpuE4ELNS1_3repE0EEENS1_30default_config_static_selectorELNS0_4arch9wavefront6targetE1EEEvT1_,"axG",@progbits,_ZN7rocprim17ROCPRIM_400000_NS6detail17trampoline_kernelINS0_14default_configENS1_25partition_config_selectorILNS1_17partition_subalgoE5EiNS0_10empty_typeEbEEZZNS1_14partition_implILS5_5ELb0ES3_mPiPS6_N6thrust23THRUST_200600_302600_NS18transform_iteratorINSC_6detail9not_fun_tIN6dUtils10isMinusOneIiEEEES9_NSC_11use_defaultESK_EENS0_5tupleIJS9_S6_EEENSM_IJSA_SA_EEES6_PlJS6_EEE10hipError_tPvRmT3_T4_T5_T6_T7_T9_mT8_P12ihipStream_tbDpT10_ENKUlT_T0_E_clISt17integral_constantIbLb0EES19_EEDaS14_S15_EUlS14_E_NS1_11comp_targetILNS1_3genE10ELNS1_11target_archE1200ELNS1_3gpuE4ELNS1_3repE0EEENS1_30default_config_static_selectorELNS0_4arch9wavefront6targetE1EEEvT1_,comdat
.Lfunc_end224:
	.size	_ZN7rocprim17ROCPRIM_400000_NS6detail17trampoline_kernelINS0_14default_configENS1_25partition_config_selectorILNS1_17partition_subalgoE5EiNS0_10empty_typeEbEEZZNS1_14partition_implILS5_5ELb0ES3_mPiPS6_N6thrust23THRUST_200600_302600_NS18transform_iteratorINSC_6detail9not_fun_tIN6dUtils10isMinusOneIiEEEES9_NSC_11use_defaultESK_EENS0_5tupleIJS9_S6_EEENSM_IJSA_SA_EEES6_PlJS6_EEE10hipError_tPvRmT3_T4_T5_T6_T7_T9_mT8_P12ihipStream_tbDpT10_ENKUlT_T0_E_clISt17integral_constantIbLb0EES19_EEDaS14_S15_EUlS14_E_NS1_11comp_targetILNS1_3genE10ELNS1_11target_archE1200ELNS1_3gpuE4ELNS1_3repE0EEENS1_30default_config_static_selectorELNS0_4arch9wavefront6targetE1EEEvT1_, .Lfunc_end224-_ZN7rocprim17ROCPRIM_400000_NS6detail17trampoline_kernelINS0_14default_configENS1_25partition_config_selectorILNS1_17partition_subalgoE5EiNS0_10empty_typeEbEEZZNS1_14partition_implILS5_5ELb0ES3_mPiPS6_N6thrust23THRUST_200600_302600_NS18transform_iteratorINSC_6detail9not_fun_tIN6dUtils10isMinusOneIiEEEES9_NSC_11use_defaultESK_EENS0_5tupleIJS9_S6_EEENSM_IJSA_SA_EEES6_PlJS6_EEE10hipError_tPvRmT3_T4_T5_T6_T7_T9_mT8_P12ihipStream_tbDpT10_ENKUlT_T0_E_clISt17integral_constantIbLb0EES19_EEDaS14_S15_EUlS14_E_NS1_11comp_targetILNS1_3genE10ELNS1_11target_archE1200ELNS1_3gpuE4ELNS1_3repE0EEENS1_30default_config_static_selectorELNS0_4arch9wavefront6targetE1EEEvT1_
                                        ; -- End function
	.section	.AMDGPU.csdata,"",@progbits
; Kernel info:
; codeLenInByte = 0
; NumSgprs: 4
; NumVgprs: 0
; NumAgprs: 0
; TotalNumVgprs: 0
; ScratchSize: 0
; MemoryBound: 0
; FloatMode: 240
; IeeeMode: 1
; LDSByteSize: 0 bytes/workgroup (compile time only)
; SGPRBlocks: 0
; VGPRBlocks: 0
; NumSGPRsForWavesPerEU: 4
; NumVGPRsForWavesPerEU: 1
; AccumOffset: 4
; Occupancy: 8
; WaveLimiterHint : 0
; COMPUTE_PGM_RSRC2:SCRATCH_EN: 0
; COMPUTE_PGM_RSRC2:USER_SGPR: 6
; COMPUTE_PGM_RSRC2:TRAP_HANDLER: 0
; COMPUTE_PGM_RSRC2:TGID_X_EN: 1
; COMPUTE_PGM_RSRC2:TGID_Y_EN: 0
; COMPUTE_PGM_RSRC2:TGID_Z_EN: 0
; COMPUTE_PGM_RSRC2:TIDIG_COMP_CNT: 0
; COMPUTE_PGM_RSRC3_GFX90A:ACCUM_OFFSET: 0
; COMPUTE_PGM_RSRC3_GFX90A:TG_SPLIT: 0
	.section	.text._ZN7rocprim17ROCPRIM_400000_NS6detail17trampoline_kernelINS0_14default_configENS1_25partition_config_selectorILNS1_17partition_subalgoE5EiNS0_10empty_typeEbEEZZNS1_14partition_implILS5_5ELb0ES3_mPiPS6_N6thrust23THRUST_200600_302600_NS18transform_iteratorINSC_6detail9not_fun_tIN6dUtils10isMinusOneIiEEEES9_NSC_11use_defaultESK_EENS0_5tupleIJS9_S6_EEENSM_IJSA_SA_EEES6_PlJS6_EEE10hipError_tPvRmT3_T4_T5_T6_T7_T9_mT8_P12ihipStream_tbDpT10_ENKUlT_T0_E_clISt17integral_constantIbLb0EES19_EEDaS14_S15_EUlS14_E_NS1_11comp_targetILNS1_3genE9ELNS1_11target_archE1100ELNS1_3gpuE3ELNS1_3repE0EEENS1_30default_config_static_selectorELNS0_4arch9wavefront6targetE1EEEvT1_,"axG",@progbits,_ZN7rocprim17ROCPRIM_400000_NS6detail17trampoline_kernelINS0_14default_configENS1_25partition_config_selectorILNS1_17partition_subalgoE5EiNS0_10empty_typeEbEEZZNS1_14partition_implILS5_5ELb0ES3_mPiPS6_N6thrust23THRUST_200600_302600_NS18transform_iteratorINSC_6detail9not_fun_tIN6dUtils10isMinusOneIiEEEES9_NSC_11use_defaultESK_EENS0_5tupleIJS9_S6_EEENSM_IJSA_SA_EEES6_PlJS6_EEE10hipError_tPvRmT3_T4_T5_T6_T7_T9_mT8_P12ihipStream_tbDpT10_ENKUlT_T0_E_clISt17integral_constantIbLb0EES19_EEDaS14_S15_EUlS14_E_NS1_11comp_targetILNS1_3genE9ELNS1_11target_archE1100ELNS1_3gpuE3ELNS1_3repE0EEENS1_30default_config_static_selectorELNS0_4arch9wavefront6targetE1EEEvT1_,comdat
	.protected	_ZN7rocprim17ROCPRIM_400000_NS6detail17trampoline_kernelINS0_14default_configENS1_25partition_config_selectorILNS1_17partition_subalgoE5EiNS0_10empty_typeEbEEZZNS1_14partition_implILS5_5ELb0ES3_mPiPS6_N6thrust23THRUST_200600_302600_NS18transform_iteratorINSC_6detail9not_fun_tIN6dUtils10isMinusOneIiEEEES9_NSC_11use_defaultESK_EENS0_5tupleIJS9_S6_EEENSM_IJSA_SA_EEES6_PlJS6_EEE10hipError_tPvRmT3_T4_T5_T6_T7_T9_mT8_P12ihipStream_tbDpT10_ENKUlT_T0_E_clISt17integral_constantIbLb0EES19_EEDaS14_S15_EUlS14_E_NS1_11comp_targetILNS1_3genE9ELNS1_11target_archE1100ELNS1_3gpuE3ELNS1_3repE0EEENS1_30default_config_static_selectorELNS0_4arch9wavefront6targetE1EEEvT1_ ; -- Begin function _ZN7rocprim17ROCPRIM_400000_NS6detail17trampoline_kernelINS0_14default_configENS1_25partition_config_selectorILNS1_17partition_subalgoE5EiNS0_10empty_typeEbEEZZNS1_14partition_implILS5_5ELb0ES3_mPiPS6_N6thrust23THRUST_200600_302600_NS18transform_iteratorINSC_6detail9not_fun_tIN6dUtils10isMinusOneIiEEEES9_NSC_11use_defaultESK_EENS0_5tupleIJS9_S6_EEENSM_IJSA_SA_EEES6_PlJS6_EEE10hipError_tPvRmT3_T4_T5_T6_T7_T9_mT8_P12ihipStream_tbDpT10_ENKUlT_T0_E_clISt17integral_constantIbLb0EES19_EEDaS14_S15_EUlS14_E_NS1_11comp_targetILNS1_3genE9ELNS1_11target_archE1100ELNS1_3gpuE3ELNS1_3repE0EEENS1_30default_config_static_selectorELNS0_4arch9wavefront6targetE1EEEvT1_
	.globl	_ZN7rocprim17ROCPRIM_400000_NS6detail17trampoline_kernelINS0_14default_configENS1_25partition_config_selectorILNS1_17partition_subalgoE5EiNS0_10empty_typeEbEEZZNS1_14partition_implILS5_5ELb0ES3_mPiPS6_N6thrust23THRUST_200600_302600_NS18transform_iteratorINSC_6detail9not_fun_tIN6dUtils10isMinusOneIiEEEES9_NSC_11use_defaultESK_EENS0_5tupleIJS9_S6_EEENSM_IJSA_SA_EEES6_PlJS6_EEE10hipError_tPvRmT3_T4_T5_T6_T7_T9_mT8_P12ihipStream_tbDpT10_ENKUlT_T0_E_clISt17integral_constantIbLb0EES19_EEDaS14_S15_EUlS14_E_NS1_11comp_targetILNS1_3genE9ELNS1_11target_archE1100ELNS1_3gpuE3ELNS1_3repE0EEENS1_30default_config_static_selectorELNS0_4arch9wavefront6targetE1EEEvT1_
	.p2align	8
	.type	_ZN7rocprim17ROCPRIM_400000_NS6detail17trampoline_kernelINS0_14default_configENS1_25partition_config_selectorILNS1_17partition_subalgoE5EiNS0_10empty_typeEbEEZZNS1_14partition_implILS5_5ELb0ES3_mPiPS6_N6thrust23THRUST_200600_302600_NS18transform_iteratorINSC_6detail9not_fun_tIN6dUtils10isMinusOneIiEEEES9_NSC_11use_defaultESK_EENS0_5tupleIJS9_S6_EEENSM_IJSA_SA_EEES6_PlJS6_EEE10hipError_tPvRmT3_T4_T5_T6_T7_T9_mT8_P12ihipStream_tbDpT10_ENKUlT_T0_E_clISt17integral_constantIbLb0EES19_EEDaS14_S15_EUlS14_E_NS1_11comp_targetILNS1_3genE9ELNS1_11target_archE1100ELNS1_3gpuE3ELNS1_3repE0EEENS1_30default_config_static_selectorELNS0_4arch9wavefront6targetE1EEEvT1_,@function
_ZN7rocprim17ROCPRIM_400000_NS6detail17trampoline_kernelINS0_14default_configENS1_25partition_config_selectorILNS1_17partition_subalgoE5EiNS0_10empty_typeEbEEZZNS1_14partition_implILS5_5ELb0ES3_mPiPS6_N6thrust23THRUST_200600_302600_NS18transform_iteratorINSC_6detail9not_fun_tIN6dUtils10isMinusOneIiEEEES9_NSC_11use_defaultESK_EENS0_5tupleIJS9_S6_EEENSM_IJSA_SA_EEES6_PlJS6_EEE10hipError_tPvRmT3_T4_T5_T6_T7_T9_mT8_P12ihipStream_tbDpT10_ENKUlT_T0_E_clISt17integral_constantIbLb0EES19_EEDaS14_S15_EUlS14_E_NS1_11comp_targetILNS1_3genE9ELNS1_11target_archE1100ELNS1_3gpuE3ELNS1_3repE0EEENS1_30default_config_static_selectorELNS0_4arch9wavefront6targetE1EEEvT1_: ; @_ZN7rocprim17ROCPRIM_400000_NS6detail17trampoline_kernelINS0_14default_configENS1_25partition_config_selectorILNS1_17partition_subalgoE5EiNS0_10empty_typeEbEEZZNS1_14partition_implILS5_5ELb0ES3_mPiPS6_N6thrust23THRUST_200600_302600_NS18transform_iteratorINSC_6detail9not_fun_tIN6dUtils10isMinusOneIiEEEES9_NSC_11use_defaultESK_EENS0_5tupleIJS9_S6_EEENSM_IJSA_SA_EEES6_PlJS6_EEE10hipError_tPvRmT3_T4_T5_T6_T7_T9_mT8_P12ihipStream_tbDpT10_ENKUlT_T0_E_clISt17integral_constantIbLb0EES19_EEDaS14_S15_EUlS14_E_NS1_11comp_targetILNS1_3genE9ELNS1_11target_archE1100ELNS1_3gpuE3ELNS1_3repE0EEENS1_30default_config_static_selectorELNS0_4arch9wavefront6targetE1EEEvT1_
; %bb.0:
	.section	.rodata,"a",@progbits
	.p2align	6, 0x0
	.amdhsa_kernel _ZN7rocprim17ROCPRIM_400000_NS6detail17trampoline_kernelINS0_14default_configENS1_25partition_config_selectorILNS1_17partition_subalgoE5EiNS0_10empty_typeEbEEZZNS1_14partition_implILS5_5ELb0ES3_mPiPS6_N6thrust23THRUST_200600_302600_NS18transform_iteratorINSC_6detail9not_fun_tIN6dUtils10isMinusOneIiEEEES9_NSC_11use_defaultESK_EENS0_5tupleIJS9_S6_EEENSM_IJSA_SA_EEES6_PlJS6_EEE10hipError_tPvRmT3_T4_T5_T6_T7_T9_mT8_P12ihipStream_tbDpT10_ENKUlT_T0_E_clISt17integral_constantIbLb0EES19_EEDaS14_S15_EUlS14_E_NS1_11comp_targetILNS1_3genE9ELNS1_11target_archE1100ELNS1_3gpuE3ELNS1_3repE0EEENS1_30default_config_static_selectorELNS0_4arch9wavefront6targetE1EEEvT1_
		.amdhsa_group_segment_fixed_size 0
		.amdhsa_private_segment_fixed_size 0
		.amdhsa_kernarg_size 120
		.amdhsa_user_sgpr_count 6
		.amdhsa_user_sgpr_private_segment_buffer 1
		.amdhsa_user_sgpr_dispatch_ptr 0
		.amdhsa_user_sgpr_queue_ptr 0
		.amdhsa_user_sgpr_kernarg_segment_ptr 1
		.amdhsa_user_sgpr_dispatch_id 0
		.amdhsa_user_sgpr_flat_scratch_init 0
		.amdhsa_user_sgpr_kernarg_preload_length 0
		.amdhsa_user_sgpr_kernarg_preload_offset 0
		.amdhsa_user_sgpr_private_segment_size 0
		.amdhsa_uses_dynamic_stack 0
		.amdhsa_system_sgpr_private_segment_wavefront_offset 0
		.amdhsa_system_sgpr_workgroup_id_x 1
		.amdhsa_system_sgpr_workgroup_id_y 0
		.amdhsa_system_sgpr_workgroup_id_z 0
		.amdhsa_system_sgpr_workgroup_info 0
		.amdhsa_system_vgpr_workitem_id 0
		.amdhsa_next_free_vgpr 1
		.amdhsa_next_free_sgpr 0
		.amdhsa_accum_offset 4
		.amdhsa_reserve_vcc 0
		.amdhsa_reserve_flat_scratch 0
		.amdhsa_float_round_mode_32 0
		.amdhsa_float_round_mode_16_64 0
		.amdhsa_float_denorm_mode_32 3
		.amdhsa_float_denorm_mode_16_64 3
		.amdhsa_dx10_clamp 1
		.amdhsa_ieee_mode 1
		.amdhsa_fp16_overflow 0
		.amdhsa_tg_split 0
		.amdhsa_exception_fp_ieee_invalid_op 0
		.amdhsa_exception_fp_denorm_src 0
		.amdhsa_exception_fp_ieee_div_zero 0
		.amdhsa_exception_fp_ieee_overflow 0
		.amdhsa_exception_fp_ieee_underflow 0
		.amdhsa_exception_fp_ieee_inexact 0
		.amdhsa_exception_int_div_zero 0
	.end_amdhsa_kernel
	.section	.text._ZN7rocprim17ROCPRIM_400000_NS6detail17trampoline_kernelINS0_14default_configENS1_25partition_config_selectorILNS1_17partition_subalgoE5EiNS0_10empty_typeEbEEZZNS1_14partition_implILS5_5ELb0ES3_mPiPS6_N6thrust23THRUST_200600_302600_NS18transform_iteratorINSC_6detail9not_fun_tIN6dUtils10isMinusOneIiEEEES9_NSC_11use_defaultESK_EENS0_5tupleIJS9_S6_EEENSM_IJSA_SA_EEES6_PlJS6_EEE10hipError_tPvRmT3_T4_T5_T6_T7_T9_mT8_P12ihipStream_tbDpT10_ENKUlT_T0_E_clISt17integral_constantIbLb0EES19_EEDaS14_S15_EUlS14_E_NS1_11comp_targetILNS1_3genE9ELNS1_11target_archE1100ELNS1_3gpuE3ELNS1_3repE0EEENS1_30default_config_static_selectorELNS0_4arch9wavefront6targetE1EEEvT1_,"axG",@progbits,_ZN7rocprim17ROCPRIM_400000_NS6detail17trampoline_kernelINS0_14default_configENS1_25partition_config_selectorILNS1_17partition_subalgoE5EiNS0_10empty_typeEbEEZZNS1_14partition_implILS5_5ELb0ES3_mPiPS6_N6thrust23THRUST_200600_302600_NS18transform_iteratorINSC_6detail9not_fun_tIN6dUtils10isMinusOneIiEEEES9_NSC_11use_defaultESK_EENS0_5tupleIJS9_S6_EEENSM_IJSA_SA_EEES6_PlJS6_EEE10hipError_tPvRmT3_T4_T5_T6_T7_T9_mT8_P12ihipStream_tbDpT10_ENKUlT_T0_E_clISt17integral_constantIbLb0EES19_EEDaS14_S15_EUlS14_E_NS1_11comp_targetILNS1_3genE9ELNS1_11target_archE1100ELNS1_3gpuE3ELNS1_3repE0EEENS1_30default_config_static_selectorELNS0_4arch9wavefront6targetE1EEEvT1_,comdat
.Lfunc_end225:
	.size	_ZN7rocprim17ROCPRIM_400000_NS6detail17trampoline_kernelINS0_14default_configENS1_25partition_config_selectorILNS1_17partition_subalgoE5EiNS0_10empty_typeEbEEZZNS1_14partition_implILS5_5ELb0ES3_mPiPS6_N6thrust23THRUST_200600_302600_NS18transform_iteratorINSC_6detail9not_fun_tIN6dUtils10isMinusOneIiEEEES9_NSC_11use_defaultESK_EENS0_5tupleIJS9_S6_EEENSM_IJSA_SA_EEES6_PlJS6_EEE10hipError_tPvRmT3_T4_T5_T6_T7_T9_mT8_P12ihipStream_tbDpT10_ENKUlT_T0_E_clISt17integral_constantIbLb0EES19_EEDaS14_S15_EUlS14_E_NS1_11comp_targetILNS1_3genE9ELNS1_11target_archE1100ELNS1_3gpuE3ELNS1_3repE0EEENS1_30default_config_static_selectorELNS0_4arch9wavefront6targetE1EEEvT1_, .Lfunc_end225-_ZN7rocprim17ROCPRIM_400000_NS6detail17trampoline_kernelINS0_14default_configENS1_25partition_config_selectorILNS1_17partition_subalgoE5EiNS0_10empty_typeEbEEZZNS1_14partition_implILS5_5ELb0ES3_mPiPS6_N6thrust23THRUST_200600_302600_NS18transform_iteratorINSC_6detail9not_fun_tIN6dUtils10isMinusOneIiEEEES9_NSC_11use_defaultESK_EENS0_5tupleIJS9_S6_EEENSM_IJSA_SA_EEES6_PlJS6_EEE10hipError_tPvRmT3_T4_T5_T6_T7_T9_mT8_P12ihipStream_tbDpT10_ENKUlT_T0_E_clISt17integral_constantIbLb0EES19_EEDaS14_S15_EUlS14_E_NS1_11comp_targetILNS1_3genE9ELNS1_11target_archE1100ELNS1_3gpuE3ELNS1_3repE0EEENS1_30default_config_static_selectorELNS0_4arch9wavefront6targetE1EEEvT1_
                                        ; -- End function
	.section	.AMDGPU.csdata,"",@progbits
; Kernel info:
; codeLenInByte = 0
; NumSgprs: 4
; NumVgprs: 0
; NumAgprs: 0
; TotalNumVgprs: 0
; ScratchSize: 0
; MemoryBound: 0
; FloatMode: 240
; IeeeMode: 1
; LDSByteSize: 0 bytes/workgroup (compile time only)
; SGPRBlocks: 0
; VGPRBlocks: 0
; NumSGPRsForWavesPerEU: 4
; NumVGPRsForWavesPerEU: 1
; AccumOffset: 4
; Occupancy: 8
; WaveLimiterHint : 0
; COMPUTE_PGM_RSRC2:SCRATCH_EN: 0
; COMPUTE_PGM_RSRC2:USER_SGPR: 6
; COMPUTE_PGM_RSRC2:TRAP_HANDLER: 0
; COMPUTE_PGM_RSRC2:TGID_X_EN: 1
; COMPUTE_PGM_RSRC2:TGID_Y_EN: 0
; COMPUTE_PGM_RSRC2:TGID_Z_EN: 0
; COMPUTE_PGM_RSRC2:TIDIG_COMP_CNT: 0
; COMPUTE_PGM_RSRC3_GFX90A:ACCUM_OFFSET: 0
; COMPUTE_PGM_RSRC3_GFX90A:TG_SPLIT: 0
	.section	.text._ZN7rocprim17ROCPRIM_400000_NS6detail17trampoline_kernelINS0_14default_configENS1_25partition_config_selectorILNS1_17partition_subalgoE5EiNS0_10empty_typeEbEEZZNS1_14partition_implILS5_5ELb0ES3_mPiPS6_N6thrust23THRUST_200600_302600_NS18transform_iteratorINSC_6detail9not_fun_tIN6dUtils10isMinusOneIiEEEES9_NSC_11use_defaultESK_EENS0_5tupleIJS9_S6_EEENSM_IJSA_SA_EEES6_PlJS6_EEE10hipError_tPvRmT3_T4_T5_T6_T7_T9_mT8_P12ihipStream_tbDpT10_ENKUlT_T0_E_clISt17integral_constantIbLb0EES19_EEDaS14_S15_EUlS14_E_NS1_11comp_targetILNS1_3genE8ELNS1_11target_archE1030ELNS1_3gpuE2ELNS1_3repE0EEENS1_30default_config_static_selectorELNS0_4arch9wavefront6targetE1EEEvT1_,"axG",@progbits,_ZN7rocprim17ROCPRIM_400000_NS6detail17trampoline_kernelINS0_14default_configENS1_25partition_config_selectorILNS1_17partition_subalgoE5EiNS0_10empty_typeEbEEZZNS1_14partition_implILS5_5ELb0ES3_mPiPS6_N6thrust23THRUST_200600_302600_NS18transform_iteratorINSC_6detail9not_fun_tIN6dUtils10isMinusOneIiEEEES9_NSC_11use_defaultESK_EENS0_5tupleIJS9_S6_EEENSM_IJSA_SA_EEES6_PlJS6_EEE10hipError_tPvRmT3_T4_T5_T6_T7_T9_mT8_P12ihipStream_tbDpT10_ENKUlT_T0_E_clISt17integral_constantIbLb0EES19_EEDaS14_S15_EUlS14_E_NS1_11comp_targetILNS1_3genE8ELNS1_11target_archE1030ELNS1_3gpuE2ELNS1_3repE0EEENS1_30default_config_static_selectorELNS0_4arch9wavefront6targetE1EEEvT1_,comdat
	.protected	_ZN7rocprim17ROCPRIM_400000_NS6detail17trampoline_kernelINS0_14default_configENS1_25partition_config_selectorILNS1_17partition_subalgoE5EiNS0_10empty_typeEbEEZZNS1_14partition_implILS5_5ELb0ES3_mPiPS6_N6thrust23THRUST_200600_302600_NS18transform_iteratorINSC_6detail9not_fun_tIN6dUtils10isMinusOneIiEEEES9_NSC_11use_defaultESK_EENS0_5tupleIJS9_S6_EEENSM_IJSA_SA_EEES6_PlJS6_EEE10hipError_tPvRmT3_T4_T5_T6_T7_T9_mT8_P12ihipStream_tbDpT10_ENKUlT_T0_E_clISt17integral_constantIbLb0EES19_EEDaS14_S15_EUlS14_E_NS1_11comp_targetILNS1_3genE8ELNS1_11target_archE1030ELNS1_3gpuE2ELNS1_3repE0EEENS1_30default_config_static_selectorELNS0_4arch9wavefront6targetE1EEEvT1_ ; -- Begin function _ZN7rocprim17ROCPRIM_400000_NS6detail17trampoline_kernelINS0_14default_configENS1_25partition_config_selectorILNS1_17partition_subalgoE5EiNS0_10empty_typeEbEEZZNS1_14partition_implILS5_5ELb0ES3_mPiPS6_N6thrust23THRUST_200600_302600_NS18transform_iteratorINSC_6detail9not_fun_tIN6dUtils10isMinusOneIiEEEES9_NSC_11use_defaultESK_EENS0_5tupleIJS9_S6_EEENSM_IJSA_SA_EEES6_PlJS6_EEE10hipError_tPvRmT3_T4_T5_T6_T7_T9_mT8_P12ihipStream_tbDpT10_ENKUlT_T0_E_clISt17integral_constantIbLb0EES19_EEDaS14_S15_EUlS14_E_NS1_11comp_targetILNS1_3genE8ELNS1_11target_archE1030ELNS1_3gpuE2ELNS1_3repE0EEENS1_30default_config_static_selectorELNS0_4arch9wavefront6targetE1EEEvT1_
	.globl	_ZN7rocprim17ROCPRIM_400000_NS6detail17trampoline_kernelINS0_14default_configENS1_25partition_config_selectorILNS1_17partition_subalgoE5EiNS0_10empty_typeEbEEZZNS1_14partition_implILS5_5ELb0ES3_mPiPS6_N6thrust23THRUST_200600_302600_NS18transform_iteratorINSC_6detail9not_fun_tIN6dUtils10isMinusOneIiEEEES9_NSC_11use_defaultESK_EENS0_5tupleIJS9_S6_EEENSM_IJSA_SA_EEES6_PlJS6_EEE10hipError_tPvRmT3_T4_T5_T6_T7_T9_mT8_P12ihipStream_tbDpT10_ENKUlT_T0_E_clISt17integral_constantIbLb0EES19_EEDaS14_S15_EUlS14_E_NS1_11comp_targetILNS1_3genE8ELNS1_11target_archE1030ELNS1_3gpuE2ELNS1_3repE0EEENS1_30default_config_static_selectorELNS0_4arch9wavefront6targetE1EEEvT1_
	.p2align	8
	.type	_ZN7rocprim17ROCPRIM_400000_NS6detail17trampoline_kernelINS0_14default_configENS1_25partition_config_selectorILNS1_17partition_subalgoE5EiNS0_10empty_typeEbEEZZNS1_14partition_implILS5_5ELb0ES3_mPiPS6_N6thrust23THRUST_200600_302600_NS18transform_iteratorINSC_6detail9not_fun_tIN6dUtils10isMinusOneIiEEEES9_NSC_11use_defaultESK_EENS0_5tupleIJS9_S6_EEENSM_IJSA_SA_EEES6_PlJS6_EEE10hipError_tPvRmT3_T4_T5_T6_T7_T9_mT8_P12ihipStream_tbDpT10_ENKUlT_T0_E_clISt17integral_constantIbLb0EES19_EEDaS14_S15_EUlS14_E_NS1_11comp_targetILNS1_3genE8ELNS1_11target_archE1030ELNS1_3gpuE2ELNS1_3repE0EEENS1_30default_config_static_selectorELNS0_4arch9wavefront6targetE1EEEvT1_,@function
_ZN7rocprim17ROCPRIM_400000_NS6detail17trampoline_kernelINS0_14default_configENS1_25partition_config_selectorILNS1_17partition_subalgoE5EiNS0_10empty_typeEbEEZZNS1_14partition_implILS5_5ELb0ES3_mPiPS6_N6thrust23THRUST_200600_302600_NS18transform_iteratorINSC_6detail9not_fun_tIN6dUtils10isMinusOneIiEEEES9_NSC_11use_defaultESK_EENS0_5tupleIJS9_S6_EEENSM_IJSA_SA_EEES6_PlJS6_EEE10hipError_tPvRmT3_T4_T5_T6_T7_T9_mT8_P12ihipStream_tbDpT10_ENKUlT_T0_E_clISt17integral_constantIbLb0EES19_EEDaS14_S15_EUlS14_E_NS1_11comp_targetILNS1_3genE8ELNS1_11target_archE1030ELNS1_3gpuE2ELNS1_3repE0EEENS1_30default_config_static_selectorELNS0_4arch9wavefront6targetE1EEEvT1_: ; @_ZN7rocprim17ROCPRIM_400000_NS6detail17trampoline_kernelINS0_14default_configENS1_25partition_config_selectorILNS1_17partition_subalgoE5EiNS0_10empty_typeEbEEZZNS1_14partition_implILS5_5ELb0ES3_mPiPS6_N6thrust23THRUST_200600_302600_NS18transform_iteratorINSC_6detail9not_fun_tIN6dUtils10isMinusOneIiEEEES9_NSC_11use_defaultESK_EENS0_5tupleIJS9_S6_EEENSM_IJSA_SA_EEES6_PlJS6_EEE10hipError_tPvRmT3_T4_T5_T6_T7_T9_mT8_P12ihipStream_tbDpT10_ENKUlT_T0_E_clISt17integral_constantIbLb0EES19_EEDaS14_S15_EUlS14_E_NS1_11comp_targetILNS1_3genE8ELNS1_11target_archE1030ELNS1_3gpuE2ELNS1_3repE0EEENS1_30default_config_static_selectorELNS0_4arch9wavefront6targetE1EEEvT1_
; %bb.0:
	.section	.rodata,"a",@progbits
	.p2align	6, 0x0
	.amdhsa_kernel _ZN7rocprim17ROCPRIM_400000_NS6detail17trampoline_kernelINS0_14default_configENS1_25partition_config_selectorILNS1_17partition_subalgoE5EiNS0_10empty_typeEbEEZZNS1_14partition_implILS5_5ELb0ES3_mPiPS6_N6thrust23THRUST_200600_302600_NS18transform_iteratorINSC_6detail9not_fun_tIN6dUtils10isMinusOneIiEEEES9_NSC_11use_defaultESK_EENS0_5tupleIJS9_S6_EEENSM_IJSA_SA_EEES6_PlJS6_EEE10hipError_tPvRmT3_T4_T5_T6_T7_T9_mT8_P12ihipStream_tbDpT10_ENKUlT_T0_E_clISt17integral_constantIbLb0EES19_EEDaS14_S15_EUlS14_E_NS1_11comp_targetILNS1_3genE8ELNS1_11target_archE1030ELNS1_3gpuE2ELNS1_3repE0EEENS1_30default_config_static_selectorELNS0_4arch9wavefront6targetE1EEEvT1_
		.amdhsa_group_segment_fixed_size 0
		.amdhsa_private_segment_fixed_size 0
		.amdhsa_kernarg_size 120
		.amdhsa_user_sgpr_count 6
		.amdhsa_user_sgpr_private_segment_buffer 1
		.amdhsa_user_sgpr_dispatch_ptr 0
		.amdhsa_user_sgpr_queue_ptr 0
		.amdhsa_user_sgpr_kernarg_segment_ptr 1
		.amdhsa_user_sgpr_dispatch_id 0
		.amdhsa_user_sgpr_flat_scratch_init 0
		.amdhsa_user_sgpr_kernarg_preload_length 0
		.amdhsa_user_sgpr_kernarg_preload_offset 0
		.amdhsa_user_sgpr_private_segment_size 0
		.amdhsa_uses_dynamic_stack 0
		.amdhsa_system_sgpr_private_segment_wavefront_offset 0
		.amdhsa_system_sgpr_workgroup_id_x 1
		.amdhsa_system_sgpr_workgroup_id_y 0
		.amdhsa_system_sgpr_workgroup_id_z 0
		.amdhsa_system_sgpr_workgroup_info 0
		.amdhsa_system_vgpr_workitem_id 0
		.amdhsa_next_free_vgpr 1
		.amdhsa_next_free_sgpr 0
		.amdhsa_accum_offset 4
		.amdhsa_reserve_vcc 0
		.amdhsa_reserve_flat_scratch 0
		.amdhsa_float_round_mode_32 0
		.amdhsa_float_round_mode_16_64 0
		.amdhsa_float_denorm_mode_32 3
		.amdhsa_float_denorm_mode_16_64 3
		.amdhsa_dx10_clamp 1
		.amdhsa_ieee_mode 1
		.amdhsa_fp16_overflow 0
		.amdhsa_tg_split 0
		.amdhsa_exception_fp_ieee_invalid_op 0
		.amdhsa_exception_fp_denorm_src 0
		.amdhsa_exception_fp_ieee_div_zero 0
		.amdhsa_exception_fp_ieee_overflow 0
		.amdhsa_exception_fp_ieee_underflow 0
		.amdhsa_exception_fp_ieee_inexact 0
		.amdhsa_exception_int_div_zero 0
	.end_amdhsa_kernel
	.section	.text._ZN7rocprim17ROCPRIM_400000_NS6detail17trampoline_kernelINS0_14default_configENS1_25partition_config_selectorILNS1_17partition_subalgoE5EiNS0_10empty_typeEbEEZZNS1_14partition_implILS5_5ELb0ES3_mPiPS6_N6thrust23THRUST_200600_302600_NS18transform_iteratorINSC_6detail9not_fun_tIN6dUtils10isMinusOneIiEEEES9_NSC_11use_defaultESK_EENS0_5tupleIJS9_S6_EEENSM_IJSA_SA_EEES6_PlJS6_EEE10hipError_tPvRmT3_T4_T5_T6_T7_T9_mT8_P12ihipStream_tbDpT10_ENKUlT_T0_E_clISt17integral_constantIbLb0EES19_EEDaS14_S15_EUlS14_E_NS1_11comp_targetILNS1_3genE8ELNS1_11target_archE1030ELNS1_3gpuE2ELNS1_3repE0EEENS1_30default_config_static_selectorELNS0_4arch9wavefront6targetE1EEEvT1_,"axG",@progbits,_ZN7rocprim17ROCPRIM_400000_NS6detail17trampoline_kernelINS0_14default_configENS1_25partition_config_selectorILNS1_17partition_subalgoE5EiNS0_10empty_typeEbEEZZNS1_14partition_implILS5_5ELb0ES3_mPiPS6_N6thrust23THRUST_200600_302600_NS18transform_iteratorINSC_6detail9not_fun_tIN6dUtils10isMinusOneIiEEEES9_NSC_11use_defaultESK_EENS0_5tupleIJS9_S6_EEENSM_IJSA_SA_EEES6_PlJS6_EEE10hipError_tPvRmT3_T4_T5_T6_T7_T9_mT8_P12ihipStream_tbDpT10_ENKUlT_T0_E_clISt17integral_constantIbLb0EES19_EEDaS14_S15_EUlS14_E_NS1_11comp_targetILNS1_3genE8ELNS1_11target_archE1030ELNS1_3gpuE2ELNS1_3repE0EEENS1_30default_config_static_selectorELNS0_4arch9wavefront6targetE1EEEvT1_,comdat
.Lfunc_end226:
	.size	_ZN7rocprim17ROCPRIM_400000_NS6detail17trampoline_kernelINS0_14default_configENS1_25partition_config_selectorILNS1_17partition_subalgoE5EiNS0_10empty_typeEbEEZZNS1_14partition_implILS5_5ELb0ES3_mPiPS6_N6thrust23THRUST_200600_302600_NS18transform_iteratorINSC_6detail9not_fun_tIN6dUtils10isMinusOneIiEEEES9_NSC_11use_defaultESK_EENS0_5tupleIJS9_S6_EEENSM_IJSA_SA_EEES6_PlJS6_EEE10hipError_tPvRmT3_T4_T5_T6_T7_T9_mT8_P12ihipStream_tbDpT10_ENKUlT_T0_E_clISt17integral_constantIbLb0EES19_EEDaS14_S15_EUlS14_E_NS1_11comp_targetILNS1_3genE8ELNS1_11target_archE1030ELNS1_3gpuE2ELNS1_3repE0EEENS1_30default_config_static_selectorELNS0_4arch9wavefront6targetE1EEEvT1_, .Lfunc_end226-_ZN7rocprim17ROCPRIM_400000_NS6detail17trampoline_kernelINS0_14default_configENS1_25partition_config_selectorILNS1_17partition_subalgoE5EiNS0_10empty_typeEbEEZZNS1_14partition_implILS5_5ELb0ES3_mPiPS6_N6thrust23THRUST_200600_302600_NS18transform_iteratorINSC_6detail9not_fun_tIN6dUtils10isMinusOneIiEEEES9_NSC_11use_defaultESK_EENS0_5tupleIJS9_S6_EEENSM_IJSA_SA_EEES6_PlJS6_EEE10hipError_tPvRmT3_T4_T5_T6_T7_T9_mT8_P12ihipStream_tbDpT10_ENKUlT_T0_E_clISt17integral_constantIbLb0EES19_EEDaS14_S15_EUlS14_E_NS1_11comp_targetILNS1_3genE8ELNS1_11target_archE1030ELNS1_3gpuE2ELNS1_3repE0EEENS1_30default_config_static_selectorELNS0_4arch9wavefront6targetE1EEEvT1_
                                        ; -- End function
	.section	.AMDGPU.csdata,"",@progbits
; Kernel info:
; codeLenInByte = 0
; NumSgprs: 4
; NumVgprs: 0
; NumAgprs: 0
; TotalNumVgprs: 0
; ScratchSize: 0
; MemoryBound: 0
; FloatMode: 240
; IeeeMode: 1
; LDSByteSize: 0 bytes/workgroup (compile time only)
; SGPRBlocks: 0
; VGPRBlocks: 0
; NumSGPRsForWavesPerEU: 4
; NumVGPRsForWavesPerEU: 1
; AccumOffset: 4
; Occupancy: 8
; WaveLimiterHint : 0
; COMPUTE_PGM_RSRC2:SCRATCH_EN: 0
; COMPUTE_PGM_RSRC2:USER_SGPR: 6
; COMPUTE_PGM_RSRC2:TRAP_HANDLER: 0
; COMPUTE_PGM_RSRC2:TGID_X_EN: 1
; COMPUTE_PGM_RSRC2:TGID_Y_EN: 0
; COMPUTE_PGM_RSRC2:TGID_Z_EN: 0
; COMPUTE_PGM_RSRC2:TIDIG_COMP_CNT: 0
; COMPUTE_PGM_RSRC3_GFX90A:ACCUM_OFFSET: 0
; COMPUTE_PGM_RSRC3_GFX90A:TG_SPLIT: 0
	.section	.text._ZN7rocprim17ROCPRIM_400000_NS6detail17trampoline_kernelINS0_14default_configENS1_25partition_config_selectorILNS1_17partition_subalgoE5EiNS0_10empty_typeEbEEZZNS1_14partition_implILS5_5ELb0ES3_mPiPS6_N6thrust23THRUST_200600_302600_NS18transform_iteratorINSC_6detail9not_fun_tIN6dUtils10isMinusOneIiEEEES9_NSC_11use_defaultESK_EENS0_5tupleIJS9_S6_EEENSM_IJSA_SA_EEES6_PlJS6_EEE10hipError_tPvRmT3_T4_T5_T6_T7_T9_mT8_P12ihipStream_tbDpT10_ENKUlT_T0_E_clISt17integral_constantIbLb1EES19_EEDaS14_S15_EUlS14_E_NS1_11comp_targetILNS1_3genE0ELNS1_11target_archE4294967295ELNS1_3gpuE0ELNS1_3repE0EEENS1_30default_config_static_selectorELNS0_4arch9wavefront6targetE1EEEvT1_,"axG",@progbits,_ZN7rocprim17ROCPRIM_400000_NS6detail17trampoline_kernelINS0_14default_configENS1_25partition_config_selectorILNS1_17partition_subalgoE5EiNS0_10empty_typeEbEEZZNS1_14partition_implILS5_5ELb0ES3_mPiPS6_N6thrust23THRUST_200600_302600_NS18transform_iteratorINSC_6detail9not_fun_tIN6dUtils10isMinusOneIiEEEES9_NSC_11use_defaultESK_EENS0_5tupleIJS9_S6_EEENSM_IJSA_SA_EEES6_PlJS6_EEE10hipError_tPvRmT3_T4_T5_T6_T7_T9_mT8_P12ihipStream_tbDpT10_ENKUlT_T0_E_clISt17integral_constantIbLb1EES19_EEDaS14_S15_EUlS14_E_NS1_11comp_targetILNS1_3genE0ELNS1_11target_archE4294967295ELNS1_3gpuE0ELNS1_3repE0EEENS1_30default_config_static_selectorELNS0_4arch9wavefront6targetE1EEEvT1_,comdat
	.protected	_ZN7rocprim17ROCPRIM_400000_NS6detail17trampoline_kernelINS0_14default_configENS1_25partition_config_selectorILNS1_17partition_subalgoE5EiNS0_10empty_typeEbEEZZNS1_14partition_implILS5_5ELb0ES3_mPiPS6_N6thrust23THRUST_200600_302600_NS18transform_iteratorINSC_6detail9not_fun_tIN6dUtils10isMinusOneIiEEEES9_NSC_11use_defaultESK_EENS0_5tupleIJS9_S6_EEENSM_IJSA_SA_EEES6_PlJS6_EEE10hipError_tPvRmT3_T4_T5_T6_T7_T9_mT8_P12ihipStream_tbDpT10_ENKUlT_T0_E_clISt17integral_constantIbLb1EES19_EEDaS14_S15_EUlS14_E_NS1_11comp_targetILNS1_3genE0ELNS1_11target_archE4294967295ELNS1_3gpuE0ELNS1_3repE0EEENS1_30default_config_static_selectorELNS0_4arch9wavefront6targetE1EEEvT1_ ; -- Begin function _ZN7rocprim17ROCPRIM_400000_NS6detail17trampoline_kernelINS0_14default_configENS1_25partition_config_selectorILNS1_17partition_subalgoE5EiNS0_10empty_typeEbEEZZNS1_14partition_implILS5_5ELb0ES3_mPiPS6_N6thrust23THRUST_200600_302600_NS18transform_iteratorINSC_6detail9not_fun_tIN6dUtils10isMinusOneIiEEEES9_NSC_11use_defaultESK_EENS0_5tupleIJS9_S6_EEENSM_IJSA_SA_EEES6_PlJS6_EEE10hipError_tPvRmT3_T4_T5_T6_T7_T9_mT8_P12ihipStream_tbDpT10_ENKUlT_T0_E_clISt17integral_constantIbLb1EES19_EEDaS14_S15_EUlS14_E_NS1_11comp_targetILNS1_3genE0ELNS1_11target_archE4294967295ELNS1_3gpuE0ELNS1_3repE0EEENS1_30default_config_static_selectorELNS0_4arch9wavefront6targetE1EEEvT1_
	.globl	_ZN7rocprim17ROCPRIM_400000_NS6detail17trampoline_kernelINS0_14default_configENS1_25partition_config_selectorILNS1_17partition_subalgoE5EiNS0_10empty_typeEbEEZZNS1_14partition_implILS5_5ELb0ES3_mPiPS6_N6thrust23THRUST_200600_302600_NS18transform_iteratorINSC_6detail9not_fun_tIN6dUtils10isMinusOneIiEEEES9_NSC_11use_defaultESK_EENS0_5tupleIJS9_S6_EEENSM_IJSA_SA_EEES6_PlJS6_EEE10hipError_tPvRmT3_T4_T5_T6_T7_T9_mT8_P12ihipStream_tbDpT10_ENKUlT_T0_E_clISt17integral_constantIbLb1EES19_EEDaS14_S15_EUlS14_E_NS1_11comp_targetILNS1_3genE0ELNS1_11target_archE4294967295ELNS1_3gpuE0ELNS1_3repE0EEENS1_30default_config_static_selectorELNS0_4arch9wavefront6targetE1EEEvT1_
	.p2align	8
	.type	_ZN7rocprim17ROCPRIM_400000_NS6detail17trampoline_kernelINS0_14default_configENS1_25partition_config_selectorILNS1_17partition_subalgoE5EiNS0_10empty_typeEbEEZZNS1_14partition_implILS5_5ELb0ES3_mPiPS6_N6thrust23THRUST_200600_302600_NS18transform_iteratorINSC_6detail9not_fun_tIN6dUtils10isMinusOneIiEEEES9_NSC_11use_defaultESK_EENS0_5tupleIJS9_S6_EEENSM_IJSA_SA_EEES6_PlJS6_EEE10hipError_tPvRmT3_T4_T5_T6_T7_T9_mT8_P12ihipStream_tbDpT10_ENKUlT_T0_E_clISt17integral_constantIbLb1EES19_EEDaS14_S15_EUlS14_E_NS1_11comp_targetILNS1_3genE0ELNS1_11target_archE4294967295ELNS1_3gpuE0ELNS1_3repE0EEENS1_30default_config_static_selectorELNS0_4arch9wavefront6targetE1EEEvT1_,@function
_ZN7rocprim17ROCPRIM_400000_NS6detail17trampoline_kernelINS0_14default_configENS1_25partition_config_selectorILNS1_17partition_subalgoE5EiNS0_10empty_typeEbEEZZNS1_14partition_implILS5_5ELb0ES3_mPiPS6_N6thrust23THRUST_200600_302600_NS18transform_iteratorINSC_6detail9not_fun_tIN6dUtils10isMinusOneIiEEEES9_NSC_11use_defaultESK_EENS0_5tupleIJS9_S6_EEENSM_IJSA_SA_EEES6_PlJS6_EEE10hipError_tPvRmT3_T4_T5_T6_T7_T9_mT8_P12ihipStream_tbDpT10_ENKUlT_T0_E_clISt17integral_constantIbLb1EES19_EEDaS14_S15_EUlS14_E_NS1_11comp_targetILNS1_3genE0ELNS1_11target_archE4294967295ELNS1_3gpuE0ELNS1_3repE0EEENS1_30default_config_static_selectorELNS0_4arch9wavefront6targetE1EEEvT1_: ; @_ZN7rocprim17ROCPRIM_400000_NS6detail17trampoline_kernelINS0_14default_configENS1_25partition_config_selectorILNS1_17partition_subalgoE5EiNS0_10empty_typeEbEEZZNS1_14partition_implILS5_5ELb0ES3_mPiPS6_N6thrust23THRUST_200600_302600_NS18transform_iteratorINSC_6detail9not_fun_tIN6dUtils10isMinusOneIiEEEES9_NSC_11use_defaultESK_EENS0_5tupleIJS9_S6_EEENSM_IJSA_SA_EEES6_PlJS6_EEE10hipError_tPvRmT3_T4_T5_T6_T7_T9_mT8_P12ihipStream_tbDpT10_ENKUlT_T0_E_clISt17integral_constantIbLb1EES19_EEDaS14_S15_EUlS14_E_NS1_11comp_targetILNS1_3genE0ELNS1_11target_archE4294967295ELNS1_3gpuE0ELNS1_3repE0EEENS1_30default_config_static_selectorELNS0_4arch9wavefront6targetE1EEEvT1_
; %bb.0:
	.section	.rodata,"a",@progbits
	.p2align	6, 0x0
	.amdhsa_kernel _ZN7rocprim17ROCPRIM_400000_NS6detail17trampoline_kernelINS0_14default_configENS1_25partition_config_selectorILNS1_17partition_subalgoE5EiNS0_10empty_typeEbEEZZNS1_14partition_implILS5_5ELb0ES3_mPiPS6_N6thrust23THRUST_200600_302600_NS18transform_iteratorINSC_6detail9not_fun_tIN6dUtils10isMinusOneIiEEEES9_NSC_11use_defaultESK_EENS0_5tupleIJS9_S6_EEENSM_IJSA_SA_EEES6_PlJS6_EEE10hipError_tPvRmT3_T4_T5_T6_T7_T9_mT8_P12ihipStream_tbDpT10_ENKUlT_T0_E_clISt17integral_constantIbLb1EES19_EEDaS14_S15_EUlS14_E_NS1_11comp_targetILNS1_3genE0ELNS1_11target_archE4294967295ELNS1_3gpuE0ELNS1_3repE0EEENS1_30default_config_static_selectorELNS0_4arch9wavefront6targetE1EEEvT1_
		.amdhsa_group_segment_fixed_size 0
		.amdhsa_private_segment_fixed_size 0
		.amdhsa_kernarg_size 136
		.amdhsa_user_sgpr_count 6
		.amdhsa_user_sgpr_private_segment_buffer 1
		.amdhsa_user_sgpr_dispatch_ptr 0
		.amdhsa_user_sgpr_queue_ptr 0
		.amdhsa_user_sgpr_kernarg_segment_ptr 1
		.amdhsa_user_sgpr_dispatch_id 0
		.amdhsa_user_sgpr_flat_scratch_init 0
		.amdhsa_user_sgpr_kernarg_preload_length 0
		.amdhsa_user_sgpr_kernarg_preload_offset 0
		.amdhsa_user_sgpr_private_segment_size 0
		.amdhsa_uses_dynamic_stack 0
		.amdhsa_system_sgpr_private_segment_wavefront_offset 0
		.amdhsa_system_sgpr_workgroup_id_x 1
		.amdhsa_system_sgpr_workgroup_id_y 0
		.amdhsa_system_sgpr_workgroup_id_z 0
		.amdhsa_system_sgpr_workgroup_info 0
		.amdhsa_system_vgpr_workitem_id 0
		.amdhsa_next_free_vgpr 1
		.amdhsa_next_free_sgpr 0
		.amdhsa_accum_offset 4
		.amdhsa_reserve_vcc 0
		.amdhsa_reserve_flat_scratch 0
		.amdhsa_float_round_mode_32 0
		.amdhsa_float_round_mode_16_64 0
		.amdhsa_float_denorm_mode_32 3
		.amdhsa_float_denorm_mode_16_64 3
		.amdhsa_dx10_clamp 1
		.amdhsa_ieee_mode 1
		.amdhsa_fp16_overflow 0
		.amdhsa_tg_split 0
		.amdhsa_exception_fp_ieee_invalid_op 0
		.amdhsa_exception_fp_denorm_src 0
		.amdhsa_exception_fp_ieee_div_zero 0
		.amdhsa_exception_fp_ieee_overflow 0
		.amdhsa_exception_fp_ieee_underflow 0
		.amdhsa_exception_fp_ieee_inexact 0
		.amdhsa_exception_int_div_zero 0
	.end_amdhsa_kernel
	.section	.text._ZN7rocprim17ROCPRIM_400000_NS6detail17trampoline_kernelINS0_14default_configENS1_25partition_config_selectorILNS1_17partition_subalgoE5EiNS0_10empty_typeEbEEZZNS1_14partition_implILS5_5ELb0ES3_mPiPS6_N6thrust23THRUST_200600_302600_NS18transform_iteratorINSC_6detail9not_fun_tIN6dUtils10isMinusOneIiEEEES9_NSC_11use_defaultESK_EENS0_5tupleIJS9_S6_EEENSM_IJSA_SA_EEES6_PlJS6_EEE10hipError_tPvRmT3_T4_T5_T6_T7_T9_mT8_P12ihipStream_tbDpT10_ENKUlT_T0_E_clISt17integral_constantIbLb1EES19_EEDaS14_S15_EUlS14_E_NS1_11comp_targetILNS1_3genE0ELNS1_11target_archE4294967295ELNS1_3gpuE0ELNS1_3repE0EEENS1_30default_config_static_selectorELNS0_4arch9wavefront6targetE1EEEvT1_,"axG",@progbits,_ZN7rocprim17ROCPRIM_400000_NS6detail17trampoline_kernelINS0_14default_configENS1_25partition_config_selectorILNS1_17partition_subalgoE5EiNS0_10empty_typeEbEEZZNS1_14partition_implILS5_5ELb0ES3_mPiPS6_N6thrust23THRUST_200600_302600_NS18transform_iteratorINSC_6detail9not_fun_tIN6dUtils10isMinusOneIiEEEES9_NSC_11use_defaultESK_EENS0_5tupleIJS9_S6_EEENSM_IJSA_SA_EEES6_PlJS6_EEE10hipError_tPvRmT3_T4_T5_T6_T7_T9_mT8_P12ihipStream_tbDpT10_ENKUlT_T0_E_clISt17integral_constantIbLb1EES19_EEDaS14_S15_EUlS14_E_NS1_11comp_targetILNS1_3genE0ELNS1_11target_archE4294967295ELNS1_3gpuE0ELNS1_3repE0EEENS1_30default_config_static_selectorELNS0_4arch9wavefront6targetE1EEEvT1_,comdat
.Lfunc_end227:
	.size	_ZN7rocprim17ROCPRIM_400000_NS6detail17trampoline_kernelINS0_14default_configENS1_25partition_config_selectorILNS1_17partition_subalgoE5EiNS0_10empty_typeEbEEZZNS1_14partition_implILS5_5ELb0ES3_mPiPS6_N6thrust23THRUST_200600_302600_NS18transform_iteratorINSC_6detail9not_fun_tIN6dUtils10isMinusOneIiEEEES9_NSC_11use_defaultESK_EENS0_5tupleIJS9_S6_EEENSM_IJSA_SA_EEES6_PlJS6_EEE10hipError_tPvRmT3_T4_T5_T6_T7_T9_mT8_P12ihipStream_tbDpT10_ENKUlT_T0_E_clISt17integral_constantIbLb1EES19_EEDaS14_S15_EUlS14_E_NS1_11comp_targetILNS1_3genE0ELNS1_11target_archE4294967295ELNS1_3gpuE0ELNS1_3repE0EEENS1_30default_config_static_selectorELNS0_4arch9wavefront6targetE1EEEvT1_, .Lfunc_end227-_ZN7rocprim17ROCPRIM_400000_NS6detail17trampoline_kernelINS0_14default_configENS1_25partition_config_selectorILNS1_17partition_subalgoE5EiNS0_10empty_typeEbEEZZNS1_14partition_implILS5_5ELb0ES3_mPiPS6_N6thrust23THRUST_200600_302600_NS18transform_iteratorINSC_6detail9not_fun_tIN6dUtils10isMinusOneIiEEEES9_NSC_11use_defaultESK_EENS0_5tupleIJS9_S6_EEENSM_IJSA_SA_EEES6_PlJS6_EEE10hipError_tPvRmT3_T4_T5_T6_T7_T9_mT8_P12ihipStream_tbDpT10_ENKUlT_T0_E_clISt17integral_constantIbLb1EES19_EEDaS14_S15_EUlS14_E_NS1_11comp_targetILNS1_3genE0ELNS1_11target_archE4294967295ELNS1_3gpuE0ELNS1_3repE0EEENS1_30default_config_static_selectorELNS0_4arch9wavefront6targetE1EEEvT1_
                                        ; -- End function
	.section	.AMDGPU.csdata,"",@progbits
; Kernel info:
; codeLenInByte = 0
; NumSgprs: 4
; NumVgprs: 0
; NumAgprs: 0
; TotalNumVgprs: 0
; ScratchSize: 0
; MemoryBound: 0
; FloatMode: 240
; IeeeMode: 1
; LDSByteSize: 0 bytes/workgroup (compile time only)
; SGPRBlocks: 0
; VGPRBlocks: 0
; NumSGPRsForWavesPerEU: 4
; NumVGPRsForWavesPerEU: 1
; AccumOffset: 4
; Occupancy: 8
; WaveLimiterHint : 0
; COMPUTE_PGM_RSRC2:SCRATCH_EN: 0
; COMPUTE_PGM_RSRC2:USER_SGPR: 6
; COMPUTE_PGM_RSRC2:TRAP_HANDLER: 0
; COMPUTE_PGM_RSRC2:TGID_X_EN: 1
; COMPUTE_PGM_RSRC2:TGID_Y_EN: 0
; COMPUTE_PGM_RSRC2:TGID_Z_EN: 0
; COMPUTE_PGM_RSRC2:TIDIG_COMP_CNT: 0
; COMPUTE_PGM_RSRC3_GFX90A:ACCUM_OFFSET: 0
; COMPUTE_PGM_RSRC3_GFX90A:TG_SPLIT: 0
	.section	.text._ZN7rocprim17ROCPRIM_400000_NS6detail17trampoline_kernelINS0_14default_configENS1_25partition_config_selectorILNS1_17partition_subalgoE5EiNS0_10empty_typeEbEEZZNS1_14partition_implILS5_5ELb0ES3_mPiPS6_N6thrust23THRUST_200600_302600_NS18transform_iteratorINSC_6detail9not_fun_tIN6dUtils10isMinusOneIiEEEES9_NSC_11use_defaultESK_EENS0_5tupleIJS9_S6_EEENSM_IJSA_SA_EEES6_PlJS6_EEE10hipError_tPvRmT3_T4_T5_T6_T7_T9_mT8_P12ihipStream_tbDpT10_ENKUlT_T0_E_clISt17integral_constantIbLb1EES19_EEDaS14_S15_EUlS14_E_NS1_11comp_targetILNS1_3genE5ELNS1_11target_archE942ELNS1_3gpuE9ELNS1_3repE0EEENS1_30default_config_static_selectorELNS0_4arch9wavefront6targetE1EEEvT1_,"axG",@progbits,_ZN7rocprim17ROCPRIM_400000_NS6detail17trampoline_kernelINS0_14default_configENS1_25partition_config_selectorILNS1_17partition_subalgoE5EiNS0_10empty_typeEbEEZZNS1_14partition_implILS5_5ELb0ES3_mPiPS6_N6thrust23THRUST_200600_302600_NS18transform_iteratorINSC_6detail9not_fun_tIN6dUtils10isMinusOneIiEEEES9_NSC_11use_defaultESK_EENS0_5tupleIJS9_S6_EEENSM_IJSA_SA_EEES6_PlJS6_EEE10hipError_tPvRmT3_T4_T5_T6_T7_T9_mT8_P12ihipStream_tbDpT10_ENKUlT_T0_E_clISt17integral_constantIbLb1EES19_EEDaS14_S15_EUlS14_E_NS1_11comp_targetILNS1_3genE5ELNS1_11target_archE942ELNS1_3gpuE9ELNS1_3repE0EEENS1_30default_config_static_selectorELNS0_4arch9wavefront6targetE1EEEvT1_,comdat
	.protected	_ZN7rocprim17ROCPRIM_400000_NS6detail17trampoline_kernelINS0_14default_configENS1_25partition_config_selectorILNS1_17partition_subalgoE5EiNS0_10empty_typeEbEEZZNS1_14partition_implILS5_5ELb0ES3_mPiPS6_N6thrust23THRUST_200600_302600_NS18transform_iteratorINSC_6detail9not_fun_tIN6dUtils10isMinusOneIiEEEES9_NSC_11use_defaultESK_EENS0_5tupleIJS9_S6_EEENSM_IJSA_SA_EEES6_PlJS6_EEE10hipError_tPvRmT3_T4_T5_T6_T7_T9_mT8_P12ihipStream_tbDpT10_ENKUlT_T0_E_clISt17integral_constantIbLb1EES19_EEDaS14_S15_EUlS14_E_NS1_11comp_targetILNS1_3genE5ELNS1_11target_archE942ELNS1_3gpuE9ELNS1_3repE0EEENS1_30default_config_static_selectorELNS0_4arch9wavefront6targetE1EEEvT1_ ; -- Begin function _ZN7rocprim17ROCPRIM_400000_NS6detail17trampoline_kernelINS0_14default_configENS1_25partition_config_selectorILNS1_17partition_subalgoE5EiNS0_10empty_typeEbEEZZNS1_14partition_implILS5_5ELb0ES3_mPiPS6_N6thrust23THRUST_200600_302600_NS18transform_iteratorINSC_6detail9not_fun_tIN6dUtils10isMinusOneIiEEEES9_NSC_11use_defaultESK_EENS0_5tupleIJS9_S6_EEENSM_IJSA_SA_EEES6_PlJS6_EEE10hipError_tPvRmT3_T4_T5_T6_T7_T9_mT8_P12ihipStream_tbDpT10_ENKUlT_T0_E_clISt17integral_constantIbLb1EES19_EEDaS14_S15_EUlS14_E_NS1_11comp_targetILNS1_3genE5ELNS1_11target_archE942ELNS1_3gpuE9ELNS1_3repE0EEENS1_30default_config_static_selectorELNS0_4arch9wavefront6targetE1EEEvT1_
	.globl	_ZN7rocprim17ROCPRIM_400000_NS6detail17trampoline_kernelINS0_14default_configENS1_25partition_config_selectorILNS1_17partition_subalgoE5EiNS0_10empty_typeEbEEZZNS1_14partition_implILS5_5ELb0ES3_mPiPS6_N6thrust23THRUST_200600_302600_NS18transform_iteratorINSC_6detail9not_fun_tIN6dUtils10isMinusOneIiEEEES9_NSC_11use_defaultESK_EENS0_5tupleIJS9_S6_EEENSM_IJSA_SA_EEES6_PlJS6_EEE10hipError_tPvRmT3_T4_T5_T6_T7_T9_mT8_P12ihipStream_tbDpT10_ENKUlT_T0_E_clISt17integral_constantIbLb1EES19_EEDaS14_S15_EUlS14_E_NS1_11comp_targetILNS1_3genE5ELNS1_11target_archE942ELNS1_3gpuE9ELNS1_3repE0EEENS1_30default_config_static_selectorELNS0_4arch9wavefront6targetE1EEEvT1_
	.p2align	8
	.type	_ZN7rocprim17ROCPRIM_400000_NS6detail17trampoline_kernelINS0_14default_configENS1_25partition_config_selectorILNS1_17partition_subalgoE5EiNS0_10empty_typeEbEEZZNS1_14partition_implILS5_5ELb0ES3_mPiPS6_N6thrust23THRUST_200600_302600_NS18transform_iteratorINSC_6detail9not_fun_tIN6dUtils10isMinusOneIiEEEES9_NSC_11use_defaultESK_EENS0_5tupleIJS9_S6_EEENSM_IJSA_SA_EEES6_PlJS6_EEE10hipError_tPvRmT3_T4_T5_T6_T7_T9_mT8_P12ihipStream_tbDpT10_ENKUlT_T0_E_clISt17integral_constantIbLb1EES19_EEDaS14_S15_EUlS14_E_NS1_11comp_targetILNS1_3genE5ELNS1_11target_archE942ELNS1_3gpuE9ELNS1_3repE0EEENS1_30default_config_static_selectorELNS0_4arch9wavefront6targetE1EEEvT1_,@function
_ZN7rocprim17ROCPRIM_400000_NS6detail17trampoline_kernelINS0_14default_configENS1_25partition_config_selectorILNS1_17partition_subalgoE5EiNS0_10empty_typeEbEEZZNS1_14partition_implILS5_5ELb0ES3_mPiPS6_N6thrust23THRUST_200600_302600_NS18transform_iteratorINSC_6detail9not_fun_tIN6dUtils10isMinusOneIiEEEES9_NSC_11use_defaultESK_EENS0_5tupleIJS9_S6_EEENSM_IJSA_SA_EEES6_PlJS6_EEE10hipError_tPvRmT3_T4_T5_T6_T7_T9_mT8_P12ihipStream_tbDpT10_ENKUlT_T0_E_clISt17integral_constantIbLb1EES19_EEDaS14_S15_EUlS14_E_NS1_11comp_targetILNS1_3genE5ELNS1_11target_archE942ELNS1_3gpuE9ELNS1_3repE0EEENS1_30default_config_static_selectorELNS0_4arch9wavefront6targetE1EEEvT1_: ; @_ZN7rocprim17ROCPRIM_400000_NS6detail17trampoline_kernelINS0_14default_configENS1_25partition_config_selectorILNS1_17partition_subalgoE5EiNS0_10empty_typeEbEEZZNS1_14partition_implILS5_5ELb0ES3_mPiPS6_N6thrust23THRUST_200600_302600_NS18transform_iteratorINSC_6detail9not_fun_tIN6dUtils10isMinusOneIiEEEES9_NSC_11use_defaultESK_EENS0_5tupleIJS9_S6_EEENSM_IJSA_SA_EEES6_PlJS6_EEE10hipError_tPvRmT3_T4_T5_T6_T7_T9_mT8_P12ihipStream_tbDpT10_ENKUlT_T0_E_clISt17integral_constantIbLb1EES19_EEDaS14_S15_EUlS14_E_NS1_11comp_targetILNS1_3genE5ELNS1_11target_archE942ELNS1_3gpuE9ELNS1_3repE0EEENS1_30default_config_static_selectorELNS0_4arch9wavefront6targetE1EEEvT1_
; %bb.0:
	.section	.rodata,"a",@progbits
	.p2align	6, 0x0
	.amdhsa_kernel _ZN7rocprim17ROCPRIM_400000_NS6detail17trampoline_kernelINS0_14default_configENS1_25partition_config_selectorILNS1_17partition_subalgoE5EiNS0_10empty_typeEbEEZZNS1_14partition_implILS5_5ELb0ES3_mPiPS6_N6thrust23THRUST_200600_302600_NS18transform_iteratorINSC_6detail9not_fun_tIN6dUtils10isMinusOneIiEEEES9_NSC_11use_defaultESK_EENS0_5tupleIJS9_S6_EEENSM_IJSA_SA_EEES6_PlJS6_EEE10hipError_tPvRmT3_T4_T5_T6_T7_T9_mT8_P12ihipStream_tbDpT10_ENKUlT_T0_E_clISt17integral_constantIbLb1EES19_EEDaS14_S15_EUlS14_E_NS1_11comp_targetILNS1_3genE5ELNS1_11target_archE942ELNS1_3gpuE9ELNS1_3repE0EEENS1_30default_config_static_selectorELNS0_4arch9wavefront6targetE1EEEvT1_
		.amdhsa_group_segment_fixed_size 0
		.amdhsa_private_segment_fixed_size 0
		.amdhsa_kernarg_size 136
		.amdhsa_user_sgpr_count 6
		.amdhsa_user_sgpr_private_segment_buffer 1
		.amdhsa_user_sgpr_dispatch_ptr 0
		.amdhsa_user_sgpr_queue_ptr 0
		.amdhsa_user_sgpr_kernarg_segment_ptr 1
		.amdhsa_user_sgpr_dispatch_id 0
		.amdhsa_user_sgpr_flat_scratch_init 0
		.amdhsa_user_sgpr_kernarg_preload_length 0
		.amdhsa_user_sgpr_kernarg_preload_offset 0
		.amdhsa_user_sgpr_private_segment_size 0
		.amdhsa_uses_dynamic_stack 0
		.amdhsa_system_sgpr_private_segment_wavefront_offset 0
		.amdhsa_system_sgpr_workgroup_id_x 1
		.amdhsa_system_sgpr_workgroup_id_y 0
		.amdhsa_system_sgpr_workgroup_id_z 0
		.amdhsa_system_sgpr_workgroup_info 0
		.amdhsa_system_vgpr_workitem_id 0
		.amdhsa_next_free_vgpr 1
		.amdhsa_next_free_sgpr 0
		.amdhsa_accum_offset 4
		.amdhsa_reserve_vcc 0
		.amdhsa_reserve_flat_scratch 0
		.amdhsa_float_round_mode_32 0
		.amdhsa_float_round_mode_16_64 0
		.amdhsa_float_denorm_mode_32 3
		.amdhsa_float_denorm_mode_16_64 3
		.amdhsa_dx10_clamp 1
		.amdhsa_ieee_mode 1
		.amdhsa_fp16_overflow 0
		.amdhsa_tg_split 0
		.amdhsa_exception_fp_ieee_invalid_op 0
		.amdhsa_exception_fp_denorm_src 0
		.amdhsa_exception_fp_ieee_div_zero 0
		.amdhsa_exception_fp_ieee_overflow 0
		.amdhsa_exception_fp_ieee_underflow 0
		.amdhsa_exception_fp_ieee_inexact 0
		.amdhsa_exception_int_div_zero 0
	.end_amdhsa_kernel
	.section	.text._ZN7rocprim17ROCPRIM_400000_NS6detail17trampoline_kernelINS0_14default_configENS1_25partition_config_selectorILNS1_17partition_subalgoE5EiNS0_10empty_typeEbEEZZNS1_14partition_implILS5_5ELb0ES3_mPiPS6_N6thrust23THRUST_200600_302600_NS18transform_iteratorINSC_6detail9not_fun_tIN6dUtils10isMinusOneIiEEEES9_NSC_11use_defaultESK_EENS0_5tupleIJS9_S6_EEENSM_IJSA_SA_EEES6_PlJS6_EEE10hipError_tPvRmT3_T4_T5_T6_T7_T9_mT8_P12ihipStream_tbDpT10_ENKUlT_T0_E_clISt17integral_constantIbLb1EES19_EEDaS14_S15_EUlS14_E_NS1_11comp_targetILNS1_3genE5ELNS1_11target_archE942ELNS1_3gpuE9ELNS1_3repE0EEENS1_30default_config_static_selectorELNS0_4arch9wavefront6targetE1EEEvT1_,"axG",@progbits,_ZN7rocprim17ROCPRIM_400000_NS6detail17trampoline_kernelINS0_14default_configENS1_25partition_config_selectorILNS1_17partition_subalgoE5EiNS0_10empty_typeEbEEZZNS1_14partition_implILS5_5ELb0ES3_mPiPS6_N6thrust23THRUST_200600_302600_NS18transform_iteratorINSC_6detail9not_fun_tIN6dUtils10isMinusOneIiEEEES9_NSC_11use_defaultESK_EENS0_5tupleIJS9_S6_EEENSM_IJSA_SA_EEES6_PlJS6_EEE10hipError_tPvRmT3_T4_T5_T6_T7_T9_mT8_P12ihipStream_tbDpT10_ENKUlT_T0_E_clISt17integral_constantIbLb1EES19_EEDaS14_S15_EUlS14_E_NS1_11comp_targetILNS1_3genE5ELNS1_11target_archE942ELNS1_3gpuE9ELNS1_3repE0EEENS1_30default_config_static_selectorELNS0_4arch9wavefront6targetE1EEEvT1_,comdat
.Lfunc_end228:
	.size	_ZN7rocprim17ROCPRIM_400000_NS6detail17trampoline_kernelINS0_14default_configENS1_25partition_config_selectorILNS1_17partition_subalgoE5EiNS0_10empty_typeEbEEZZNS1_14partition_implILS5_5ELb0ES3_mPiPS6_N6thrust23THRUST_200600_302600_NS18transform_iteratorINSC_6detail9not_fun_tIN6dUtils10isMinusOneIiEEEES9_NSC_11use_defaultESK_EENS0_5tupleIJS9_S6_EEENSM_IJSA_SA_EEES6_PlJS6_EEE10hipError_tPvRmT3_T4_T5_T6_T7_T9_mT8_P12ihipStream_tbDpT10_ENKUlT_T0_E_clISt17integral_constantIbLb1EES19_EEDaS14_S15_EUlS14_E_NS1_11comp_targetILNS1_3genE5ELNS1_11target_archE942ELNS1_3gpuE9ELNS1_3repE0EEENS1_30default_config_static_selectorELNS0_4arch9wavefront6targetE1EEEvT1_, .Lfunc_end228-_ZN7rocprim17ROCPRIM_400000_NS6detail17trampoline_kernelINS0_14default_configENS1_25partition_config_selectorILNS1_17partition_subalgoE5EiNS0_10empty_typeEbEEZZNS1_14partition_implILS5_5ELb0ES3_mPiPS6_N6thrust23THRUST_200600_302600_NS18transform_iteratorINSC_6detail9not_fun_tIN6dUtils10isMinusOneIiEEEES9_NSC_11use_defaultESK_EENS0_5tupleIJS9_S6_EEENSM_IJSA_SA_EEES6_PlJS6_EEE10hipError_tPvRmT3_T4_T5_T6_T7_T9_mT8_P12ihipStream_tbDpT10_ENKUlT_T0_E_clISt17integral_constantIbLb1EES19_EEDaS14_S15_EUlS14_E_NS1_11comp_targetILNS1_3genE5ELNS1_11target_archE942ELNS1_3gpuE9ELNS1_3repE0EEENS1_30default_config_static_selectorELNS0_4arch9wavefront6targetE1EEEvT1_
                                        ; -- End function
	.section	.AMDGPU.csdata,"",@progbits
; Kernel info:
; codeLenInByte = 0
; NumSgprs: 4
; NumVgprs: 0
; NumAgprs: 0
; TotalNumVgprs: 0
; ScratchSize: 0
; MemoryBound: 0
; FloatMode: 240
; IeeeMode: 1
; LDSByteSize: 0 bytes/workgroup (compile time only)
; SGPRBlocks: 0
; VGPRBlocks: 0
; NumSGPRsForWavesPerEU: 4
; NumVGPRsForWavesPerEU: 1
; AccumOffset: 4
; Occupancy: 8
; WaveLimiterHint : 0
; COMPUTE_PGM_RSRC2:SCRATCH_EN: 0
; COMPUTE_PGM_RSRC2:USER_SGPR: 6
; COMPUTE_PGM_RSRC2:TRAP_HANDLER: 0
; COMPUTE_PGM_RSRC2:TGID_X_EN: 1
; COMPUTE_PGM_RSRC2:TGID_Y_EN: 0
; COMPUTE_PGM_RSRC2:TGID_Z_EN: 0
; COMPUTE_PGM_RSRC2:TIDIG_COMP_CNT: 0
; COMPUTE_PGM_RSRC3_GFX90A:ACCUM_OFFSET: 0
; COMPUTE_PGM_RSRC3_GFX90A:TG_SPLIT: 0
	.section	.text._ZN7rocprim17ROCPRIM_400000_NS6detail17trampoline_kernelINS0_14default_configENS1_25partition_config_selectorILNS1_17partition_subalgoE5EiNS0_10empty_typeEbEEZZNS1_14partition_implILS5_5ELb0ES3_mPiPS6_N6thrust23THRUST_200600_302600_NS18transform_iteratorINSC_6detail9not_fun_tIN6dUtils10isMinusOneIiEEEES9_NSC_11use_defaultESK_EENS0_5tupleIJS9_S6_EEENSM_IJSA_SA_EEES6_PlJS6_EEE10hipError_tPvRmT3_T4_T5_T6_T7_T9_mT8_P12ihipStream_tbDpT10_ENKUlT_T0_E_clISt17integral_constantIbLb1EES19_EEDaS14_S15_EUlS14_E_NS1_11comp_targetILNS1_3genE4ELNS1_11target_archE910ELNS1_3gpuE8ELNS1_3repE0EEENS1_30default_config_static_selectorELNS0_4arch9wavefront6targetE1EEEvT1_,"axG",@progbits,_ZN7rocprim17ROCPRIM_400000_NS6detail17trampoline_kernelINS0_14default_configENS1_25partition_config_selectorILNS1_17partition_subalgoE5EiNS0_10empty_typeEbEEZZNS1_14partition_implILS5_5ELb0ES3_mPiPS6_N6thrust23THRUST_200600_302600_NS18transform_iteratorINSC_6detail9not_fun_tIN6dUtils10isMinusOneIiEEEES9_NSC_11use_defaultESK_EENS0_5tupleIJS9_S6_EEENSM_IJSA_SA_EEES6_PlJS6_EEE10hipError_tPvRmT3_T4_T5_T6_T7_T9_mT8_P12ihipStream_tbDpT10_ENKUlT_T0_E_clISt17integral_constantIbLb1EES19_EEDaS14_S15_EUlS14_E_NS1_11comp_targetILNS1_3genE4ELNS1_11target_archE910ELNS1_3gpuE8ELNS1_3repE0EEENS1_30default_config_static_selectorELNS0_4arch9wavefront6targetE1EEEvT1_,comdat
	.protected	_ZN7rocprim17ROCPRIM_400000_NS6detail17trampoline_kernelINS0_14default_configENS1_25partition_config_selectorILNS1_17partition_subalgoE5EiNS0_10empty_typeEbEEZZNS1_14partition_implILS5_5ELb0ES3_mPiPS6_N6thrust23THRUST_200600_302600_NS18transform_iteratorINSC_6detail9not_fun_tIN6dUtils10isMinusOneIiEEEES9_NSC_11use_defaultESK_EENS0_5tupleIJS9_S6_EEENSM_IJSA_SA_EEES6_PlJS6_EEE10hipError_tPvRmT3_T4_T5_T6_T7_T9_mT8_P12ihipStream_tbDpT10_ENKUlT_T0_E_clISt17integral_constantIbLb1EES19_EEDaS14_S15_EUlS14_E_NS1_11comp_targetILNS1_3genE4ELNS1_11target_archE910ELNS1_3gpuE8ELNS1_3repE0EEENS1_30default_config_static_selectorELNS0_4arch9wavefront6targetE1EEEvT1_ ; -- Begin function _ZN7rocprim17ROCPRIM_400000_NS6detail17trampoline_kernelINS0_14default_configENS1_25partition_config_selectorILNS1_17partition_subalgoE5EiNS0_10empty_typeEbEEZZNS1_14partition_implILS5_5ELb0ES3_mPiPS6_N6thrust23THRUST_200600_302600_NS18transform_iteratorINSC_6detail9not_fun_tIN6dUtils10isMinusOneIiEEEES9_NSC_11use_defaultESK_EENS0_5tupleIJS9_S6_EEENSM_IJSA_SA_EEES6_PlJS6_EEE10hipError_tPvRmT3_T4_T5_T6_T7_T9_mT8_P12ihipStream_tbDpT10_ENKUlT_T0_E_clISt17integral_constantIbLb1EES19_EEDaS14_S15_EUlS14_E_NS1_11comp_targetILNS1_3genE4ELNS1_11target_archE910ELNS1_3gpuE8ELNS1_3repE0EEENS1_30default_config_static_selectorELNS0_4arch9wavefront6targetE1EEEvT1_
	.globl	_ZN7rocprim17ROCPRIM_400000_NS6detail17trampoline_kernelINS0_14default_configENS1_25partition_config_selectorILNS1_17partition_subalgoE5EiNS0_10empty_typeEbEEZZNS1_14partition_implILS5_5ELb0ES3_mPiPS6_N6thrust23THRUST_200600_302600_NS18transform_iteratorINSC_6detail9not_fun_tIN6dUtils10isMinusOneIiEEEES9_NSC_11use_defaultESK_EENS0_5tupleIJS9_S6_EEENSM_IJSA_SA_EEES6_PlJS6_EEE10hipError_tPvRmT3_T4_T5_T6_T7_T9_mT8_P12ihipStream_tbDpT10_ENKUlT_T0_E_clISt17integral_constantIbLb1EES19_EEDaS14_S15_EUlS14_E_NS1_11comp_targetILNS1_3genE4ELNS1_11target_archE910ELNS1_3gpuE8ELNS1_3repE0EEENS1_30default_config_static_selectorELNS0_4arch9wavefront6targetE1EEEvT1_
	.p2align	8
	.type	_ZN7rocprim17ROCPRIM_400000_NS6detail17trampoline_kernelINS0_14default_configENS1_25partition_config_selectorILNS1_17partition_subalgoE5EiNS0_10empty_typeEbEEZZNS1_14partition_implILS5_5ELb0ES3_mPiPS6_N6thrust23THRUST_200600_302600_NS18transform_iteratorINSC_6detail9not_fun_tIN6dUtils10isMinusOneIiEEEES9_NSC_11use_defaultESK_EENS0_5tupleIJS9_S6_EEENSM_IJSA_SA_EEES6_PlJS6_EEE10hipError_tPvRmT3_T4_T5_T6_T7_T9_mT8_P12ihipStream_tbDpT10_ENKUlT_T0_E_clISt17integral_constantIbLb1EES19_EEDaS14_S15_EUlS14_E_NS1_11comp_targetILNS1_3genE4ELNS1_11target_archE910ELNS1_3gpuE8ELNS1_3repE0EEENS1_30default_config_static_selectorELNS0_4arch9wavefront6targetE1EEEvT1_,@function
_ZN7rocprim17ROCPRIM_400000_NS6detail17trampoline_kernelINS0_14default_configENS1_25partition_config_selectorILNS1_17partition_subalgoE5EiNS0_10empty_typeEbEEZZNS1_14partition_implILS5_5ELb0ES3_mPiPS6_N6thrust23THRUST_200600_302600_NS18transform_iteratorINSC_6detail9not_fun_tIN6dUtils10isMinusOneIiEEEES9_NSC_11use_defaultESK_EENS0_5tupleIJS9_S6_EEENSM_IJSA_SA_EEES6_PlJS6_EEE10hipError_tPvRmT3_T4_T5_T6_T7_T9_mT8_P12ihipStream_tbDpT10_ENKUlT_T0_E_clISt17integral_constantIbLb1EES19_EEDaS14_S15_EUlS14_E_NS1_11comp_targetILNS1_3genE4ELNS1_11target_archE910ELNS1_3gpuE8ELNS1_3repE0EEENS1_30default_config_static_selectorELNS0_4arch9wavefront6targetE1EEEvT1_: ; @_ZN7rocprim17ROCPRIM_400000_NS6detail17trampoline_kernelINS0_14default_configENS1_25partition_config_selectorILNS1_17partition_subalgoE5EiNS0_10empty_typeEbEEZZNS1_14partition_implILS5_5ELb0ES3_mPiPS6_N6thrust23THRUST_200600_302600_NS18transform_iteratorINSC_6detail9not_fun_tIN6dUtils10isMinusOneIiEEEES9_NSC_11use_defaultESK_EENS0_5tupleIJS9_S6_EEENSM_IJSA_SA_EEES6_PlJS6_EEE10hipError_tPvRmT3_T4_T5_T6_T7_T9_mT8_P12ihipStream_tbDpT10_ENKUlT_T0_E_clISt17integral_constantIbLb1EES19_EEDaS14_S15_EUlS14_E_NS1_11comp_targetILNS1_3genE4ELNS1_11target_archE910ELNS1_3gpuE8ELNS1_3repE0EEENS1_30default_config_static_selectorELNS0_4arch9wavefront6targetE1EEEvT1_
; %bb.0:
	s_load_dwordx2 s[6:7], s[4:5], 0x20
	s_load_dwordx2 s[14:15], s[4:5], 0x30
	;; [unrolled: 1-line block ×3, first 2 shown]
	s_load_dwordx4 s[16:19], s[4:5], 0x48
	s_load_dwordx2 s[22:23], s[4:5], 0x68
	v_cmp_eq_u32_e64 s[0:1], 0, v0
	s_and_saveexec_b64 s[8:9], s[0:1]
	s_cbranch_execz .LBB229_4
; %bb.1:
	s_mov_b64 s[12:13], exec
	v_mbcnt_lo_u32_b32 v1, s12, 0
	v_mbcnt_hi_u32_b32 v1, s13, v1
	v_cmp_eq_u32_e32 vcc, 0, v1
                                        ; implicit-def: $vgpr2
	s_and_saveexec_b64 s[10:11], vcc
	s_cbranch_execz .LBB229_3
; %bb.2:
	s_load_dwordx2 s[20:21], s[4:5], 0x78
	s_bcnt1_i32_b64 s12, s[12:13]
	v_mov_b32_e32 v2, 0
	v_mov_b32_e32 v3, s12
	s_waitcnt lgkmcnt(0)
	global_atomic_add v2, v2, v3, s[20:21] glc
.LBB229_3:
	s_or_b64 exec, exec, s[10:11]
	s_waitcnt vmcnt(0)
	v_readfirstlane_b32 s10, v2
	v_add_u32_e32 v1, s10, v1
	v_mov_b32_e32 v2, 0
	ds_write_b32 v2, v1
.LBB229_4:
	s_or_b64 exec, exec, s[8:9]
	v_mov_b32_e32 v1, 0
	s_load_dwordx4 s[8:11], s[4:5], 0x8
	s_load_dword s12, s[4:5], 0x70
	s_waitcnt lgkmcnt(0)
	s_barrier
	ds_read_b32 v4, v1
	s_waitcnt lgkmcnt(0)
	s_barrier
	global_load_dwordx2 v[12:13], v1, s[18:19]
	s_lshl_b64 s[4:5], s[10:11], 2
	v_mov_b32_e32 v3, s3
	s_add_u32 s13, s8, s4
	s_mul_i32 s3, s12, 0x700
	s_addc_u32 s26, s9, s5
	s_add_i32 s9, s3, s10
	s_sub_i32 s25, s2, s9
	s_add_i32 s18, s12, -1
	s_addk_i32 s25, 0x700
	v_mov_b32_e32 v2, s2
	s_add_u32 s2, s10, s3
	v_readfirstlane_b32 s24, v4
	s_addc_u32 s3, s11, 0
	s_cmp_eq_u32 s24, s18
	v_cmp_ge_u64_e32 vcc, s[2:3], v[2:3]
	s_cselect_b64 s[18:19], -1, 0
	s_mul_i32 s8, s24, 0x700
	s_mov_b32 s9, 0
	s_and_b64 s[10:11], vcc, s[18:19]
	s_xor_b64 s[20:21], s[10:11], -1
	s_lshl_b64 s[8:9], s[8:9], 2
	s_add_u32 s10, s13, s8
	s_mov_b64 s[2:3], -1
	s_addc_u32 s11, s26, s9
	s_and_b64 vcc, exec, s[20:21]
	s_cbranch_vccz .LBB229_6
; %bb.5:
	v_lshlrev_b32_e32 v1, 2, v0
	v_mov_b32_e32 v2, s11
	v_add_co_u32_e32 v3, vcc, s10, v1
	v_addc_co_u32_e32 v4, vcc, 0, v2, vcc
	v_add_co_u32_e32 v2, vcc, 0x1000, v3
	v_addc_co_u32_e32 v3, vcc, 0, v4, vcc
	global_load_dword v4, v1, s[10:11]
	global_load_dword v5, v1, s[10:11] offset:1024
	global_load_dword v6, v1, s[10:11] offset:2048
	;; [unrolled: 1-line block ×3, first 2 shown]
	global_load_dword v8, v[2:3], off
	global_load_dword v9, v[2:3], off offset:1024
	global_load_dword v10, v[2:3], off offset:2048
	s_mov_b64 s[2:3], 0
	s_waitcnt vmcnt(5)
	ds_write2st64_b32 v1, v4, v5 offset1:4
	s_waitcnt vmcnt(3)
	ds_write2st64_b32 v1, v6, v7 offset0:8 offset1:12
	s_waitcnt vmcnt(1)
	ds_write2st64_b32 v1, v8, v9 offset0:16 offset1:20
	s_waitcnt vmcnt(0)
	ds_write_b32 v1, v10 offset:6144
	s_waitcnt lgkmcnt(0)
	s_barrier
.LBB229_6:
	s_andn2_b64 vcc, exec, s[2:3]
	v_cmp_gt_u32_e64 s[2:3], s25, v0
	s_cbranch_vccnz .LBB229_22
; %bb.7:
                                        ; implicit-def: $vgpr2_vgpr3_vgpr4_vgpr5_vgpr6_vgpr7_vgpr8
	s_and_saveexec_b64 s[12:13], s[2:3]
	s_cbranch_execz .LBB229_9
; %bb.8:
	v_lshlrev_b32_e32 v1, 2, v0
	global_load_dword v2, v1, s[10:11]
.LBB229_9:
	s_or_b64 exec, exec, s[12:13]
	v_or_b32_e32 v1, 0x100, v0
	v_cmp_gt_u32_e32 vcc, s25, v1
	s_and_saveexec_b64 s[2:3], vcc
	s_cbranch_execz .LBB229_11
; %bb.10:
	v_lshlrev_b32_e32 v1, 2, v0
	global_load_dword v3, v1, s[10:11] offset:1024
.LBB229_11:
	s_or_b64 exec, exec, s[2:3]
	v_or_b32_e32 v1, 0x200, v0
	v_cmp_gt_u32_e32 vcc, s25, v1
	s_and_saveexec_b64 s[2:3], vcc
	s_cbranch_execz .LBB229_13
; %bb.12:
	v_lshlrev_b32_e32 v1, 2, v0
	global_load_dword v4, v1, s[10:11] offset:2048
.LBB229_13:
	s_or_b64 exec, exec, s[2:3]
	v_or_b32_e32 v1, 0x300, v0
	v_cmp_gt_u32_e32 vcc, s25, v1
	s_and_saveexec_b64 s[2:3], vcc
	s_cbranch_execz .LBB229_15
; %bb.14:
	v_lshlrev_b32_e32 v1, 2, v0
	global_load_dword v5, v1, s[10:11] offset:3072
.LBB229_15:
	s_or_b64 exec, exec, s[2:3]
	v_or_b32_e32 v1, 0x400, v0
	v_cmp_gt_u32_e32 vcc, s25, v1
	s_and_saveexec_b64 s[2:3], vcc
	s_cbranch_execz .LBB229_17
; %bb.16:
	v_lshlrev_b32_e32 v1, 2, v1
	global_load_dword v6, v1, s[10:11]
.LBB229_17:
	s_or_b64 exec, exec, s[2:3]
	v_or_b32_e32 v1, 0x500, v0
	v_cmp_gt_u32_e32 vcc, s25, v1
	s_and_saveexec_b64 s[2:3], vcc
	s_cbranch_execz .LBB229_19
; %bb.18:
	v_lshlrev_b32_e32 v1, 2, v1
	global_load_dword v7, v1, s[10:11]
.LBB229_19:
	;; [unrolled: 9-line block ×3, first 2 shown]
	s_or_b64 exec, exec, s[2:3]
	v_lshlrev_b32_e32 v1, 2, v0
	s_waitcnt vmcnt(0)
	ds_write2st64_b32 v1, v2, v3 offset1:4
	ds_write2st64_b32 v1, v4, v5 offset0:8 offset1:12
	ds_write2st64_b32 v1, v6, v7 offset0:16 offset1:20
	ds_write_b32 v1, v8 offset:6144
	s_waitcnt lgkmcnt(0)
	s_barrier
.LBB229_22:
	v_mul_u32_u24_e32 v1, 7, v0
	v_lshlrev_b32_e32 v1, 2, v1
	ds_read2_b32 v[16:17], v1 offset1:1
	ds_read2_b32 v[14:15], v1 offset0:2 offset1:3
	ds_read2_b32 v[10:11], v1 offset0:4 offset1:5
	ds_read_b32 v19, v1 offset:24
	s_add_u32 s2, s6, s4
	s_addc_u32 s3, s7, s5
	s_add_u32 s2, s2, s8
	s_addc_u32 s3, s3, s9
	s_mov_b64 s[4:5], -1
	s_and_b64 vcc, exec, s[20:21]
	s_waitcnt lgkmcnt(0)
	s_barrier
	s_cbranch_vccz .LBB229_24
; %bb.23:
	v_lshlrev_b32_e32 v2, 2, v0
	v_mov_b32_e32 v3, s3
	global_load_dword v4, v2, s[2:3]
	global_load_dword v5, v2, s[2:3] offset:1024
	global_load_dword v6, v2, s[2:3] offset:2048
	v_add_co_u32_e32 v7, vcc, s2, v2
	v_addc_co_u32_e32 v3, vcc, 0, v3, vcc
	global_load_dword v8, v2, s[2:3] offset:3072
	s_movk_i32 s4, 0x1000
	v_add_co_u32_e32 v2, vcc, s4, v7
	v_addc_co_u32_e32 v3, vcc, 0, v3, vcc
	global_load_dword v7, v[2:3], off
	global_load_dword v9, v[2:3], off offset:1024
	global_load_dword v18, v[2:3], off offset:2048
	s_mov_b64 s[4:5], 0
	s_waitcnt vmcnt(6)
	v_cmp_ne_u32_e32 vcc, -1, v4
	v_cndmask_b32_e64 v2, 0, 1, vcc
	s_waitcnt vmcnt(5)
	v_cmp_ne_u32_e32 vcc, -1, v5
	v_cndmask_b32_e64 v3, 0, 1, vcc
	;; [unrolled: 3-line block ×4, first 2 shown]
	ds_write_b8 v0, v2
	ds_write_b8 v0, v3 offset:256
	ds_write_b8 v0, v4 offset:512
	;; [unrolled: 1-line block ×3, first 2 shown]
	s_waitcnt vmcnt(2)
	v_cmp_ne_u32_e32 vcc, -1, v7
	v_cndmask_b32_e64 v2, 0, 1, vcc
	s_waitcnt vmcnt(1)
	v_cmp_ne_u32_e32 vcc, -1, v9
	v_cndmask_b32_e64 v3, 0, 1, vcc
	;; [unrolled: 3-line block ×3, first 2 shown]
	ds_write_b8 v0, v2 offset:1024
	ds_write_b8 v0, v3 offset:1280
	;; [unrolled: 1-line block ×3, first 2 shown]
	s_waitcnt lgkmcnt(0)
	s_barrier
.LBB229_24:
	s_andn2_b64 vcc, exec, s[4:5]
	s_cbranch_vccnz .LBB229_40
; %bb.25:
	v_cmp_gt_u32_e32 vcc, s25, v0
	v_mov_b32_e32 v2, 0
	v_mov_b32_e32 v3, 0
	s_and_saveexec_b64 s[4:5], vcc
	s_cbranch_execz .LBB229_27
; %bb.26:
	v_lshlrev_b32_e32 v3, 2, v0
	global_load_dword v3, v3, s[2:3]
	s_waitcnt vmcnt(0)
	v_cmp_ne_u32_e32 vcc, -1, v3
	v_cndmask_b32_e64 v3, 0, 1, vcc
.LBB229_27:
	s_or_b64 exec, exec, s[4:5]
	v_or_b32_e32 v4, 0x100, v0
	v_cmp_gt_u32_e32 vcc, s25, v4
	s_and_saveexec_b64 s[4:5], vcc
	s_cbranch_execz .LBB229_29
; %bb.28:
	v_lshlrev_b32_e32 v2, 2, v0
	global_load_dword v2, v2, s[2:3] offset:1024
	s_waitcnt vmcnt(0)
	v_cmp_ne_u32_e32 vcc, -1, v2
	v_cndmask_b32_e64 v2, 0, 1, vcc
.LBB229_29:
	s_or_b64 exec, exec, s[4:5]
	v_or_b32_e32 v4, 0x200, v0
	v_cmp_gt_u32_e32 vcc, s25, v4
	v_mov_b32_e32 v4, 0
	v_mov_b32_e32 v5, 0
	s_and_saveexec_b64 s[4:5], vcc
	s_cbranch_execz .LBB229_31
; %bb.30:
	v_lshlrev_b32_e32 v5, 2, v0
	global_load_dword v5, v5, s[2:3] offset:2048
	s_waitcnt vmcnt(0)
	v_cmp_ne_u32_e32 vcc, -1, v5
	v_cndmask_b32_e64 v5, 0, 1, vcc
.LBB229_31:
	s_or_b64 exec, exec, s[4:5]
	v_or_b32_e32 v6, 0x300, v0
	v_cmp_gt_u32_e32 vcc, s25, v6
	s_and_saveexec_b64 s[4:5], vcc
	s_cbranch_execz .LBB229_33
; %bb.32:
	v_lshlrev_b32_e32 v4, 2, v0
	global_load_dword v4, v4, s[2:3] offset:3072
	s_waitcnt vmcnt(0)
	v_cmp_ne_u32_e32 vcc, -1, v4
	v_cndmask_b32_e64 v4, 0, 1, vcc
.LBB229_33:
	s_or_b64 exec, exec, s[4:5]
	v_or_b32_e32 v8, 0x400, v0
	v_cmp_gt_u32_e32 vcc, s25, v8
	v_mov_b32_e32 v6, 0
	v_mov_b32_e32 v7, 0
	s_and_saveexec_b64 s[4:5], vcc
	s_cbranch_execz .LBB229_35
; %bb.34:
	v_lshlrev_b32_e32 v7, 2, v8
	global_load_dword v7, v7, s[2:3]
	s_waitcnt vmcnt(0)
	v_cmp_ne_u32_e32 vcc, -1, v7
	v_cndmask_b32_e64 v7, 0, 1, vcc
.LBB229_35:
	s_or_b64 exec, exec, s[4:5]
	v_or_b32_e32 v8, 0x500, v0
	v_cmp_gt_u32_e32 vcc, s25, v8
	s_and_saveexec_b64 s[4:5], vcc
	s_cbranch_execz .LBB229_37
; %bb.36:
	v_lshlrev_b32_e32 v6, 2, v8
	global_load_dword v6, v6, s[2:3]
	s_waitcnt vmcnt(0)
	v_cmp_ne_u32_e32 vcc, -1, v6
	v_cndmask_b32_e64 v6, 0, 1, vcc
.LBB229_37:
	s_or_b64 exec, exec, s[4:5]
	v_or_b32_e32 v9, 0x600, v0
	v_cmp_gt_u32_e32 vcc, s25, v9
	v_mov_b32_e32 v8, 0
	s_and_saveexec_b64 s[4:5], vcc
	s_cbranch_execz .LBB229_39
; %bb.38:
	v_lshlrev_b32_e32 v8, 2, v9
	global_load_dword v8, v8, s[2:3]
	s_waitcnt vmcnt(0)
	v_cmp_ne_u32_e32 vcc, -1, v8
	v_cndmask_b32_e64 v8, 0, 1, vcc
.LBB229_39:
	s_or_b64 exec, exec, s[4:5]
	ds_write_b8 v0, v3
	ds_write_b8 v0, v2 offset:256
	ds_write_b8 v0, v5 offset:512
	;; [unrolled: 1-line block ×6, first 2 shown]
	s_waitcnt lgkmcnt(0)
	s_barrier
.LBB229_40:
	s_movk_i32 s2, 0xffeb
	v_mad_i32_i24 v25, v0, s2, v1
	ds_read_u8 v1, v25
	ds_read_u8 v2, v25 offset:1
	ds_read_u8 v3, v25 offset:2
	;; [unrolled: 1-line block ×6, first 2 shown]
	s_waitcnt lgkmcnt(6)
	v_and_b32_e32 v28, 1, v1
	s_waitcnt lgkmcnt(5)
	v_and_b32_e32 v26, 1, v2
	;; [unrolled: 2-line block ×3, first 2 shown]
	v_add_co_u32_e32 v2, vcc, v26, v28
	v_addc_co_u32_e64 v3, s[2:3], 0, 0, vcc
	v_add_co_u32_e32 v2, vcc, v2, v24
	s_waitcnt lgkmcnt(3)
	v_and_b32_e32 v22, 1, v4
	v_addc_co_u32_e32 v3, vcc, 0, v3, vcc
	v_add_co_u32_e32 v2, vcc, v2, v22
	s_waitcnt lgkmcnt(2)
	v_and_b32_e32 v20, 1, v5
	v_addc_co_u32_e32 v3, vcc, 0, v3, vcc
	;; [unrolled: 4-line block ×4, first 2 shown]
	v_add_co_u32_e32 v30, vcc, v2, v21
	v_mbcnt_lo_u32_b32 v2, -1, 0
	v_mbcnt_hi_u32_b32 v23, -1, v2
	v_addc_co_u32_e32 v31, vcc, 0, v3, vcc
	v_and_b32_e32 v29, 15, v23
	s_cmp_lg_u32 s24, 0
	v_mov_b32_e32 v1, 0
	v_cmp_eq_u32_e64 s[4:5], 0, v29
	v_cmp_lt_u32_e64 s[2:3], 1, v29
	v_cmp_lt_u32_e64 s[10:11], 3, v29
	;; [unrolled: 1-line block ×3, first 2 shown]
	v_and_b32_e32 v27, 16, v23
	v_cmp_eq_u32_e64 s[6:7], 0, v23
	v_cmp_ne_u32_e32 vcc, 0, v23
	s_barrier
	s_cbranch_scc0 .LBB229_73
; %bb.41:
	v_mov_b32_dpp v2, v30 row_shr:1 row_mask:0xf bank_mask:0xf
	v_add_co_u32_e64 v2, s[12:13], v30, v2
	v_addc_co_u32_e64 v3, s[12:13], 0, v31, s[12:13]
	v_mov_b32_dpp v1, v1 row_shr:1 row_mask:0xf bank_mask:0xf
	v_add_co_u32_e64 v4, s[12:13], 0, v2
	v_addc_co_u32_e64 v1, s[12:13], v1, v3, s[12:13]
	v_cndmask_b32_e64 v2, v2, v30, s[4:5]
	v_cndmask_b32_e64 v3, v1, 0, s[4:5]
	v_cndmask_b32_e64 v4, v4, v30, s[4:5]
	v_mov_b32_dpp v5, v2 row_shr:2 row_mask:0xf bank_mask:0xf
	v_cndmask_b32_e64 v1, v1, v31, s[4:5]
	v_mov_b32_dpp v6, v3 row_shr:2 row_mask:0xf bank_mask:0xf
	v_add_co_u32_e64 v5, s[12:13], v5, v4
	v_addc_co_u32_e64 v6, s[12:13], v6, v1, s[12:13]
	v_cndmask_b32_e64 v2, v2, v5, s[2:3]
	v_cndmask_b32_e64 v3, v3, v6, s[2:3]
	v_cndmask_b32_e64 v4, v4, v5, s[2:3]
	v_mov_b32_dpp v5, v2 row_shr:4 row_mask:0xf bank_mask:0xf
	v_cndmask_b32_e64 v1, v1, v6, s[2:3]
	;; [unrolled: 8-line block ×3, first 2 shown]
	v_mov_b32_dpp v6, v3 row_shr:8 row_mask:0xf bank_mask:0xf
	v_add_co_u32_e64 v5, s[10:11], v5, v4
	v_addc_co_u32_e64 v6, s[10:11], v6, v1, s[10:11]
	v_cndmask_b32_e64 v2, v2, v5, s[8:9]
	v_cndmask_b32_e64 v3, v3, v6, s[8:9]
	;; [unrolled: 1-line block ×3, first 2 shown]
	v_mov_b32_dpp v5, v2 row_bcast:15 row_mask:0xf bank_mask:0xf
	v_cndmask_b32_e64 v1, v1, v6, s[8:9]
	v_mov_b32_dpp v6, v3 row_bcast:15 row_mask:0xf bank_mask:0xf
	v_add_co_u32_e64 v5, s[8:9], v5, v4
	v_addc_co_u32_e64 v7, s[8:9], v6, v1, s[8:9]
	v_cmp_eq_u32_e64 s[8:9], 0, v27
	v_cndmask_b32_e64 v3, v7, v3, s[8:9]
	v_cndmask_b32_e64 v2, v5, v2, s[8:9]
	s_nop 0
	v_mov_b32_dpp v8, v3 row_bcast:31 row_mask:0xf bank_mask:0xf
	v_mov_b32_dpp v6, v2 row_bcast:31 row_mask:0xf bank_mask:0xf
	v_pk_mov_b32 v[2:3], v[30:31], v[30:31] op_sel:[0,1]
	s_and_saveexec_b64 s[10:11], vcc
; %bb.42:
	v_cmp_lt_u32_e32 vcc, 31, v23
	v_cndmask_b32_e64 v2, v5, v4, s[8:9]
	v_cndmask_b32_e32 v4, 0, v6, vcc
	v_cndmask_b32_e64 v1, v7, v1, s[8:9]
	v_cndmask_b32_e32 v3, 0, v8, vcc
	v_add_co_u32_e32 v2, vcc, v4, v2
	v_addc_co_u32_e32 v3, vcc, v3, v1, vcc
; %bb.43:
	s_or_b64 exec, exec, s[10:11]
	v_or_b32_e32 v4, 63, v0
	v_lshrrev_b32_e32 v1, 6, v0
	v_cmp_eq_u32_e32 vcc, v4, v0
	s_and_saveexec_b64 s[8:9], vcc
	s_cbranch_execz .LBB229_45
; %bb.44:
	v_lshlrev_b32_e32 v4, 3, v1
	ds_write_b64 v4, v[2:3]
.LBB229_45:
	s_or_b64 exec, exec, s[8:9]
	v_cmp_gt_u32_e32 vcc, 4, v0
	s_waitcnt lgkmcnt(0)
	s_barrier
	s_and_saveexec_b64 s[10:11], vcc
	s_cbranch_execz .LBB229_47
; %bb.46:
	v_lshlrev_b32_e32 v6, 3, v0
	ds_read_b64 v[4:5], v6
	v_and_b32_e32 v7, 3, v23
	v_cmp_ne_u32_e64 s[8:9], 1, v7
	s_waitcnt lgkmcnt(0)
	v_mov_b32_dpp v8, v4 row_shr:1 row_mask:0xf bank_mask:0xf
	v_add_co_u32_e32 v8, vcc, v4, v8
	v_addc_co_u32_e32 v32, vcc, 0, v5, vcc
	v_mov_b32_dpp v9, v5 row_shr:1 row_mask:0xf bank_mask:0xf
	v_add_co_u32_e32 v33, vcc, 0, v8
	v_addc_co_u32_e32 v9, vcc, v9, v32, vcc
	v_cmp_eq_u32_e32 vcc, 0, v7
	v_cndmask_b32_e32 v8, v8, v4, vcc
	v_cndmask_b32_e32 v32, v9, v5, vcc
	s_nop 0
	v_mov_b32_dpp v8, v8 row_shr:2 row_mask:0xf bank_mask:0xf
	v_mov_b32_dpp v32, v32 row_shr:2 row_mask:0xf bank_mask:0xf
	v_cndmask_b32_e64 v7, 0, v8, s[8:9]
	v_cndmask_b32_e64 v8, 0, v32, s[8:9]
	v_add_co_u32_e64 v7, s[8:9], v7, v33
	v_addc_co_u32_e64 v8, s[8:9], v8, v9, s[8:9]
	v_cndmask_b32_e32 v5, v8, v5, vcc
	v_cndmask_b32_e32 v4, v7, v4, vcc
	ds_write_b64 v6, v[4:5]
.LBB229_47:
	s_or_b64 exec, exec, s[10:11]
	v_cmp_gt_u32_e32 vcc, 64, v0
	v_cmp_lt_u32_e64 s[8:9], 63, v0
	s_waitcnt lgkmcnt(0)
	s_barrier
	s_waitcnt lgkmcnt(0)
                                        ; implicit-def: $vgpr32_vgpr33
	s_and_saveexec_b64 s[10:11], s[8:9]
	s_cbranch_execz .LBB229_49
; %bb.48:
	v_lshl_add_u32 v1, v1, 3, -8
	ds_read_b64 v[32:33], v1
	s_waitcnt lgkmcnt(0)
	v_add_co_u32_e64 v2, s[8:9], v32, v2
	v_addc_co_u32_e64 v3, s[8:9], v33, v3, s[8:9]
.LBB229_49:
	s_or_b64 exec, exec, s[10:11]
	v_add_u32_e32 v1, -1, v23
	v_and_b32_e32 v4, 64, v23
	v_cmp_lt_i32_e64 s[8:9], v1, v4
	v_cndmask_b32_e64 v1, v1, v23, s[8:9]
	v_lshlrev_b32_e32 v1, 2, v1
	ds_bpermute_b32 v40, v1, v2
	ds_bpermute_b32 v1, v1, v3
	s_and_saveexec_b64 s[12:13], vcc
	s_cbranch_execz .LBB229_72
; %bb.50:
	v_mov_b32_e32 v5, 0
	ds_read_b64 v[2:3], v5 offset:24
	s_and_saveexec_b64 s[8:9], s[6:7]
	s_cbranch_execz .LBB229_52
; %bb.51:
	s_add_i32 s10, s24, 64
	s_mov_b32 s11, 0
	s_lshl_b64 s[10:11], s[10:11], 4
	s_add_u32 s10, s22, s10
	s_addc_u32 s11, s23, s11
	v_mov_b32_e32 v4, 1
	v_pk_mov_b32 v[6:7], s[10:11], s[10:11] op_sel:[0,1]
	s_waitcnt lgkmcnt(0)
	;;#ASMSTART
	global_store_dwordx4 v[6:7], v[2:5] off	
s_waitcnt vmcnt(0)
	;;#ASMEND
.LBB229_52:
	s_or_b64 exec, exec, s[8:9]
	v_xad_u32 v34, v23, -1, s24
	v_add_u32_e32 v4, 64, v34
	v_lshlrev_b64 v[6:7], 4, v[4:5]
	v_mov_b32_e32 v4, s23
	v_add_co_u32_e32 v36, vcc, s22, v6
	v_addc_co_u32_e32 v37, vcc, v4, v7, vcc
	;;#ASMSTART
	global_load_dwordx4 v[6:9], v[36:37] off glc	
s_waitcnt vmcnt(0)
	;;#ASMEND
	v_and_b32_e32 v4, 0xff, v7
	v_and_b32_e32 v9, 0xff00, v7
	v_or3_b32 v4, 0, v4, v9
	v_or3_b32 v6, v6, 0, 0
	v_and_b32_e32 v9, 0xff000000, v7
	v_and_b32_e32 v7, 0xff0000, v7
	v_or3_b32 v7, v4, v7, v9
	v_or3_b32 v6, v6, 0, 0
	v_cmp_eq_u16_sdwa s[10:11], v8, v5 src0_sel:BYTE_0 src1_sel:DWORD
	s_and_saveexec_b64 s[8:9], s[10:11]
	s_cbranch_execz .LBB229_58
; %bb.53:
	s_mov_b32 s25, 1
	s_mov_b64 s[10:11], 0
	v_mov_b32_e32 v4, 0
.LBB229_54:                             ; =>This Loop Header: Depth=1
                                        ;     Child Loop BB229_55 Depth 2
	s_max_u32 s26, s25, 1
.LBB229_55:                             ;   Parent Loop BB229_54 Depth=1
                                        ; =>  This Inner Loop Header: Depth=2
	s_add_i32 s26, s26, -1
	s_cmp_eq_u32 s26, 0
	s_sleep 1
	s_cbranch_scc0 .LBB229_55
; %bb.56:                               ;   in Loop: Header=BB229_54 Depth=1
	s_cmp_lt_u32 s25, 32
	s_cselect_b64 s[26:27], -1, 0
	s_cmp_lg_u64 s[26:27], 0
	s_addc_u32 s25, s25, 0
	;;#ASMSTART
	global_load_dwordx4 v[6:9], v[36:37] off glc	
s_waitcnt vmcnt(0)
	;;#ASMEND
	v_cmp_ne_u16_sdwa s[26:27], v8, v4 src0_sel:BYTE_0 src1_sel:DWORD
	s_or_b64 s[10:11], s[26:27], s[10:11]
	s_andn2_b64 exec, exec, s[10:11]
	s_cbranch_execnz .LBB229_54
; %bb.57:
	s_or_b64 exec, exec, s[10:11]
.LBB229_58:
	s_or_b64 exec, exec, s[8:9]
	v_and_b32_e32 v42, 63, v23
	v_mov_b32_e32 v41, 2
	v_cmp_ne_u32_e32 vcc, 63, v42
	v_cmp_eq_u16_sdwa s[8:9], v8, v41 src0_sel:BYTE_0 src1_sel:DWORD
	v_lshlrev_b64 v[36:37], v23, -1
	v_addc_co_u32_e32 v9, vcc, 0, v23, vcc
	v_and_b32_e32 v4, s9, v37
	v_lshlrev_b32_e32 v43, 2, v9
	v_or_b32_e32 v4, 0x80000000, v4
	ds_bpermute_b32 v9, v43, v6
	v_and_b32_e32 v5, s8, v36
	v_ffbl_b32_e32 v4, v4
	v_add_u32_e32 v4, 32, v4
	v_ffbl_b32_e32 v5, v5
	v_min_u32_e32 v4, v5, v4
	ds_bpermute_b32 v5, v43, v7
	s_waitcnt lgkmcnt(1)
	v_add_co_u32_e32 v9, vcc, v6, v9
	v_addc_co_u32_e32 v38, vcc, 0, v7, vcc
	v_add_co_u32_e32 v39, vcc, 0, v9
	v_cmp_gt_u32_e64 s[8:9], 62, v42
	s_waitcnt lgkmcnt(0)
	v_addc_co_u32_e32 v5, vcc, v5, v38, vcc
	v_cndmask_b32_e64 v38, 0, 1, s[8:9]
	v_cmp_lt_u32_e32 vcc, v42, v4
	v_lshlrev_b32_e32 v38, 1, v38
	v_cndmask_b32_e32 v9, v6, v9, vcc
	v_add_lshl_u32 v44, v38, v23, 2
	v_cndmask_b32_e32 v5, v7, v5, vcc
	ds_bpermute_b32 v38, v44, v9
	ds_bpermute_b32 v46, v44, v5
	v_cndmask_b32_e32 v39, v6, v39, vcc
	v_add_u32_e32 v45, 2, v42
	v_cmp_gt_u32_e64 s[10:11], 60, v42
	s_waitcnt lgkmcnt(1)
	v_add_co_u32_e64 v38, s[8:9], v38, v39
	s_waitcnt lgkmcnt(0)
	v_addc_co_u32_e64 v46, s[8:9], v46, v5, s[8:9]
	v_cmp_gt_u32_e64 s[8:9], v45, v4
	v_cndmask_b32_e64 v5, v46, v5, s[8:9]
	v_cndmask_b32_e64 v46, 0, 1, s[10:11]
	v_lshlrev_b32_e32 v46, 2, v46
	v_cndmask_b32_e64 v9, v38, v9, s[8:9]
	v_add_lshl_u32 v46, v46, v23, 2
	ds_bpermute_b32 v48, v46, v9
	v_cndmask_b32_e64 v38, v38, v39, s[8:9]
	ds_bpermute_b32 v39, v46, v5
	v_add_u32_e32 v47, 4, v42
	v_cmp_gt_u32_e64 s[10:11], 56, v42
	s_waitcnt lgkmcnt(1)
	v_add_co_u32_e64 v49, s[8:9], v48, v38
	s_waitcnt lgkmcnt(0)
	v_addc_co_u32_e64 v39, s[8:9], v39, v5, s[8:9]
	v_cmp_gt_u32_e64 s[8:9], v47, v4
	v_cndmask_b32_e64 v5, v39, v5, s[8:9]
	v_cndmask_b32_e64 v39, 0, 1, s[10:11]
	v_lshlrev_b32_e32 v39, 3, v39
	v_cndmask_b32_e64 v9, v49, v9, s[8:9]
	v_add_lshl_u32 v48, v39, v23, 2
	ds_bpermute_b32 v39, v48, v9
	ds_bpermute_b32 v50, v48, v5
	v_cndmask_b32_e64 v38, v49, v38, s[8:9]
	v_add_u32_e32 v49, 8, v42
	v_cmp_gt_u32_e64 s[10:11], 48, v42
	s_waitcnt lgkmcnt(1)
	v_add_co_u32_e64 v39, s[8:9], v39, v38
	s_waitcnt lgkmcnt(0)
	v_addc_co_u32_e64 v50, s[8:9], v50, v5, s[8:9]
	v_cmp_gt_u32_e64 s[8:9], v49, v4
	v_cndmask_b32_e64 v5, v50, v5, s[8:9]
	v_cndmask_b32_e64 v50, 0, 1, s[10:11]
	v_lshlrev_b32_e32 v50, 4, v50
	v_cndmask_b32_e64 v9, v39, v9, s[8:9]
	v_add_lshl_u32 v50, v50, v23, 2
	ds_bpermute_b32 v52, v50, v9
	v_cndmask_b32_e64 v38, v39, v38, s[8:9]
	ds_bpermute_b32 v39, v50, v5
	v_cmp_gt_u32_e64 s[10:11], 32, v42
	v_add_u32_e32 v51, 16, v42
	s_waitcnt lgkmcnt(1)
	v_add_co_u32_e64 v54, s[8:9], v52, v38
	s_waitcnt lgkmcnt(0)
	v_addc_co_u32_e64 v39, s[8:9], v39, v5, s[8:9]
	v_cndmask_b32_e64 v52, 0, 1, s[10:11]
	v_cmp_gt_u32_e64 s[8:9], v51, v4
	v_lshlrev_b32_e32 v52, 5, v52
	v_cndmask_b32_e64 v9, v54, v9, s[8:9]
	v_add_lshl_u32 v52, v52, v23, 2
	v_cndmask_b32_e64 v5, v39, v5, s[8:9]
	ds_bpermute_b32 v9, v52, v9
	ds_bpermute_b32 v39, v52, v5
	v_add_u32_e32 v53, 32, v42
	v_cndmask_b32_e64 v38, v54, v38, s[8:9]
	v_cmp_le_u32_e64 s[8:9], v53, v4
	s_waitcnt lgkmcnt(1)
	v_cndmask_b32_e64 v9, 0, v9, s[8:9]
	s_waitcnt lgkmcnt(0)
	v_cndmask_b32_e64 v4, 0, v39, s[8:9]
	v_add_co_u32_e64 v9, s[8:9], v9, v38
	v_addc_co_u32_e64 v4, s[8:9], v4, v5, s[8:9]
	v_mov_b32_e32 v35, 0
	v_cndmask_b32_e32 v7, v7, v4, vcc
	v_cndmask_b32_e32 v6, v6, v9, vcc
	s_branch .LBB229_60
.LBB229_59:                             ;   in Loop: Header=BB229_60 Depth=1
	s_or_b64 exec, exec, s[8:9]
	v_cmp_eq_u16_sdwa s[8:9], v8, v41 src0_sel:BYTE_0 src1_sel:DWORD
	v_and_b32_e32 v9, s9, v37
	v_or_b32_e32 v9, 0x80000000, v9
	ds_bpermute_b32 v39, v43, v6
	v_and_b32_e32 v38, s8, v36
	v_ffbl_b32_e32 v9, v9
	v_add_u32_e32 v9, 32, v9
	v_ffbl_b32_e32 v38, v38
	v_min_u32_e32 v9, v38, v9
	ds_bpermute_b32 v38, v43, v7
	s_waitcnt lgkmcnt(1)
	v_add_co_u32_e32 v39, vcc, v6, v39
	v_addc_co_u32_e32 v54, vcc, 0, v7, vcc
	v_add_co_u32_e32 v55, vcc, 0, v39
	s_waitcnt lgkmcnt(0)
	v_addc_co_u32_e32 v38, vcc, v38, v54, vcc
	v_cmp_lt_u32_e32 vcc, v42, v9
	v_cndmask_b32_e32 v39, v6, v39, vcc
	ds_bpermute_b32 v54, v44, v39
	v_cndmask_b32_e32 v38, v7, v38, vcc
	ds_bpermute_b32 v56, v44, v38
	v_cndmask_b32_e32 v55, v6, v55, vcc
	v_subrev_u32_e32 v34, 64, v34
	s_waitcnt lgkmcnt(1)
	v_add_co_u32_e64 v54, s[8:9], v54, v55
	s_waitcnt lgkmcnt(0)
	v_addc_co_u32_e64 v56, s[8:9], v56, v38, s[8:9]
	v_cmp_gt_u32_e64 s[8:9], v45, v9
	v_cndmask_b32_e64 v39, v54, v39, s[8:9]
	ds_bpermute_b32 v57, v46, v39
	v_cndmask_b32_e64 v38, v56, v38, s[8:9]
	ds_bpermute_b32 v56, v46, v38
	v_cndmask_b32_e64 v54, v54, v55, s[8:9]
	s_waitcnt lgkmcnt(1)
	v_add_co_u32_e64 v55, s[8:9], v57, v54
	s_waitcnt lgkmcnt(0)
	v_addc_co_u32_e64 v56, s[8:9], v56, v38, s[8:9]
	v_cmp_gt_u32_e64 s[8:9], v47, v9
	v_cndmask_b32_e64 v39, v55, v39, s[8:9]
	ds_bpermute_b32 v57, v48, v39
	v_cndmask_b32_e64 v38, v56, v38, s[8:9]
	ds_bpermute_b32 v56, v48, v38
	v_cndmask_b32_e64 v54, v55, v54, s[8:9]
	;; [unrolled: 10-line block ×3, first 2 shown]
	s_waitcnt lgkmcnt(1)
	v_add_co_u32_e64 v55, s[8:9], v57, v54
	s_waitcnt lgkmcnt(0)
	v_addc_co_u32_e64 v56, s[8:9], v56, v38, s[8:9]
	v_cmp_gt_u32_e64 s[8:9], v51, v9
	v_cndmask_b32_e64 v39, v55, v39, s[8:9]
	v_cndmask_b32_e64 v38, v56, v38, s[8:9]
	ds_bpermute_b32 v39, v52, v39
	ds_bpermute_b32 v56, v52, v38
	v_cndmask_b32_e64 v54, v55, v54, s[8:9]
	v_cmp_le_u32_e64 s[8:9], v53, v9
	s_waitcnt lgkmcnt(1)
	v_cndmask_b32_e64 v39, 0, v39, s[8:9]
	s_waitcnt lgkmcnt(0)
	v_cndmask_b32_e64 v9, 0, v56, s[8:9]
	v_add_co_u32_e64 v39, s[8:9], v39, v54
	v_addc_co_u32_e64 v9, s[8:9], v9, v38, s[8:9]
	v_cndmask_b32_e32 v6, v6, v39, vcc
	v_cndmask_b32_e32 v7, v7, v9, vcc
	v_add_co_u32_e32 v6, vcc, v6, v4
	v_addc_co_u32_e32 v7, vcc, v7, v5, vcc
.LBB229_60:                             ; =>This Loop Header: Depth=1
                                        ;     Child Loop BB229_63 Depth 2
                                        ;       Child Loop BB229_64 Depth 3
	v_cmp_ne_u16_sdwa s[8:9], v8, v41 src0_sel:BYTE_0 src1_sel:DWORD
	v_cndmask_b32_e64 v4, 0, 1, s[8:9]
	;;#ASMSTART
	;;#ASMEND
	v_cmp_ne_u32_e32 vcc, 0, v4
	s_cmp_lg_u64 vcc, exec
	v_pk_mov_b32 v[4:5], v[6:7], v[6:7] op_sel:[0,1]
	s_cbranch_scc1 .LBB229_67
; %bb.61:                               ;   in Loop: Header=BB229_60 Depth=1
	v_lshlrev_b64 v[6:7], 4, v[34:35]
	v_mov_b32_e32 v8, s23
	v_add_co_u32_e32 v38, vcc, s22, v6
	v_addc_co_u32_e32 v39, vcc, v8, v7, vcc
	;;#ASMSTART
	global_load_dwordx4 v[6:9], v[38:39] off glc	
s_waitcnt vmcnt(0)
	;;#ASMEND
	v_and_b32_e32 v9, 0xff, v7
	v_and_b32_e32 v54, 0xff00, v7
	v_or3_b32 v9, 0, v9, v54
	v_or3_b32 v6, v6, 0, 0
	v_and_b32_e32 v54, 0xff000000, v7
	v_and_b32_e32 v7, 0xff0000, v7
	v_or3_b32 v7, v9, v7, v54
	v_or3_b32 v6, v6, 0, 0
	v_cmp_eq_u16_sdwa s[10:11], v8, v35 src0_sel:BYTE_0 src1_sel:DWORD
	s_and_saveexec_b64 s[8:9], s[10:11]
	s_cbranch_execz .LBB229_59
; %bb.62:                               ;   in Loop: Header=BB229_60 Depth=1
	s_mov_b32 s25, 1
	s_mov_b64 s[10:11], 0
.LBB229_63:                             ;   Parent Loop BB229_60 Depth=1
                                        ; =>  This Loop Header: Depth=2
                                        ;       Child Loop BB229_64 Depth 3
	s_max_u32 s26, s25, 1
.LBB229_64:                             ;   Parent Loop BB229_60 Depth=1
                                        ;     Parent Loop BB229_63 Depth=2
                                        ; =>    This Inner Loop Header: Depth=3
	s_add_i32 s26, s26, -1
	s_cmp_eq_u32 s26, 0
	s_sleep 1
	s_cbranch_scc0 .LBB229_64
; %bb.65:                               ;   in Loop: Header=BB229_63 Depth=2
	s_cmp_lt_u32 s25, 32
	s_cselect_b64 s[26:27], -1, 0
	s_cmp_lg_u64 s[26:27], 0
	s_addc_u32 s25, s25, 0
	;;#ASMSTART
	global_load_dwordx4 v[6:9], v[38:39] off glc	
s_waitcnt vmcnt(0)
	;;#ASMEND
	v_cmp_ne_u16_sdwa s[26:27], v8, v35 src0_sel:BYTE_0 src1_sel:DWORD
	s_or_b64 s[10:11], s[26:27], s[10:11]
	s_andn2_b64 exec, exec, s[10:11]
	s_cbranch_execnz .LBB229_63
; %bb.66:                               ;   in Loop: Header=BB229_60 Depth=1
	s_or_b64 exec, exec, s[10:11]
	s_branch .LBB229_59
.LBB229_67:                             ;   in Loop: Header=BB229_60 Depth=1
                                        ; implicit-def: $vgpr6_vgpr7
                                        ; implicit-def: $vgpr8
	s_cbranch_execz .LBB229_60
; %bb.68:
	s_and_saveexec_b64 s[8:9], s[6:7]
	s_cbranch_execz .LBB229_70
; %bb.69:
	s_add_i32 s10, s24, 64
	s_mov_b32 s11, 0
	s_lshl_b64 s[10:11], s[10:11], 4
	s_add_u32 s10, s22, s10
	v_add_co_u32_e32 v6, vcc, v4, v2
	s_addc_u32 s11, s23, s11
	v_addc_co_u32_e32 v7, vcc, v5, v3, vcc
	v_mov_b32_e32 v8, 2
	v_mov_b32_e32 v9, 0
	v_pk_mov_b32 v[34:35], s[10:11], s[10:11] op_sel:[0,1]
	;;#ASMSTART
	global_store_dwordx4 v[34:35], v[6:9] off	
s_waitcnt vmcnt(0)
	;;#ASMEND
	ds_write_b128 v9, v[2:5] offset:7168
.LBB229_70:
	s_or_b64 exec, exec, s[8:9]
	s_and_b64 exec, exec, s[0:1]
	s_cbranch_execz .LBB229_72
; %bb.71:
	v_mov_b32_e32 v2, 0
	ds_write_b64 v2, v[4:5] offset:24
.LBB229_72:
	s_or_b64 exec, exec, s[12:13]
	v_mov_b32_e32 v5, 0
	s_waitcnt lgkmcnt(0)
	s_barrier
	ds_read_b64 v[2:3], v5 offset:24
	v_cndmask_b32_e64 v4, v40, v32, s[6:7]
	v_cndmask_b32_e64 v1, v1, v33, s[6:7]
	;; [unrolled: 1-line block ×4, first 2 shown]
	s_waitcnt lgkmcnt(0)
	v_add_co_u32_e32 v40, vcc, v2, v4
	v_addc_co_u32_e32 v41, vcc, v3, v1, vcc
	v_add_co_u32_e32 v38, vcc, v40, v28
	v_addc_co_u32_e32 v39, vcc, 0, v41, vcc
	;; [unrolled: 2-line block ×5, first 2 shown]
	s_barrier
	ds_read_b128 v[4:7], v5 offset:7168
	v_add_co_u32_e32 v2, vcc, v32, v20
	v_addc_co_u32_e32 v3, vcc, 0, v33, vcc
	v_add_co_u32_e32 v8, vcc, v2, v18
	v_addc_co_u32_e32 v9, vcc, 0, v3, vcc
	s_branch .LBB229_85
.LBB229_73:
                                        ; implicit-def: $vgpr6_vgpr7
                                        ; implicit-def: $vgpr8_vgpr9
                                        ; implicit-def: $vgpr2_vgpr3
                                        ; implicit-def: $vgpr32_vgpr33
                                        ; implicit-def: $vgpr34_vgpr35
                                        ; implicit-def: $vgpr36_vgpr37
                                        ; implicit-def: $vgpr38_vgpr39
                                        ; implicit-def: $vgpr40_vgpr41
	s_cbranch_execz .LBB229_85
; %bb.74:
	v_mov_b32_dpp v1, v30 row_shr:1 row_mask:0xf bank_mask:0xf
	v_add_co_u32_e32 v1, vcc, v30, v1
	v_mov_b32_e32 v2, 0
	v_addc_co_u32_e32 v3, vcc, 0, v31, vcc
	s_nop 0
	v_mov_b32_dpp v2, v2 row_shr:1 row_mask:0xf bank_mask:0xf
	s_waitcnt lgkmcnt(0)
	v_add_co_u32_e32 v4, vcc, 0, v1
	v_addc_co_u32_e32 v2, vcc, v2, v3, vcc
	v_cndmask_b32_e64 v1, v1, v30, s[4:5]
	v_cndmask_b32_e64 v3, v2, 0, s[4:5]
	;; [unrolled: 1-line block ×3, first 2 shown]
	v_mov_b32_dpp v5, v1 row_shr:2 row_mask:0xf bank_mask:0xf
	v_cndmask_b32_e64 v2, v2, v31, s[4:5]
	v_mov_b32_dpp v6, v3 row_shr:2 row_mask:0xf bank_mask:0xf
	v_add_co_u32_e32 v5, vcc, v5, v4
	v_addc_co_u32_e32 v6, vcc, v6, v2, vcc
	v_cndmask_b32_e64 v1, v1, v5, s[2:3]
	v_cndmask_b32_e64 v3, v3, v6, s[2:3]
	;; [unrolled: 1-line block ×3, first 2 shown]
	v_mov_b32_dpp v5, v1 row_shr:4 row_mask:0xf bank_mask:0xf
	v_cndmask_b32_e64 v2, v2, v6, s[2:3]
	v_mov_b32_dpp v6, v3 row_shr:4 row_mask:0xf bank_mask:0xf
	v_add_co_u32_e32 v5, vcc, v5, v4
	v_addc_co_u32_e32 v6, vcc, v6, v2, vcc
	v_cmp_lt_u32_e32 vcc, 3, v29
	v_cndmask_b32_e32 v1, v1, v5, vcc
	v_cndmask_b32_e32 v3, v3, v6, vcc
	v_cndmask_b32_e32 v4, v4, v5, vcc
	v_mov_b32_dpp v5, v1 row_shr:8 row_mask:0xf bank_mask:0xf
	v_cndmask_b32_e32 v2, v2, v6, vcc
	v_mov_b32_dpp v6, v3 row_shr:8 row_mask:0xf bank_mask:0xf
	v_add_co_u32_e32 v5, vcc, v5, v4
	v_addc_co_u32_e32 v6, vcc, v6, v2, vcc
	v_cmp_lt_u32_e32 vcc, 7, v29
	v_cndmask_b32_e32 v8, v1, v5, vcc
	v_cndmask_b32_e32 v7, v3, v6, vcc
	;; [unrolled: 1-line block ×4, first 2 shown]
	v_mov_b32_dpp v3, v8 row_bcast:15 row_mask:0xf bank_mask:0xf
	v_mov_b32_dpp v4, v7 row_bcast:15 row_mask:0xf bank_mask:0xf
	v_add_co_u32_e32 v3, vcc, v3, v2
	v_addc_co_u32_e32 v5, vcc, v4, v1, vcc
	v_cmp_eq_u32_e64 s[2:3], 0, v27
	v_cndmask_b32_e64 v6, v5, v7, s[2:3]
	v_cndmask_b32_e64 v4, v3, v8, s[2:3]
	v_cmp_eq_u32_e32 vcc, 0, v23
	v_mov_b32_dpp v6, v6 row_bcast:31 row_mask:0xf bank_mask:0xf
	v_mov_b32_dpp v4, v4 row_bcast:31 row_mask:0xf bank_mask:0xf
	v_cmp_ne_u32_e64 s[4:5], 0, v23
	s_and_saveexec_b64 s[6:7], s[4:5]
; %bb.75:
	v_cndmask_b32_e64 v1, v5, v1, s[2:3]
	v_cndmask_b32_e64 v2, v3, v2, s[2:3]
	v_cmp_lt_u32_e64 s[2:3], 31, v23
	v_cndmask_b32_e64 v4, 0, v4, s[2:3]
	v_cndmask_b32_e64 v3, 0, v6, s[2:3]
	v_add_co_u32_e64 v30, s[2:3], v4, v2
	v_addc_co_u32_e64 v31, s[2:3], v3, v1, s[2:3]
; %bb.76:
	s_or_b64 exec, exec, s[6:7]
	v_or_b32_e32 v2, 63, v0
	v_lshrrev_b32_e32 v1, 6, v0
	v_cmp_eq_u32_e64 s[2:3], v2, v0
	s_and_saveexec_b64 s[4:5], s[2:3]
	s_cbranch_execz .LBB229_78
; %bb.77:
	v_lshlrev_b32_e32 v2, 3, v1
	ds_write_b64 v2, v[30:31]
.LBB229_78:
	s_or_b64 exec, exec, s[4:5]
	v_cmp_gt_u32_e64 s[2:3], 4, v0
	s_waitcnt lgkmcnt(0)
	s_barrier
	s_and_saveexec_b64 s[6:7], s[2:3]
	s_cbranch_execz .LBB229_80
; %bb.79:
	v_add_u32_e32 v4, v25, v0
	ds_read_b64 v[2:3], v4
	v_and_b32_e32 v5, 3, v23
	v_cmp_ne_u32_e64 s[4:5], 1, v5
	s_waitcnt lgkmcnt(0)
	v_mov_b32_dpp v6, v2 row_shr:1 row_mask:0xf bank_mask:0xf
	v_add_co_u32_e64 v6, s[2:3], v2, v6
	v_addc_co_u32_e64 v8, s[2:3], 0, v3, s[2:3]
	v_mov_b32_dpp v7, v3 row_shr:1 row_mask:0xf bank_mask:0xf
	v_add_co_u32_e64 v9, s[2:3], 0, v6
	v_addc_co_u32_e64 v7, s[2:3], v7, v8, s[2:3]
	v_cmp_eq_u32_e64 s[2:3], 0, v5
	v_cndmask_b32_e64 v6, v6, v2, s[2:3]
	v_cndmask_b32_e64 v8, v7, v3, s[2:3]
	s_nop 0
	v_mov_b32_dpp v6, v6 row_shr:2 row_mask:0xf bank_mask:0xf
	v_mov_b32_dpp v8, v8 row_shr:2 row_mask:0xf bank_mask:0xf
	v_cndmask_b32_e64 v5, 0, v6, s[4:5]
	v_cndmask_b32_e64 v6, 0, v8, s[4:5]
	v_add_co_u32_e64 v5, s[4:5], v5, v9
	v_addc_co_u32_e64 v6, s[4:5], v6, v7, s[4:5]
	v_cndmask_b32_e64 v3, v6, v3, s[2:3]
	v_cndmask_b32_e64 v2, v5, v2, s[2:3]
	ds_write_b64 v4, v[2:3]
.LBB229_80:
	s_or_b64 exec, exec, s[6:7]
	v_cmp_lt_u32_e64 s[2:3], 63, v0
	v_pk_mov_b32 v[2:3], 0, 0
	s_waitcnt lgkmcnt(0)
	s_barrier
	s_and_saveexec_b64 s[4:5], s[2:3]
	s_cbranch_execz .LBB229_82
; %bb.81:
	v_lshl_add_u32 v1, v1, 3, -8
	ds_read_b64 v[2:3], v1
.LBB229_82:
	s_or_b64 exec, exec, s[4:5]
	s_waitcnt lgkmcnt(0)
	v_add_co_u32_e64 v1, s[2:3], v2, v30
	v_addc_co_u32_e64 v4, s[2:3], v3, v31, s[2:3]
	v_add_u32_e32 v5, -1, v23
	v_and_b32_e32 v6, 64, v23
	v_cmp_lt_i32_e64 s[2:3], v5, v6
	v_cndmask_b32_e64 v5, v5, v23, s[2:3]
	v_lshlrev_b32_e32 v5, 2, v5
	v_mov_b32_e32 v7, 0
	ds_bpermute_b32 v1, v5, v1
	ds_bpermute_b32 v8, v5, v4
	ds_read_b64 v[4:5], v7 offset:24
	s_and_saveexec_b64 s[2:3], s[0:1]
	s_cbranch_execz .LBB229_84
; %bb.83:
	s_add_u32 s4, s22, 0x400
	s_addc_u32 s5, s23, 0
	v_mov_b32_e32 v6, 2
	v_pk_mov_b32 v[30:31], s[4:5], s[4:5] op_sel:[0,1]
	s_waitcnt lgkmcnt(0)
	;;#ASMSTART
	global_store_dwordx4 v[30:31], v[4:7] off	
s_waitcnt vmcnt(0)
	;;#ASMEND
.LBB229_84:
	s_or_b64 exec, exec, s[2:3]
	s_waitcnt lgkmcnt(2)
	v_cndmask_b32_e32 v1, v1, v2, vcc
	s_waitcnt lgkmcnt(1)
	v_cndmask_b32_e32 v2, v8, v3, vcc
	v_cndmask_b32_e64 v40, v1, 0, s[0:1]
	v_cndmask_b32_e64 v41, v2, 0, s[0:1]
	v_add_co_u32_e32 v38, vcc, v40, v28
	v_addc_co_u32_e32 v39, vcc, 0, v41, vcc
	v_add_co_u32_e32 v36, vcc, v38, v26
	v_addc_co_u32_e32 v37, vcc, 0, v39, vcc
	;; [unrolled: 2-line block ×6, first 2 shown]
	s_waitcnt lgkmcnt(0)
	s_barrier
	v_pk_mov_b32 v[6:7], 0, 0
.LBB229_85:
	s_mov_b64 s[2:3], 0x101
	s_waitcnt lgkmcnt(0)
	v_cmp_gt_u64_e32 vcc, s[2:3], v[4:5]
	s_mov_b64 s[2:3], -1
	s_cbranch_vccnz .LBB229_89
; %bb.86:
	s_and_b64 vcc, exec, s[2:3]
	s_cbranch_vccnz .LBB229_111
.LBB229_87:
	s_and_b64 s[0:1], s[0:1], s[18:19]
	s_and_saveexec_b64 s[2:3], s[0:1]
	s_cbranch_execnz .LBB229_130
.LBB229_88:
	s_endpgm
.LBB229_89:
	v_add_co_u32_e32 v30, vcc, v6, v4
	v_addc_co_u32_e32 v31, vcc, v7, v5, vcc
	s_waitcnt vmcnt(0)
	v_lshlrev_b64 v[42:43], 2, v[12:13]
	v_mov_b32_e32 v23, s15
	v_add_co_u32_e32 v1, vcc, s14, v42
	v_addc_co_u32_e32 v23, vcc, v23, v43, vcc
	v_cmp_lt_u64_e32 vcc, v[40:41], v[30:31]
	s_or_b64 s[4:5], s[20:21], vcc
	s_and_saveexec_b64 s[2:3], s[4:5]
	s_cbranch_execz .LBB229_92
; %bb.90:
	v_cmp_eq_u32_e32 vcc, 1, v28
	s_and_b64 exec, exec, vcc
	s_cbranch_execz .LBB229_92
; %bb.91:
	v_lshlrev_b64 v[42:43], 2, v[40:41]
	v_add_co_u32_e32 v42, vcc, v1, v42
	v_addc_co_u32_e32 v43, vcc, v23, v43, vcc
	global_store_dword v[42:43], v16, off
.LBB229_92:
	s_or_b64 exec, exec, s[2:3]
	v_cmp_lt_u64_e32 vcc, v[38:39], v[30:31]
	s_or_b64 s[4:5], s[20:21], vcc
	s_and_saveexec_b64 s[2:3], s[4:5]
	s_cbranch_execz .LBB229_95
; %bb.93:
	v_cmp_eq_u32_e32 vcc, 1, v26
	s_and_b64 exec, exec, vcc
	s_cbranch_execz .LBB229_95
; %bb.94:
	v_lshlrev_b64 v[42:43], 2, v[38:39]
	v_add_co_u32_e32 v42, vcc, v1, v42
	v_addc_co_u32_e32 v43, vcc, v23, v43, vcc
	global_store_dword v[42:43], v17, off
.LBB229_95:
	s_or_b64 exec, exec, s[2:3]
	;; [unrolled: 15-line block ×7, first 2 shown]
	s_branch .LBB229_87
.LBB229_111:
	v_cmp_eq_u32_e32 vcc, 1, v28
	s_and_saveexec_b64 s[2:3], vcc
	s_cbranch_execnz .LBB229_131
; %bb.112:
	s_or_b64 exec, exec, s[2:3]
	v_cmp_eq_u32_e32 vcc, 1, v26
	s_and_saveexec_b64 s[2:3], vcc
	s_cbranch_execnz .LBB229_132
.LBB229_113:
	s_or_b64 exec, exec, s[2:3]
	v_cmp_eq_u32_e32 vcc, 1, v24
	s_and_saveexec_b64 s[2:3], vcc
	s_cbranch_execnz .LBB229_133
.LBB229_114:
	s_or_b64 exec, exec, s[2:3]
	v_cmp_eq_u32_e32 vcc, 1, v22
	s_and_saveexec_b64 s[2:3], vcc
	s_cbranch_execnz .LBB229_134
.LBB229_115:
	s_or_b64 exec, exec, s[2:3]
	v_cmp_eq_u32_e32 vcc, 1, v20
	s_and_saveexec_b64 s[2:3], vcc
	s_cbranch_execnz .LBB229_135
.LBB229_116:
	s_or_b64 exec, exec, s[2:3]
	v_cmp_eq_u32_e32 vcc, 1, v18
	s_and_saveexec_b64 s[2:3], vcc
	s_cbranch_execnz .LBB229_136
.LBB229_117:
	s_or_b64 exec, exec, s[2:3]
	v_cmp_eq_u32_e32 vcc, 1, v21
	s_and_saveexec_b64 s[2:3], vcc
	s_cbranch_execz .LBB229_119
.LBB229_118:
	v_sub_u32_e32 v1, v8, v6
	v_lshlrev_b32_e32 v1, 2, v1
	ds_write_b32 v1, v19
.LBB229_119:
	s_or_b64 exec, exec, s[2:3]
	v_mov_b32_e32 v1, 0
	v_cmp_gt_u64_e32 vcc, v[4:5], v[0:1]
	s_waitcnt lgkmcnt(0)
	s_barrier
	s_and_saveexec_b64 s[8:9], vcc
	s_cbranch_execz .LBB229_129
; %bb.120:
	v_not_b32_e32 v3, v0
	v_not_b32_e32 v2, 0
	v_add_co_u32_e32 v8, vcc, v4, v3
	v_addc_co_u32_e32 v9, vcc, v5, v2, vcc
	s_mov_b64 s[2:3], 0x2f00
	s_mov_b64 s[4:5], 0x2eff
	v_cmp_gt_u64_e64 s[2:3], s[2:3], v[8:9]
	v_cmp_lt_u64_e32 vcc, s[4:5], v[8:9]
	v_pk_mov_b32 v[2:3], v[0:1], v[0:1] op_sel:[0,1]
	s_and_saveexec_b64 s[10:11], vcc
	s_cbranch_execz .LBB229_126
; %bb.121:
	v_alignbit_b32 v2, v9, v8, 8
	s_mov_b32 s4, 0xffffff
	s_mov_b32 s6, -1
	v_lshlrev_b32_e32 v3, 8, v2
	v_cmp_lt_u32_e32 vcc, s4, v2
	v_not_b32_e32 v2, v0
	s_movk_i32 s7, 0xff
	v_cmp_gt_u32_e64 s[4:5], v3, v2
	v_xor_b32_e32 v2, 0xfffffeff, v0
	v_cmp_lt_u64_e64 s[6:7], s[6:7], v[8:9]
	s_or_b64 s[12:13], s[4:5], vcc
	v_cmp_lt_u32_e64 s[4:5], v2, v3
	s_or_b64 s[6:7], vcc, s[6:7]
	s_or_b64 s[4:5], s[6:7], s[4:5]
	s_or_b64 s[6:7], s[12:13], s[4:5]
	s_mov_b64 s[4:5], -1
	s_xor_b64 s[12:13], s[6:7], -1
	v_pk_mov_b32 v[2:3], v[0:1], v[0:1] op_sel:[0,1]
	s_and_saveexec_b64 s[6:7], s[12:13]
	s_cbranch_execz .LBB229_125
; %bb.122:
	v_lshrrev_b64 v[2:3], 8, v[8:9]
	v_add_co_u32_e32 v14, vcc, 1, v2
	v_addc_co_u32_e32 v15, vcc, 0, v3, vcc
	v_lshlrev_b64 v[8:9], 2, v[6:7]
	s_waitcnt vmcnt(0)
	v_lshlrev_b64 v[10:11], 2, v[12:13]
	v_add_co_u32_e32 v8, vcc, v8, v10
	v_addc_co_u32_e32 v9, vcc, v9, v11, vcc
	v_mov_b32_e32 v11, s15
	v_add_co_u32_e32 v8, vcc, s14, v8
	v_lshlrev_b32_e32 v10, 2, v0
	v_addc_co_u32_e32 v9, vcc, v11, v9, vcc
	v_add_co_u32_e32 v8, vcc, v8, v10
	v_addc_co_u32_e32 v9, vcc, 0, v9, vcc
	s_movk_i32 s4, 0x400
	v_or_b32_e32 v2, 0x100, v0
	v_mov_b32_e32 v3, v1
	v_add_co_u32_e32 v18, vcc, s4, v8
	v_and_b32_e32 v16, -2, v14
	v_mov_b32_e32 v17, v15
	v_addc_co_u32_e32 v19, vcc, 0, v9, vcc
	v_pk_mov_b32 v[10:11], v[2:3], v[2:3] op_sel:[0,1]
	s_mov_b64 s[12:13], 0
	v_pk_mov_b32 v[20:21], v[16:17], v[16:17] op_sel:[0,1]
	v_pk_mov_b32 v[8:9], v[0:1], v[0:1] op_sel:[0,1]
.LBB229_123:                            ; =>This Inner Loop Header: Depth=1
	v_lshlrev_b32_e32 v1, 2, v8
	v_lshlrev_b32_e32 v2, 2, v10
	ds_read_b32 v1, v1
	ds_read_b32 v2, v2
	v_add_co_u32_e32 v10, vcc, 0x200, v10
	v_addc_co_u32_e32 v11, vcc, 0, v11, vcc
	v_add_co_u32_e64 v20, s[4:5], -2, v20
	v_add_co_u32_e32 v8, vcc, 0x200, v8
	v_addc_co_u32_e64 v21, s[4:5], -1, v21, s[4:5]
	v_addc_co_u32_e32 v9, vcc, 0, v9, vcc
	v_cmp_eq_u64_e64 s[4:5], 0, v[20:21]
	s_waitcnt lgkmcnt(1)
	global_store_dword v[18:19], v1, off offset:-1024
	s_waitcnt lgkmcnt(0)
	global_store_dword v[18:19], v2, off
	v_add_co_u32_e32 v18, vcc, 0x800, v18
	s_or_b64 s[12:13], s[4:5], s[12:13]
	v_addc_co_u32_e32 v19, vcc, 0, v19, vcc
	s_andn2_b64 exec, exec, s[12:13]
	s_cbranch_execnz .LBB229_123
; %bb.124:
	s_or_b64 exec, exec, s[12:13]
	v_lshlrev_b64 v[2:3], 8, v[16:17]
	v_cmp_ne_u64_e32 vcc, v[14:15], v[16:17]
	v_or_b32_e32 v3, 0, v3
	v_or_b32_e32 v2, v2, v0
	v_lshl_or_b32 v0, v16, 8, v0
	s_orn2_b64 s[4:5], vcc, exec
.LBB229_125:
	s_or_b64 exec, exec, s[6:7]
	s_andn2_b64 s[2:3], s[2:3], exec
	s_and_b64 s[4:5], s[4:5], exec
	s_or_b64 s[2:3], s[2:3], s[4:5]
.LBB229_126:
	s_or_b64 exec, exec, s[10:11]
	s_and_b64 exec, exec, s[2:3]
	s_cbranch_execz .LBB229_129
; %bb.127:
	v_lshlrev_b64 v[8:9], 2, v[6:7]
	v_mov_b32_e32 v1, s15
	v_add_co_u32_e32 v10, vcc, s14, v8
	v_addc_co_u32_e32 v1, vcc, v1, v9, vcc
	s_waitcnt vmcnt(0)
	v_lshlrev_b64 v[8:9], 2, v[12:13]
	v_add_co_u32_e32 v8, vcc, v10, v8
	v_addc_co_u32_e32 v9, vcc, v1, v9, vcc
	v_add_u32_e32 v0, 0x100, v0
	s_mov_b64 s[4:5], 0
	v_mov_b32_e32 v1, 0
.LBB229_128:                            ; =>This Inner Loop Header: Depth=1
	v_lshlrev_b32_e32 v14, 2, v2
	ds_read_b32 v14, v14
	v_lshlrev_b64 v[10:11], 2, v[2:3]
	v_cmp_le_u64_e32 vcc, v[4:5], v[0:1]
	v_add_co_u32_e64 v10, s[2:3], v8, v10
	v_pk_mov_b32 v[2:3], v[0:1], v[0:1] op_sel:[0,1]
	v_add_u32_e32 v0, 0x100, v0
	v_addc_co_u32_e64 v11, s[2:3], v9, v11, s[2:3]
	s_or_b64 s[4:5], vcc, s[4:5]
	s_waitcnt lgkmcnt(0)
	global_store_dword v[10:11], v14, off
	s_andn2_b64 exec, exec, s[4:5]
	s_cbranch_execnz .LBB229_128
.LBB229_129:
	s_or_b64 exec, exec, s[8:9]
	s_and_b64 s[0:1], s[0:1], s[18:19]
	s_and_saveexec_b64 s[2:3], s[0:1]
	s_cbranch_execz .LBB229_88
.LBB229_130:
	v_add_co_u32_e32 v0, vcc, v6, v4
	v_addc_co_u32_e32 v1, vcc, v7, v5, vcc
	s_waitcnt vmcnt(0)
	v_add_co_u32_e32 v0, vcc, v0, v12
	v_mov_b32_e32 v2, 0
	v_addc_co_u32_e32 v1, vcc, v1, v13, vcc
	global_store_dwordx2 v2, v[0:1], s[16:17]
	s_endpgm
.LBB229_131:
	v_sub_u32_e32 v1, v40, v6
	v_lshlrev_b32_e32 v1, 2, v1
	ds_write_b32 v1, v16
	s_or_b64 exec, exec, s[2:3]
	v_cmp_eq_u32_e32 vcc, 1, v26
	s_and_saveexec_b64 s[2:3], vcc
	s_cbranch_execz .LBB229_113
.LBB229_132:
	v_sub_u32_e32 v1, v38, v6
	v_lshlrev_b32_e32 v1, 2, v1
	ds_write_b32 v1, v17
	s_or_b64 exec, exec, s[2:3]
	v_cmp_eq_u32_e32 vcc, 1, v24
	s_and_saveexec_b64 s[2:3], vcc
	s_cbranch_execz .LBB229_114
.LBB229_133:
	v_sub_u32_e32 v1, v36, v6
	v_lshlrev_b32_e32 v1, 2, v1
	ds_write_b32 v1, v14
	s_or_b64 exec, exec, s[2:3]
	v_cmp_eq_u32_e32 vcc, 1, v22
	s_and_saveexec_b64 s[2:3], vcc
	s_cbranch_execz .LBB229_115
.LBB229_134:
	v_sub_u32_e32 v1, v34, v6
	v_lshlrev_b32_e32 v1, 2, v1
	ds_write_b32 v1, v15
	s_or_b64 exec, exec, s[2:3]
	v_cmp_eq_u32_e32 vcc, 1, v20
	s_and_saveexec_b64 s[2:3], vcc
	s_cbranch_execz .LBB229_116
.LBB229_135:
	v_sub_u32_e32 v1, v32, v6
	v_lshlrev_b32_e32 v1, 2, v1
	ds_write_b32 v1, v10
	s_or_b64 exec, exec, s[2:3]
	v_cmp_eq_u32_e32 vcc, 1, v18
	s_and_saveexec_b64 s[2:3], vcc
	s_cbranch_execz .LBB229_117
.LBB229_136:
	v_sub_u32_e32 v1, v2, v6
	v_lshlrev_b32_e32 v1, 2, v1
	ds_write_b32 v1, v11
	s_or_b64 exec, exec, s[2:3]
	v_cmp_eq_u32_e32 vcc, 1, v21
	s_and_saveexec_b64 s[2:3], vcc
	s_cbranch_execnz .LBB229_118
	s_branch .LBB229_119
	.section	.rodata,"a",@progbits
	.p2align	6, 0x0
	.amdhsa_kernel _ZN7rocprim17ROCPRIM_400000_NS6detail17trampoline_kernelINS0_14default_configENS1_25partition_config_selectorILNS1_17partition_subalgoE5EiNS0_10empty_typeEbEEZZNS1_14partition_implILS5_5ELb0ES3_mPiPS6_N6thrust23THRUST_200600_302600_NS18transform_iteratorINSC_6detail9not_fun_tIN6dUtils10isMinusOneIiEEEES9_NSC_11use_defaultESK_EENS0_5tupleIJS9_S6_EEENSM_IJSA_SA_EEES6_PlJS6_EEE10hipError_tPvRmT3_T4_T5_T6_T7_T9_mT8_P12ihipStream_tbDpT10_ENKUlT_T0_E_clISt17integral_constantIbLb1EES19_EEDaS14_S15_EUlS14_E_NS1_11comp_targetILNS1_3genE4ELNS1_11target_archE910ELNS1_3gpuE8ELNS1_3repE0EEENS1_30default_config_static_selectorELNS0_4arch9wavefront6targetE1EEEvT1_
		.amdhsa_group_segment_fixed_size 7184
		.amdhsa_private_segment_fixed_size 0
		.amdhsa_kernarg_size 136
		.amdhsa_user_sgpr_count 6
		.amdhsa_user_sgpr_private_segment_buffer 1
		.amdhsa_user_sgpr_dispatch_ptr 0
		.amdhsa_user_sgpr_queue_ptr 0
		.amdhsa_user_sgpr_kernarg_segment_ptr 1
		.amdhsa_user_sgpr_dispatch_id 0
		.amdhsa_user_sgpr_flat_scratch_init 0
		.amdhsa_user_sgpr_kernarg_preload_length 0
		.amdhsa_user_sgpr_kernarg_preload_offset 0
		.amdhsa_user_sgpr_private_segment_size 0
		.amdhsa_uses_dynamic_stack 0
		.amdhsa_system_sgpr_private_segment_wavefront_offset 0
		.amdhsa_system_sgpr_workgroup_id_x 1
		.amdhsa_system_sgpr_workgroup_id_y 0
		.amdhsa_system_sgpr_workgroup_id_z 0
		.amdhsa_system_sgpr_workgroup_info 0
		.amdhsa_system_vgpr_workitem_id 0
		.amdhsa_next_free_vgpr 58
		.amdhsa_next_free_sgpr 28
		.amdhsa_accum_offset 60
		.amdhsa_reserve_vcc 1
		.amdhsa_reserve_flat_scratch 0
		.amdhsa_float_round_mode_32 0
		.amdhsa_float_round_mode_16_64 0
		.amdhsa_float_denorm_mode_32 3
		.amdhsa_float_denorm_mode_16_64 3
		.amdhsa_dx10_clamp 1
		.amdhsa_ieee_mode 1
		.amdhsa_fp16_overflow 0
		.amdhsa_tg_split 0
		.amdhsa_exception_fp_ieee_invalid_op 0
		.amdhsa_exception_fp_denorm_src 0
		.amdhsa_exception_fp_ieee_div_zero 0
		.amdhsa_exception_fp_ieee_overflow 0
		.amdhsa_exception_fp_ieee_underflow 0
		.amdhsa_exception_fp_ieee_inexact 0
		.amdhsa_exception_int_div_zero 0
	.end_amdhsa_kernel
	.section	.text._ZN7rocprim17ROCPRIM_400000_NS6detail17trampoline_kernelINS0_14default_configENS1_25partition_config_selectorILNS1_17partition_subalgoE5EiNS0_10empty_typeEbEEZZNS1_14partition_implILS5_5ELb0ES3_mPiPS6_N6thrust23THRUST_200600_302600_NS18transform_iteratorINSC_6detail9not_fun_tIN6dUtils10isMinusOneIiEEEES9_NSC_11use_defaultESK_EENS0_5tupleIJS9_S6_EEENSM_IJSA_SA_EEES6_PlJS6_EEE10hipError_tPvRmT3_T4_T5_T6_T7_T9_mT8_P12ihipStream_tbDpT10_ENKUlT_T0_E_clISt17integral_constantIbLb1EES19_EEDaS14_S15_EUlS14_E_NS1_11comp_targetILNS1_3genE4ELNS1_11target_archE910ELNS1_3gpuE8ELNS1_3repE0EEENS1_30default_config_static_selectorELNS0_4arch9wavefront6targetE1EEEvT1_,"axG",@progbits,_ZN7rocprim17ROCPRIM_400000_NS6detail17trampoline_kernelINS0_14default_configENS1_25partition_config_selectorILNS1_17partition_subalgoE5EiNS0_10empty_typeEbEEZZNS1_14partition_implILS5_5ELb0ES3_mPiPS6_N6thrust23THRUST_200600_302600_NS18transform_iteratorINSC_6detail9not_fun_tIN6dUtils10isMinusOneIiEEEES9_NSC_11use_defaultESK_EENS0_5tupleIJS9_S6_EEENSM_IJSA_SA_EEES6_PlJS6_EEE10hipError_tPvRmT3_T4_T5_T6_T7_T9_mT8_P12ihipStream_tbDpT10_ENKUlT_T0_E_clISt17integral_constantIbLb1EES19_EEDaS14_S15_EUlS14_E_NS1_11comp_targetILNS1_3genE4ELNS1_11target_archE910ELNS1_3gpuE8ELNS1_3repE0EEENS1_30default_config_static_selectorELNS0_4arch9wavefront6targetE1EEEvT1_,comdat
.Lfunc_end229:
	.size	_ZN7rocprim17ROCPRIM_400000_NS6detail17trampoline_kernelINS0_14default_configENS1_25partition_config_selectorILNS1_17partition_subalgoE5EiNS0_10empty_typeEbEEZZNS1_14partition_implILS5_5ELb0ES3_mPiPS6_N6thrust23THRUST_200600_302600_NS18transform_iteratorINSC_6detail9not_fun_tIN6dUtils10isMinusOneIiEEEES9_NSC_11use_defaultESK_EENS0_5tupleIJS9_S6_EEENSM_IJSA_SA_EEES6_PlJS6_EEE10hipError_tPvRmT3_T4_T5_T6_T7_T9_mT8_P12ihipStream_tbDpT10_ENKUlT_T0_E_clISt17integral_constantIbLb1EES19_EEDaS14_S15_EUlS14_E_NS1_11comp_targetILNS1_3genE4ELNS1_11target_archE910ELNS1_3gpuE8ELNS1_3repE0EEENS1_30default_config_static_selectorELNS0_4arch9wavefront6targetE1EEEvT1_, .Lfunc_end229-_ZN7rocprim17ROCPRIM_400000_NS6detail17trampoline_kernelINS0_14default_configENS1_25partition_config_selectorILNS1_17partition_subalgoE5EiNS0_10empty_typeEbEEZZNS1_14partition_implILS5_5ELb0ES3_mPiPS6_N6thrust23THRUST_200600_302600_NS18transform_iteratorINSC_6detail9not_fun_tIN6dUtils10isMinusOneIiEEEES9_NSC_11use_defaultESK_EENS0_5tupleIJS9_S6_EEENSM_IJSA_SA_EEES6_PlJS6_EEE10hipError_tPvRmT3_T4_T5_T6_T7_T9_mT8_P12ihipStream_tbDpT10_ENKUlT_T0_E_clISt17integral_constantIbLb1EES19_EEDaS14_S15_EUlS14_E_NS1_11comp_targetILNS1_3genE4ELNS1_11target_archE910ELNS1_3gpuE8ELNS1_3repE0EEENS1_30default_config_static_selectorELNS0_4arch9wavefront6targetE1EEEvT1_
                                        ; -- End function
	.section	.AMDGPU.csdata,"",@progbits
; Kernel info:
; codeLenInByte = 6820
; NumSgprs: 32
; NumVgprs: 58
; NumAgprs: 0
; TotalNumVgprs: 58
; ScratchSize: 0
; MemoryBound: 0
; FloatMode: 240
; IeeeMode: 1
; LDSByteSize: 7184 bytes/workgroup (compile time only)
; SGPRBlocks: 3
; VGPRBlocks: 7
; NumSGPRsForWavesPerEU: 32
; NumVGPRsForWavesPerEU: 58
; AccumOffset: 60
; Occupancy: 8
; WaveLimiterHint : 1
; COMPUTE_PGM_RSRC2:SCRATCH_EN: 0
; COMPUTE_PGM_RSRC2:USER_SGPR: 6
; COMPUTE_PGM_RSRC2:TRAP_HANDLER: 0
; COMPUTE_PGM_RSRC2:TGID_X_EN: 1
; COMPUTE_PGM_RSRC2:TGID_Y_EN: 0
; COMPUTE_PGM_RSRC2:TGID_Z_EN: 0
; COMPUTE_PGM_RSRC2:TIDIG_COMP_CNT: 0
; COMPUTE_PGM_RSRC3_GFX90A:ACCUM_OFFSET: 14
; COMPUTE_PGM_RSRC3_GFX90A:TG_SPLIT: 0
	.section	.text._ZN7rocprim17ROCPRIM_400000_NS6detail17trampoline_kernelINS0_14default_configENS1_25partition_config_selectorILNS1_17partition_subalgoE5EiNS0_10empty_typeEbEEZZNS1_14partition_implILS5_5ELb0ES3_mPiPS6_N6thrust23THRUST_200600_302600_NS18transform_iteratorINSC_6detail9not_fun_tIN6dUtils10isMinusOneIiEEEES9_NSC_11use_defaultESK_EENS0_5tupleIJS9_S6_EEENSM_IJSA_SA_EEES6_PlJS6_EEE10hipError_tPvRmT3_T4_T5_T6_T7_T9_mT8_P12ihipStream_tbDpT10_ENKUlT_T0_E_clISt17integral_constantIbLb1EES19_EEDaS14_S15_EUlS14_E_NS1_11comp_targetILNS1_3genE3ELNS1_11target_archE908ELNS1_3gpuE7ELNS1_3repE0EEENS1_30default_config_static_selectorELNS0_4arch9wavefront6targetE1EEEvT1_,"axG",@progbits,_ZN7rocprim17ROCPRIM_400000_NS6detail17trampoline_kernelINS0_14default_configENS1_25partition_config_selectorILNS1_17partition_subalgoE5EiNS0_10empty_typeEbEEZZNS1_14partition_implILS5_5ELb0ES3_mPiPS6_N6thrust23THRUST_200600_302600_NS18transform_iteratorINSC_6detail9not_fun_tIN6dUtils10isMinusOneIiEEEES9_NSC_11use_defaultESK_EENS0_5tupleIJS9_S6_EEENSM_IJSA_SA_EEES6_PlJS6_EEE10hipError_tPvRmT3_T4_T5_T6_T7_T9_mT8_P12ihipStream_tbDpT10_ENKUlT_T0_E_clISt17integral_constantIbLb1EES19_EEDaS14_S15_EUlS14_E_NS1_11comp_targetILNS1_3genE3ELNS1_11target_archE908ELNS1_3gpuE7ELNS1_3repE0EEENS1_30default_config_static_selectorELNS0_4arch9wavefront6targetE1EEEvT1_,comdat
	.protected	_ZN7rocprim17ROCPRIM_400000_NS6detail17trampoline_kernelINS0_14default_configENS1_25partition_config_selectorILNS1_17partition_subalgoE5EiNS0_10empty_typeEbEEZZNS1_14partition_implILS5_5ELb0ES3_mPiPS6_N6thrust23THRUST_200600_302600_NS18transform_iteratorINSC_6detail9not_fun_tIN6dUtils10isMinusOneIiEEEES9_NSC_11use_defaultESK_EENS0_5tupleIJS9_S6_EEENSM_IJSA_SA_EEES6_PlJS6_EEE10hipError_tPvRmT3_T4_T5_T6_T7_T9_mT8_P12ihipStream_tbDpT10_ENKUlT_T0_E_clISt17integral_constantIbLb1EES19_EEDaS14_S15_EUlS14_E_NS1_11comp_targetILNS1_3genE3ELNS1_11target_archE908ELNS1_3gpuE7ELNS1_3repE0EEENS1_30default_config_static_selectorELNS0_4arch9wavefront6targetE1EEEvT1_ ; -- Begin function _ZN7rocprim17ROCPRIM_400000_NS6detail17trampoline_kernelINS0_14default_configENS1_25partition_config_selectorILNS1_17partition_subalgoE5EiNS0_10empty_typeEbEEZZNS1_14partition_implILS5_5ELb0ES3_mPiPS6_N6thrust23THRUST_200600_302600_NS18transform_iteratorINSC_6detail9not_fun_tIN6dUtils10isMinusOneIiEEEES9_NSC_11use_defaultESK_EENS0_5tupleIJS9_S6_EEENSM_IJSA_SA_EEES6_PlJS6_EEE10hipError_tPvRmT3_T4_T5_T6_T7_T9_mT8_P12ihipStream_tbDpT10_ENKUlT_T0_E_clISt17integral_constantIbLb1EES19_EEDaS14_S15_EUlS14_E_NS1_11comp_targetILNS1_3genE3ELNS1_11target_archE908ELNS1_3gpuE7ELNS1_3repE0EEENS1_30default_config_static_selectorELNS0_4arch9wavefront6targetE1EEEvT1_
	.globl	_ZN7rocprim17ROCPRIM_400000_NS6detail17trampoline_kernelINS0_14default_configENS1_25partition_config_selectorILNS1_17partition_subalgoE5EiNS0_10empty_typeEbEEZZNS1_14partition_implILS5_5ELb0ES3_mPiPS6_N6thrust23THRUST_200600_302600_NS18transform_iteratorINSC_6detail9not_fun_tIN6dUtils10isMinusOneIiEEEES9_NSC_11use_defaultESK_EENS0_5tupleIJS9_S6_EEENSM_IJSA_SA_EEES6_PlJS6_EEE10hipError_tPvRmT3_T4_T5_T6_T7_T9_mT8_P12ihipStream_tbDpT10_ENKUlT_T0_E_clISt17integral_constantIbLb1EES19_EEDaS14_S15_EUlS14_E_NS1_11comp_targetILNS1_3genE3ELNS1_11target_archE908ELNS1_3gpuE7ELNS1_3repE0EEENS1_30default_config_static_selectorELNS0_4arch9wavefront6targetE1EEEvT1_
	.p2align	8
	.type	_ZN7rocprim17ROCPRIM_400000_NS6detail17trampoline_kernelINS0_14default_configENS1_25partition_config_selectorILNS1_17partition_subalgoE5EiNS0_10empty_typeEbEEZZNS1_14partition_implILS5_5ELb0ES3_mPiPS6_N6thrust23THRUST_200600_302600_NS18transform_iteratorINSC_6detail9not_fun_tIN6dUtils10isMinusOneIiEEEES9_NSC_11use_defaultESK_EENS0_5tupleIJS9_S6_EEENSM_IJSA_SA_EEES6_PlJS6_EEE10hipError_tPvRmT3_T4_T5_T6_T7_T9_mT8_P12ihipStream_tbDpT10_ENKUlT_T0_E_clISt17integral_constantIbLb1EES19_EEDaS14_S15_EUlS14_E_NS1_11comp_targetILNS1_3genE3ELNS1_11target_archE908ELNS1_3gpuE7ELNS1_3repE0EEENS1_30default_config_static_selectorELNS0_4arch9wavefront6targetE1EEEvT1_,@function
_ZN7rocprim17ROCPRIM_400000_NS6detail17trampoline_kernelINS0_14default_configENS1_25partition_config_selectorILNS1_17partition_subalgoE5EiNS0_10empty_typeEbEEZZNS1_14partition_implILS5_5ELb0ES3_mPiPS6_N6thrust23THRUST_200600_302600_NS18transform_iteratorINSC_6detail9not_fun_tIN6dUtils10isMinusOneIiEEEES9_NSC_11use_defaultESK_EENS0_5tupleIJS9_S6_EEENSM_IJSA_SA_EEES6_PlJS6_EEE10hipError_tPvRmT3_T4_T5_T6_T7_T9_mT8_P12ihipStream_tbDpT10_ENKUlT_T0_E_clISt17integral_constantIbLb1EES19_EEDaS14_S15_EUlS14_E_NS1_11comp_targetILNS1_3genE3ELNS1_11target_archE908ELNS1_3gpuE7ELNS1_3repE0EEENS1_30default_config_static_selectorELNS0_4arch9wavefront6targetE1EEEvT1_: ; @_ZN7rocprim17ROCPRIM_400000_NS6detail17trampoline_kernelINS0_14default_configENS1_25partition_config_selectorILNS1_17partition_subalgoE5EiNS0_10empty_typeEbEEZZNS1_14partition_implILS5_5ELb0ES3_mPiPS6_N6thrust23THRUST_200600_302600_NS18transform_iteratorINSC_6detail9not_fun_tIN6dUtils10isMinusOneIiEEEES9_NSC_11use_defaultESK_EENS0_5tupleIJS9_S6_EEENSM_IJSA_SA_EEES6_PlJS6_EEE10hipError_tPvRmT3_T4_T5_T6_T7_T9_mT8_P12ihipStream_tbDpT10_ENKUlT_T0_E_clISt17integral_constantIbLb1EES19_EEDaS14_S15_EUlS14_E_NS1_11comp_targetILNS1_3genE3ELNS1_11target_archE908ELNS1_3gpuE7ELNS1_3repE0EEENS1_30default_config_static_selectorELNS0_4arch9wavefront6targetE1EEEvT1_
; %bb.0:
	.section	.rodata,"a",@progbits
	.p2align	6, 0x0
	.amdhsa_kernel _ZN7rocprim17ROCPRIM_400000_NS6detail17trampoline_kernelINS0_14default_configENS1_25partition_config_selectorILNS1_17partition_subalgoE5EiNS0_10empty_typeEbEEZZNS1_14partition_implILS5_5ELb0ES3_mPiPS6_N6thrust23THRUST_200600_302600_NS18transform_iteratorINSC_6detail9not_fun_tIN6dUtils10isMinusOneIiEEEES9_NSC_11use_defaultESK_EENS0_5tupleIJS9_S6_EEENSM_IJSA_SA_EEES6_PlJS6_EEE10hipError_tPvRmT3_T4_T5_T6_T7_T9_mT8_P12ihipStream_tbDpT10_ENKUlT_T0_E_clISt17integral_constantIbLb1EES19_EEDaS14_S15_EUlS14_E_NS1_11comp_targetILNS1_3genE3ELNS1_11target_archE908ELNS1_3gpuE7ELNS1_3repE0EEENS1_30default_config_static_selectorELNS0_4arch9wavefront6targetE1EEEvT1_
		.amdhsa_group_segment_fixed_size 0
		.amdhsa_private_segment_fixed_size 0
		.amdhsa_kernarg_size 136
		.amdhsa_user_sgpr_count 6
		.amdhsa_user_sgpr_private_segment_buffer 1
		.amdhsa_user_sgpr_dispatch_ptr 0
		.amdhsa_user_sgpr_queue_ptr 0
		.amdhsa_user_sgpr_kernarg_segment_ptr 1
		.amdhsa_user_sgpr_dispatch_id 0
		.amdhsa_user_sgpr_flat_scratch_init 0
		.amdhsa_user_sgpr_kernarg_preload_length 0
		.amdhsa_user_sgpr_kernarg_preload_offset 0
		.amdhsa_user_sgpr_private_segment_size 0
		.amdhsa_uses_dynamic_stack 0
		.amdhsa_system_sgpr_private_segment_wavefront_offset 0
		.amdhsa_system_sgpr_workgroup_id_x 1
		.amdhsa_system_sgpr_workgroup_id_y 0
		.amdhsa_system_sgpr_workgroup_id_z 0
		.amdhsa_system_sgpr_workgroup_info 0
		.amdhsa_system_vgpr_workitem_id 0
		.amdhsa_next_free_vgpr 1
		.amdhsa_next_free_sgpr 0
		.amdhsa_accum_offset 4
		.amdhsa_reserve_vcc 0
		.amdhsa_reserve_flat_scratch 0
		.amdhsa_float_round_mode_32 0
		.amdhsa_float_round_mode_16_64 0
		.amdhsa_float_denorm_mode_32 3
		.amdhsa_float_denorm_mode_16_64 3
		.amdhsa_dx10_clamp 1
		.amdhsa_ieee_mode 1
		.amdhsa_fp16_overflow 0
		.amdhsa_tg_split 0
		.amdhsa_exception_fp_ieee_invalid_op 0
		.amdhsa_exception_fp_denorm_src 0
		.amdhsa_exception_fp_ieee_div_zero 0
		.amdhsa_exception_fp_ieee_overflow 0
		.amdhsa_exception_fp_ieee_underflow 0
		.amdhsa_exception_fp_ieee_inexact 0
		.amdhsa_exception_int_div_zero 0
	.end_amdhsa_kernel
	.section	.text._ZN7rocprim17ROCPRIM_400000_NS6detail17trampoline_kernelINS0_14default_configENS1_25partition_config_selectorILNS1_17partition_subalgoE5EiNS0_10empty_typeEbEEZZNS1_14partition_implILS5_5ELb0ES3_mPiPS6_N6thrust23THRUST_200600_302600_NS18transform_iteratorINSC_6detail9not_fun_tIN6dUtils10isMinusOneIiEEEES9_NSC_11use_defaultESK_EENS0_5tupleIJS9_S6_EEENSM_IJSA_SA_EEES6_PlJS6_EEE10hipError_tPvRmT3_T4_T5_T6_T7_T9_mT8_P12ihipStream_tbDpT10_ENKUlT_T0_E_clISt17integral_constantIbLb1EES19_EEDaS14_S15_EUlS14_E_NS1_11comp_targetILNS1_3genE3ELNS1_11target_archE908ELNS1_3gpuE7ELNS1_3repE0EEENS1_30default_config_static_selectorELNS0_4arch9wavefront6targetE1EEEvT1_,"axG",@progbits,_ZN7rocprim17ROCPRIM_400000_NS6detail17trampoline_kernelINS0_14default_configENS1_25partition_config_selectorILNS1_17partition_subalgoE5EiNS0_10empty_typeEbEEZZNS1_14partition_implILS5_5ELb0ES3_mPiPS6_N6thrust23THRUST_200600_302600_NS18transform_iteratorINSC_6detail9not_fun_tIN6dUtils10isMinusOneIiEEEES9_NSC_11use_defaultESK_EENS0_5tupleIJS9_S6_EEENSM_IJSA_SA_EEES6_PlJS6_EEE10hipError_tPvRmT3_T4_T5_T6_T7_T9_mT8_P12ihipStream_tbDpT10_ENKUlT_T0_E_clISt17integral_constantIbLb1EES19_EEDaS14_S15_EUlS14_E_NS1_11comp_targetILNS1_3genE3ELNS1_11target_archE908ELNS1_3gpuE7ELNS1_3repE0EEENS1_30default_config_static_selectorELNS0_4arch9wavefront6targetE1EEEvT1_,comdat
.Lfunc_end230:
	.size	_ZN7rocprim17ROCPRIM_400000_NS6detail17trampoline_kernelINS0_14default_configENS1_25partition_config_selectorILNS1_17partition_subalgoE5EiNS0_10empty_typeEbEEZZNS1_14partition_implILS5_5ELb0ES3_mPiPS6_N6thrust23THRUST_200600_302600_NS18transform_iteratorINSC_6detail9not_fun_tIN6dUtils10isMinusOneIiEEEES9_NSC_11use_defaultESK_EENS0_5tupleIJS9_S6_EEENSM_IJSA_SA_EEES6_PlJS6_EEE10hipError_tPvRmT3_T4_T5_T6_T7_T9_mT8_P12ihipStream_tbDpT10_ENKUlT_T0_E_clISt17integral_constantIbLb1EES19_EEDaS14_S15_EUlS14_E_NS1_11comp_targetILNS1_3genE3ELNS1_11target_archE908ELNS1_3gpuE7ELNS1_3repE0EEENS1_30default_config_static_selectorELNS0_4arch9wavefront6targetE1EEEvT1_, .Lfunc_end230-_ZN7rocprim17ROCPRIM_400000_NS6detail17trampoline_kernelINS0_14default_configENS1_25partition_config_selectorILNS1_17partition_subalgoE5EiNS0_10empty_typeEbEEZZNS1_14partition_implILS5_5ELb0ES3_mPiPS6_N6thrust23THRUST_200600_302600_NS18transform_iteratorINSC_6detail9not_fun_tIN6dUtils10isMinusOneIiEEEES9_NSC_11use_defaultESK_EENS0_5tupleIJS9_S6_EEENSM_IJSA_SA_EEES6_PlJS6_EEE10hipError_tPvRmT3_T4_T5_T6_T7_T9_mT8_P12ihipStream_tbDpT10_ENKUlT_T0_E_clISt17integral_constantIbLb1EES19_EEDaS14_S15_EUlS14_E_NS1_11comp_targetILNS1_3genE3ELNS1_11target_archE908ELNS1_3gpuE7ELNS1_3repE0EEENS1_30default_config_static_selectorELNS0_4arch9wavefront6targetE1EEEvT1_
                                        ; -- End function
	.section	.AMDGPU.csdata,"",@progbits
; Kernel info:
; codeLenInByte = 0
; NumSgprs: 4
; NumVgprs: 0
; NumAgprs: 0
; TotalNumVgprs: 0
; ScratchSize: 0
; MemoryBound: 0
; FloatMode: 240
; IeeeMode: 1
; LDSByteSize: 0 bytes/workgroup (compile time only)
; SGPRBlocks: 0
; VGPRBlocks: 0
; NumSGPRsForWavesPerEU: 4
; NumVGPRsForWavesPerEU: 1
; AccumOffset: 4
; Occupancy: 8
; WaveLimiterHint : 0
; COMPUTE_PGM_RSRC2:SCRATCH_EN: 0
; COMPUTE_PGM_RSRC2:USER_SGPR: 6
; COMPUTE_PGM_RSRC2:TRAP_HANDLER: 0
; COMPUTE_PGM_RSRC2:TGID_X_EN: 1
; COMPUTE_PGM_RSRC2:TGID_Y_EN: 0
; COMPUTE_PGM_RSRC2:TGID_Z_EN: 0
; COMPUTE_PGM_RSRC2:TIDIG_COMP_CNT: 0
; COMPUTE_PGM_RSRC3_GFX90A:ACCUM_OFFSET: 0
; COMPUTE_PGM_RSRC3_GFX90A:TG_SPLIT: 0
	.section	.text._ZN7rocprim17ROCPRIM_400000_NS6detail17trampoline_kernelINS0_14default_configENS1_25partition_config_selectorILNS1_17partition_subalgoE5EiNS0_10empty_typeEbEEZZNS1_14partition_implILS5_5ELb0ES3_mPiPS6_N6thrust23THRUST_200600_302600_NS18transform_iteratorINSC_6detail9not_fun_tIN6dUtils10isMinusOneIiEEEES9_NSC_11use_defaultESK_EENS0_5tupleIJS9_S6_EEENSM_IJSA_SA_EEES6_PlJS6_EEE10hipError_tPvRmT3_T4_T5_T6_T7_T9_mT8_P12ihipStream_tbDpT10_ENKUlT_T0_E_clISt17integral_constantIbLb1EES19_EEDaS14_S15_EUlS14_E_NS1_11comp_targetILNS1_3genE2ELNS1_11target_archE906ELNS1_3gpuE6ELNS1_3repE0EEENS1_30default_config_static_selectorELNS0_4arch9wavefront6targetE1EEEvT1_,"axG",@progbits,_ZN7rocprim17ROCPRIM_400000_NS6detail17trampoline_kernelINS0_14default_configENS1_25partition_config_selectorILNS1_17partition_subalgoE5EiNS0_10empty_typeEbEEZZNS1_14partition_implILS5_5ELb0ES3_mPiPS6_N6thrust23THRUST_200600_302600_NS18transform_iteratorINSC_6detail9not_fun_tIN6dUtils10isMinusOneIiEEEES9_NSC_11use_defaultESK_EENS0_5tupleIJS9_S6_EEENSM_IJSA_SA_EEES6_PlJS6_EEE10hipError_tPvRmT3_T4_T5_T6_T7_T9_mT8_P12ihipStream_tbDpT10_ENKUlT_T0_E_clISt17integral_constantIbLb1EES19_EEDaS14_S15_EUlS14_E_NS1_11comp_targetILNS1_3genE2ELNS1_11target_archE906ELNS1_3gpuE6ELNS1_3repE0EEENS1_30default_config_static_selectorELNS0_4arch9wavefront6targetE1EEEvT1_,comdat
	.protected	_ZN7rocprim17ROCPRIM_400000_NS6detail17trampoline_kernelINS0_14default_configENS1_25partition_config_selectorILNS1_17partition_subalgoE5EiNS0_10empty_typeEbEEZZNS1_14partition_implILS5_5ELb0ES3_mPiPS6_N6thrust23THRUST_200600_302600_NS18transform_iteratorINSC_6detail9not_fun_tIN6dUtils10isMinusOneIiEEEES9_NSC_11use_defaultESK_EENS0_5tupleIJS9_S6_EEENSM_IJSA_SA_EEES6_PlJS6_EEE10hipError_tPvRmT3_T4_T5_T6_T7_T9_mT8_P12ihipStream_tbDpT10_ENKUlT_T0_E_clISt17integral_constantIbLb1EES19_EEDaS14_S15_EUlS14_E_NS1_11comp_targetILNS1_3genE2ELNS1_11target_archE906ELNS1_3gpuE6ELNS1_3repE0EEENS1_30default_config_static_selectorELNS0_4arch9wavefront6targetE1EEEvT1_ ; -- Begin function _ZN7rocprim17ROCPRIM_400000_NS6detail17trampoline_kernelINS0_14default_configENS1_25partition_config_selectorILNS1_17partition_subalgoE5EiNS0_10empty_typeEbEEZZNS1_14partition_implILS5_5ELb0ES3_mPiPS6_N6thrust23THRUST_200600_302600_NS18transform_iteratorINSC_6detail9not_fun_tIN6dUtils10isMinusOneIiEEEES9_NSC_11use_defaultESK_EENS0_5tupleIJS9_S6_EEENSM_IJSA_SA_EEES6_PlJS6_EEE10hipError_tPvRmT3_T4_T5_T6_T7_T9_mT8_P12ihipStream_tbDpT10_ENKUlT_T0_E_clISt17integral_constantIbLb1EES19_EEDaS14_S15_EUlS14_E_NS1_11comp_targetILNS1_3genE2ELNS1_11target_archE906ELNS1_3gpuE6ELNS1_3repE0EEENS1_30default_config_static_selectorELNS0_4arch9wavefront6targetE1EEEvT1_
	.globl	_ZN7rocprim17ROCPRIM_400000_NS6detail17trampoline_kernelINS0_14default_configENS1_25partition_config_selectorILNS1_17partition_subalgoE5EiNS0_10empty_typeEbEEZZNS1_14partition_implILS5_5ELb0ES3_mPiPS6_N6thrust23THRUST_200600_302600_NS18transform_iteratorINSC_6detail9not_fun_tIN6dUtils10isMinusOneIiEEEES9_NSC_11use_defaultESK_EENS0_5tupleIJS9_S6_EEENSM_IJSA_SA_EEES6_PlJS6_EEE10hipError_tPvRmT3_T4_T5_T6_T7_T9_mT8_P12ihipStream_tbDpT10_ENKUlT_T0_E_clISt17integral_constantIbLb1EES19_EEDaS14_S15_EUlS14_E_NS1_11comp_targetILNS1_3genE2ELNS1_11target_archE906ELNS1_3gpuE6ELNS1_3repE0EEENS1_30default_config_static_selectorELNS0_4arch9wavefront6targetE1EEEvT1_
	.p2align	8
	.type	_ZN7rocprim17ROCPRIM_400000_NS6detail17trampoline_kernelINS0_14default_configENS1_25partition_config_selectorILNS1_17partition_subalgoE5EiNS0_10empty_typeEbEEZZNS1_14partition_implILS5_5ELb0ES3_mPiPS6_N6thrust23THRUST_200600_302600_NS18transform_iteratorINSC_6detail9not_fun_tIN6dUtils10isMinusOneIiEEEES9_NSC_11use_defaultESK_EENS0_5tupleIJS9_S6_EEENSM_IJSA_SA_EEES6_PlJS6_EEE10hipError_tPvRmT3_T4_T5_T6_T7_T9_mT8_P12ihipStream_tbDpT10_ENKUlT_T0_E_clISt17integral_constantIbLb1EES19_EEDaS14_S15_EUlS14_E_NS1_11comp_targetILNS1_3genE2ELNS1_11target_archE906ELNS1_3gpuE6ELNS1_3repE0EEENS1_30default_config_static_selectorELNS0_4arch9wavefront6targetE1EEEvT1_,@function
_ZN7rocprim17ROCPRIM_400000_NS6detail17trampoline_kernelINS0_14default_configENS1_25partition_config_selectorILNS1_17partition_subalgoE5EiNS0_10empty_typeEbEEZZNS1_14partition_implILS5_5ELb0ES3_mPiPS6_N6thrust23THRUST_200600_302600_NS18transform_iteratorINSC_6detail9not_fun_tIN6dUtils10isMinusOneIiEEEES9_NSC_11use_defaultESK_EENS0_5tupleIJS9_S6_EEENSM_IJSA_SA_EEES6_PlJS6_EEE10hipError_tPvRmT3_T4_T5_T6_T7_T9_mT8_P12ihipStream_tbDpT10_ENKUlT_T0_E_clISt17integral_constantIbLb1EES19_EEDaS14_S15_EUlS14_E_NS1_11comp_targetILNS1_3genE2ELNS1_11target_archE906ELNS1_3gpuE6ELNS1_3repE0EEENS1_30default_config_static_selectorELNS0_4arch9wavefront6targetE1EEEvT1_: ; @_ZN7rocprim17ROCPRIM_400000_NS6detail17trampoline_kernelINS0_14default_configENS1_25partition_config_selectorILNS1_17partition_subalgoE5EiNS0_10empty_typeEbEEZZNS1_14partition_implILS5_5ELb0ES3_mPiPS6_N6thrust23THRUST_200600_302600_NS18transform_iteratorINSC_6detail9not_fun_tIN6dUtils10isMinusOneIiEEEES9_NSC_11use_defaultESK_EENS0_5tupleIJS9_S6_EEENSM_IJSA_SA_EEES6_PlJS6_EEE10hipError_tPvRmT3_T4_T5_T6_T7_T9_mT8_P12ihipStream_tbDpT10_ENKUlT_T0_E_clISt17integral_constantIbLb1EES19_EEDaS14_S15_EUlS14_E_NS1_11comp_targetILNS1_3genE2ELNS1_11target_archE906ELNS1_3gpuE6ELNS1_3repE0EEENS1_30default_config_static_selectorELNS0_4arch9wavefront6targetE1EEEvT1_
; %bb.0:
	.section	.rodata,"a",@progbits
	.p2align	6, 0x0
	.amdhsa_kernel _ZN7rocprim17ROCPRIM_400000_NS6detail17trampoline_kernelINS0_14default_configENS1_25partition_config_selectorILNS1_17partition_subalgoE5EiNS0_10empty_typeEbEEZZNS1_14partition_implILS5_5ELb0ES3_mPiPS6_N6thrust23THRUST_200600_302600_NS18transform_iteratorINSC_6detail9not_fun_tIN6dUtils10isMinusOneIiEEEES9_NSC_11use_defaultESK_EENS0_5tupleIJS9_S6_EEENSM_IJSA_SA_EEES6_PlJS6_EEE10hipError_tPvRmT3_T4_T5_T6_T7_T9_mT8_P12ihipStream_tbDpT10_ENKUlT_T0_E_clISt17integral_constantIbLb1EES19_EEDaS14_S15_EUlS14_E_NS1_11comp_targetILNS1_3genE2ELNS1_11target_archE906ELNS1_3gpuE6ELNS1_3repE0EEENS1_30default_config_static_selectorELNS0_4arch9wavefront6targetE1EEEvT1_
		.amdhsa_group_segment_fixed_size 0
		.amdhsa_private_segment_fixed_size 0
		.amdhsa_kernarg_size 136
		.amdhsa_user_sgpr_count 6
		.amdhsa_user_sgpr_private_segment_buffer 1
		.amdhsa_user_sgpr_dispatch_ptr 0
		.amdhsa_user_sgpr_queue_ptr 0
		.amdhsa_user_sgpr_kernarg_segment_ptr 1
		.amdhsa_user_sgpr_dispatch_id 0
		.amdhsa_user_sgpr_flat_scratch_init 0
		.amdhsa_user_sgpr_kernarg_preload_length 0
		.amdhsa_user_sgpr_kernarg_preload_offset 0
		.amdhsa_user_sgpr_private_segment_size 0
		.amdhsa_uses_dynamic_stack 0
		.amdhsa_system_sgpr_private_segment_wavefront_offset 0
		.amdhsa_system_sgpr_workgroup_id_x 1
		.amdhsa_system_sgpr_workgroup_id_y 0
		.amdhsa_system_sgpr_workgroup_id_z 0
		.amdhsa_system_sgpr_workgroup_info 0
		.amdhsa_system_vgpr_workitem_id 0
		.amdhsa_next_free_vgpr 1
		.amdhsa_next_free_sgpr 0
		.amdhsa_accum_offset 4
		.amdhsa_reserve_vcc 0
		.amdhsa_reserve_flat_scratch 0
		.amdhsa_float_round_mode_32 0
		.amdhsa_float_round_mode_16_64 0
		.amdhsa_float_denorm_mode_32 3
		.amdhsa_float_denorm_mode_16_64 3
		.amdhsa_dx10_clamp 1
		.amdhsa_ieee_mode 1
		.amdhsa_fp16_overflow 0
		.amdhsa_tg_split 0
		.amdhsa_exception_fp_ieee_invalid_op 0
		.amdhsa_exception_fp_denorm_src 0
		.amdhsa_exception_fp_ieee_div_zero 0
		.amdhsa_exception_fp_ieee_overflow 0
		.amdhsa_exception_fp_ieee_underflow 0
		.amdhsa_exception_fp_ieee_inexact 0
		.amdhsa_exception_int_div_zero 0
	.end_amdhsa_kernel
	.section	.text._ZN7rocprim17ROCPRIM_400000_NS6detail17trampoline_kernelINS0_14default_configENS1_25partition_config_selectorILNS1_17partition_subalgoE5EiNS0_10empty_typeEbEEZZNS1_14partition_implILS5_5ELb0ES3_mPiPS6_N6thrust23THRUST_200600_302600_NS18transform_iteratorINSC_6detail9not_fun_tIN6dUtils10isMinusOneIiEEEES9_NSC_11use_defaultESK_EENS0_5tupleIJS9_S6_EEENSM_IJSA_SA_EEES6_PlJS6_EEE10hipError_tPvRmT3_T4_T5_T6_T7_T9_mT8_P12ihipStream_tbDpT10_ENKUlT_T0_E_clISt17integral_constantIbLb1EES19_EEDaS14_S15_EUlS14_E_NS1_11comp_targetILNS1_3genE2ELNS1_11target_archE906ELNS1_3gpuE6ELNS1_3repE0EEENS1_30default_config_static_selectorELNS0_4arch9wavefront6targetE1EEEvT1_,"axG",@progbits,_ZN7rocprim17ROCPRIM_400000_NS6detail17trampoline_kernelINS0_14default_configENS1_25partition_config_selectorILNS1_17partition_subalgoE5EiNS0_10empty_typeEbEEZZNS1_14partition_implILS5_5ELb0ES3_mPiPS6_N6thrust23THRUST_200600_302600_NS18transform_iteratorINSC_6detail9not_fun_tIN6dUtils10isMinusOneIiEEEES9_NSC_11use_defaultESK_EENS0_5tupleIJS9_S6_EEENSM_IJSA_SA_EEES6_PlJS6_EEE10hipError_tPvRmT3_T4_T5_T6_T7_T9_mT8_P12ihipStream_tbDpT10_ENKUlT_T0_E_clISt17integral_constantIbLb1EES19_EEDaS14_S15_EUlS14_E_NS1_11comp_targetILNS1_3genE2ELNS1_11target_archE906ELNS1_3gpuE6ELNS1_3repE0EEENS1_30default_config_static_selectorELNS0_4arch9wavefront6targetE1EEEvT1_,comdat
.Lfunc_end231:
	.size	_ZN7rocprim17ROCPRIM_400000_NS6detail17trampoline_kernelINS0_14default_configENS1_25partition_config_selectorILNS1_17partition_subalgoE5EiNS0_10empty_typeEbEEZZNS1_14partition_implILS5_5ELb0ES3_mPiPS6_N6thrust23THRUST_200600_302600_NS18transform_iteratorINSC_6detail9not_fun_tIN6dUtils10isMinusOneIiEEEES9_NSC_11use_defaultESK_EENS0_5tupleIJS9_S6_EEENSM_IJSA_SA_EEES6_PlJS6_EEE10hipError_tPvRmT3_T4_T5_T6_T7_T9_mT8_P12ihipStream_tbDpT10_ENKUlT_T0_E_clISt17integral_constantIbLb1EES19_EEDaS14_S15_EUlS14_E_NS1_11comp_targetILNS1_3genE2ELNS1_11target_archE906ELNS1_3gpuE6ELNS1_3repE0EEENS1_30default_config_static_selectorELNS0_4arch9wavefront6targetE1EEEvT1_, .Lfunc_end231-_ZN7rocprim17ROCPRIM_400000_NS6detail17trampoline_kernelINS0_14default_configENS1_25partition_config_selectorILNS1_17partition_subalgoE5EiNS0_10empty_typeEbEEZZNS1_14partition_implILS5_5ELb0ES3_mPiPS6_N6thrust23THRUST_200600_302600_NS18transform_iteratorINSC_6detail9not_fun_tIN6dUtils10isMinusOneIiEEEES9_NSC_11use_defaultESK_EENS0_5tupleIJS9_S6_EEENSM_IJSA_SA_EEES6_PlJS6_EEE10hipError_tPvRmT3_T4_T5_T6_T7_T9_mT8_P12ihipStream_tbDpT10_ENKUlT_T0_E_clISt17integral_constantIbLb1EES19_EEDaS14_S15_EUlS14_E_NS1_11comp_targetILNS1_3genE2ELNS1_11target_archE906ELNS1_3gpuE6ELNS1_3repE0EEENS1_30default_config_static_selectorELNS0_4arch9wavefront6targetE1EEEvT1_
                                        ; -- End function
	.section	.AMDGPU.csdata,"",@progbits
; Kernel info:
; codeLenInByte = 0
; NumSgprs: 4
; NumVgprs: 0
; NumAgprs: 0
; TotalNumVgprs: 0
; ScratchSize: 0
; MemoryBound: 0
; FloatMode: 240
; IeeeMode: 1
; LDSByteSize: 0 bytes/workgroup (compile time only)
; SGPRBlocks: 0
; VGPRBlocks: 0
; NumSGPRsForWavesPerEU: 4
; NumVGPRsForWavesPerEU: 1
; AccumOffset: 4
; Occupancy: 8
; WaveLimiterHint : 0
; COMPUTE_PGM_RSRC2:SCRATCH_EN: 0
; COMPUTE_PGM_RSRC2:USER_SGPR: 6
; COMPUTE_PGM_RSRC2:TRAP_HANDLER: 0
; COMPUTE_PGM_RSRC2:TGID_X_EN: 1
; COMPUTE_PGM_RSRC2:TGID_Y_EN: 0
; COMPUTE_PGM_RSRC2:TGID_Z_EN: 0
; COMPUTE_PGM_RSRC2:TIDIG_COMP_CNT: 0
; COMPUTE_PGM_RSRC3_GFX90A:ACCUM_OFFSET: 0
; COMPUTE_PGM_RSRC3_GFX90A:TG_SPLIT: 0
	.section	.text._ZN7rocprim17ROCPRIM_400000_NS6detail17trampoline_kernelINS0_14default_configENS1_25partition_config_selectorILNS1_17partition_subalgoE5EiNS0_10empty_typeEbEEZZNS1_14partition_implILS5_5ELb0ES3_mPiPS6_N6thrust23THRUST_200600_302600_NS18transform_iteratorINSC_6detail9not_fun_tIN6dUtils10isMinusOneIiEEEES9_NSC_11use_defaultESK_EENS0_5tupleIJS9_S6_EEENSM_IJSA_SA_EEES6_PlJS6_EEE10hipError_tPvRmT3_T4_T5_T6_T7_T9_mT8_P12ihipStream_tbDpT10_ENKUlT_T0_E_clISt17integral_constantIbLb1EES19_EEDaS14_S15_EUlS14_E_NS1_11comp_targetILNS1_3genE10ELNS1_11target_archE1200ELNS1_3gpuE4ELNS1_3repE0EEENS1_30default_config_static_selectorELNS0_4arch9wavefront6targetE1EEEvT1_,"axG",@progbits,_ZN7rocprim17ROCPRIM_400000_NS6detail17trampoline_kernelINS0_14default_configENS1_25partition_config_selectorILNS1_17partition_subalgoE5EiNS0_10empty_typeEbEEZZNS1_14partition_implILS5_5ELb0ES3_mPiPS6_N6thrust23THRUST_200600_302600_NS18transform_iteratorINSC_6detail9not_fun_tIN6dUtils10isMinusOneIiEEEES9_NSC_11use_defaultESK_EENS0_5tupleIJS9_S6_EEENSM_IJSA_SA_EEES6_PlJS6_EEE10hipError_tPvRmT3_T4_T5_T6_T7_T9_mT8_P12ihipStream_tbDpT10_ENKUlT_T0_E_clISt17integral_constantIbLb1EES19_EEDaS14_S15_EUlS14_E_NS1_11comp_targetILNS1_3genE10ELNS1_11target_archE1200ELNS1_3gpuE4ELNS1_3repE0EEENS1_30default_config_static_selectorELNS0_4arch9wavefront6targetE1EEEvT1_,comdat
	.protected	_ZN7rocprim17ROCPRIM_400000_NS6detail17trampoline_kernelINS0_14default_configENS1_25partition_config_selectorILNS1_17partition_subalgoE5EiNS0_10empty_typeEbEEZZNS1_14partition_implILS5_5ELb0ES3_mPiPS6_N6thrust23THRUST_200600_302600_NS18transform_iteratorINSC_6detail9not_fun_tIN6dUtils10isMinusOneIiEEEES9_NSC_11use_defaultESK_EENS0_5tupleIJS9_S6_EEENSM_IJSA_SA_EEES6_PlJS6_EEE10hipError_tPvRmT3_T4_T5_T6_T7_T9_mT8_P12ihipStream_tbDpT10_ENKUlT_T0_E_clISt17integral_constantIbLb1EES19_EEDaS14_S15_EUlS14_E_NS1_11comp_targetILNS1_3genE10ELNS1_11target_archE1200ELNS1_3gpuE4ELNS1_3repE0EEENS1_30default_config_static_selectorELNS0_4arch9wavefront6targetE1EEEvT1_ ; -- Begin function _ZN7rocprim17ROCPRIM_400000_NS6detail17trampoline_kernelINS0_14default_configENS1_25partition_config_selectorILNS1_17partition_subalgoE5EiNS0_10empty_typeEbEEZZNS1_14partition_implILS5_5ELb0ES3_mPiPS6_N6thrust23THRUST_200600_302600_NS18transform_iteratorINSC_6detail9not_fun_tIN6dUtils10isMinusOneIiEEEES9_NSC_11use_defaultESK_EENS0_5tupleIJS9_S6_EEENSM_IJSA_SA_EEES6_PlJS6_EEE10hipError_tPvRmT3_T4_T5_T6_T7_T9_mT8_P12ihipStream_tbDpT10_ENKUlT_T0_E_clISt17integral_constantIbLb1EES19_EEDaS14_S15_EUlS14_E_NS1_11comp_targetILNS1_3genE10ELNS1_11target_archE1200ELNS1_3gpuE4ELNS1_3repE0EEENS1_30default_config_static_selectorELNS0_4arch9wavefront6targetE1EEEvT1_
	.globl	_ZN7rocprim17ROCPRIM_400000_NS6detail17trampoline_kernelINS0_14default_configENS1_25partition_config_selectorILNS1_17partition_subalgoE5EiNS0_10empty_typeEbEEZZNS1_14partition_implILS5_5ELb0ES3_mPiPS6_N6thrust23THRUST_200600_302600_NS18transform_iteratorINSC_6detail9not_fun_tIN6dUtils10isMinusOneIiEEEES9_NSC_11use_defaultESK_EENS0_5tupleIJS9_S6_EEENSM_IJSA_SA_EEES6_PlJS6_EEE10hipError_tPvRmT3_T4_T5_T6_T7_T9_mT8_P12ihipStream_tbDpT10_ENKUlT_T0_E_clISt17integral_constantIbLb1EES19_EEDaS14_S15_EUlS14_E_NS1_11comp_targetILNS1_3genE10ELNS1_11target_archE1200ELNS1_3gpuE4ELNS1_3repE0EEENS1_30default_config_static_selectorELNS0_4arch9wavefront6targetE1EEEvT1_
	.p2align	8
	.type	_ZN7rocprim17ROCPRIM_400000_NS6detail17trampoline_kernelINS0_14default_configENS1_25partition_config_selectorILNS1_17partition_subalgoE5EiNS0_10empty_typeEbEEZZNS1_14partition_implILS5_5ELb0ES3_mPiPS6_N6thrust23THRUST_200600_302600_NS18transform_iteratorINSC_6detail9not_fun_tIN6dUtils10isMinusOneIiEEEES9_NSC_11use_defaultESK_EENS0_5tupleIJS9_S6_EEENSM_IJSA_SA_EEES6_PlJS6_EEE10hipError_tPvRmT3_T4_T5_T6_T7_T9_mT8_P12ihipStream_tbDpT10_ENKUlT_T0_E_clISt17integral_constantIbLb1EES19_EEDaS14_S15_EUlS14_E_NS1_11comp_targetILNS1_3genE10ELNS1_11target_archE1200ELNS1_3gpuE4ELNS1_3repE0EEENS1_30default_config_static_selectorELNS0_4arch9wavefront6targetE1EEEvT1_,@function
_ZN7rocprim17ROCPRIM_400000_NS6detail17trampoline_kernelINS0_14default_configENS1_25partition_config_selectorILNS1_17partition_subalgoE5EiNS0_10empty_typeEbEEZZNS1_14partition_implILS5_5ELb0ES3_mPiPS6_N6thrust23THRUST_200600_302600_NS18transform_iteratorINSC_6detail9not_fun_tIN6dUtils10isMinusOneIiEEEES9_NSC_11use_defaultESK_EENS0_5tupleIJS9_S6_EEENSM_IJSA_SA_EEES6_PlJS6_EEE10hipError_tPvRmT3_T4_T5_T6_T7_T9_mT8_P12ihipStream_tbDpT10_ENKUlT_T0_E_clISt17integral_constantIbLb1EES19_EEDaS14_S15_EUlS14_E_NS1_11comp_targetILNS1_3genE10ELNS1_11target_archE1200ELNS1_3gpuE4ELNS1_3repE0EEENS1_30default_config_static_selectorELNS0_4arch9wavefront6targetE1EEEvT1_: ; @_ZN7rocprim17ROCPRIM_400000_NS6detail17trampoline_kernelINS0_14default_configENS1_25partition_config_selectorILNS1_17partition_subalgoE5EiNS0_10empty_typeEbEEZZNS1_14partition_implILS5_5ELb0ES3_mPiPS6_N6thrust23THRUST_200600_302600_NS18transform_iteratorINSC_6detail9not_fun_tIN6dUtils10isMinusOneIiEEEES9_NSC_11use_defaultESK_EENS0_5tupleIJS9_S6_EEENSM_IJSA_SA_EEES6_PlJS6_EEE10hipError_tPvRmT3_T4_T5_T6_T7_T9_mT8_P12ihipStream_tbDpT10_ENKUlT_T0_E_clISt17integral_constantIbLb1EES19_EEDaS14_S15_EUlS14_E_NS1_11comp_targetILNS1_3genE10ELNS1_11target_archE1200ELNS1_3gpuE4ELNS1_3repE0EEENS1_30default_config_static_selectorELNS0_4arch9wavefront6targetE1EEEvT1_
; %bb.0:
	.section	.rodata,"a",@progbits
	.p2align	6, 0x0
	.amdhsa_kernel _ZN7rocprim17ROCPRIM_400000_NS6detail17trampoline_kernelINS0_14default_configENS1_25partition_config_selectorILNS1_17partition_subalgoE5EiNS0_10empty_typeEbEEZZNS1_14partition_implILS5_5ELb0ES3_mPiPS6_N6thrust23THRUST_200600_302600_NS18transform_iteratorINSC_6detail9not_fun_tIN6dUtils10isMinusOneIiEEEES9_NSC_11use_defaultESK_EENS0_5tupleIJS9_S6_EEENSM_IJSA_SA_EEES6_PlJS6_EEE10hipError_tPvRmT3_T4_T5_T6_T7_T9_mT8_P12ihipStream_tbDpT10_ENKUlT_T0_E_clISt17integral_constantIbLb1EES19_EEDaS14_S15_EUlS14_E_NS1_11comp_targetILNS1_3genE10ELNS1_11target_archE1200ELNS1_3gpuE4ELNS1_3repE0EEENS1_30default_config_static_selectorELNS0_4arch9wavefront6targetE1EEEvT1_
		.amdhsa_group_segment_fixed_size 0
		.amdhsa_private_segment_fixed_size 0
		.amdhsa_kernarg_size 136
		.amdhsa_user_sgpr_count 6
		.amdhsa_user_sgpr_private_segment_buffer 1
		.amdhsa_user_sgpr_dispatch_ptr 0
		.amdhsa_user_sgpr_queue_ptr 0
		.amdhsa_user_sgpr_kernarg_segment_ptr 1
		.amdhsa_user_sgpr_dispatch_id 0
		.amdhsa_user_sgpr_flat_scratch_init 0
		.amdhsa_user_sgpr_kernarg_preload_length 0
		.amdhsa_user_sgpr_kernarg_preload_offset 0
		.amdhsa_user_sgpr_private_segment_size 0
		.amdhsa_uses_dynamic_stack 0
		.amdhsa_system_sgpr_private_segment_wavefront_offset 0
		.amdhsa_system_sgpr_workgroup_id_x 1
		.amdhsa_system_sgpr_workgroup_id_y 0
		.amdhsa_system_sgpr_workgroup_id_z 0
		.amdhsa_system_sgpr_workgroup_info 0
		.amdhsa_system_vgpr_workitem_id 0
		.amdhsa_next_free_vgpr 1
		.amdhsa_next_free_sgpr 0
		.amdhsa_accum_offset 4
		.amdhsa_reserve_vcc 0
		.amdhsa_reserve_flat_scratch 0
		.amdhsa_float_round_mode_32 0
		.amdhsa_float_round_mode_16_64 0
		.amdhsa_float_denorm_mode_32 3
		.amdhsa_float_denorm_mode_16_64 3
		.amdhsa_dx10_clamp 1
		.amdhsa_ieee_mode 1
		.amdhsa_fp16_overflow 0
		.amdhsa_tg_split 0
		.amdhsa_exception_fp_ieee_invalid_op 0
		.amdhsa_exception_fp_denorm_src 0
		.amdhsa_exception_fp_ieee_div_zero 0
		.amdhsa_exception_fp_ieee_overflow 0
		.amdhsa_exception_fp_ieee_underflow 0
		.amdhsa_exception_fp_ieee_inexact 0
		.amdhsa_exception_int_div_zero 0
	.end_amdhsa_kernel
	.section	.text._ZN7rocprim17ROCPRIM_400000_NS6detail17trampoline_kernelINS0_14default_configENS1_25partition_config_selectorILNS1_17partition_subalgoE5EiNS0_10empty_typeEbEEZZNS1_14partition_implILS5_5ELb0ES3_mPiPS6_N6thrust23THRUST_200600_302600_NS18transform_iteratorINSC_6detail9not_fun_tIN6dUtils10isMinusOneIiEEEES9_NSC_11use_defaultESK_EENS0_5tupleIJS9_S6_EEENSM_IJSA_SA_EEES6_PlJS6_EEE10hipError_tPvRmT3_T4_T5_T6_T7_T9_mT8_P12ihipStream_tbDpT10_ENKUlT_T0_E_clISt17integral_constantIbLb1EES19_EEDaS14_S15_EUlS14_E_NS1_11comp_targetILNS1_3genE10ELNS1_11target_archE1200ELNS1_3gpuE4ELNS1_3repE0EEENS1_30default_config_static_selectorELNS0_4arch9wavefront6targetE1EEEvT1_,"axG",@progbits,_ZN7rocprim17ROCPRIM_400000_NS6detail17trampoline_kernelINS0_14default_configENS1_25partition_config_selectorILNS1_17partition_subalgoE5EiNS0_10empty_typeEbEEZZNS1_14partition_implILS5_5ELb0ES3_mPiPS6_N6thrust23THRUST_200600_302600_NS18transform_iteratorINSC_6detail9not_fun_tIN6dUtils10isMinusOneIiEEEES9_NSC_11use_defaultESK_EENS0_5tupleIJS9_S6_EEENSM_IJSA_SA_EEES6_PlJS6_EEE10hipError_tPvRmT3_T4_T5_T6_T7_T9_mT8_P12ihipStream_tbDpT10_ENKUlT_T0_E_clISt17integral_constantIbLb1EES19_EEDaS14_S15_EUlS14_E_NS1_11comp_targetILNS1_3genE10ELNS1_11target_archE1200ELNS1_3gpuE4ELNS1_3repE0EEENS1_30default_config_static_selectorELNS0_4arch9wavefront6targetE1EEEvT1_,comdat
.Lfunc_end232:
	.size	_ZN7rocprim17ROCPRIM_400000_NS6detail17trampoline_kernelINS0_14default_configENS1_25partition_config_selectorILNS1_17partition_subalgoE5EiNS0_10empty_typeEbEEZZNS1_14partition_implILS5_5ELb0ES3_mPiPS6_N6thrust23THRUST_200600_302600_NS18transform_iteratorINSC_6detail9not_fun_tIN6dUtils10isMinusOneIiEEEES9_NSC_11use_defaultESK_EENS0_5tupleIJS9_S6_EEENSM_IJSA_SA_EEES6_PlJS6_EEE10hipError_tPvRmT3_T4_T5_T6_T7_T9_mT8_P12ihipStream_tbDpT10_ENKUlT_T0_E_clISt17integral_constantIbLb1EES19_EEDaS14_S15_EUlS14_E_NS1_11comp_targetILNS1_3genE10ELNS1_11target_archE1200ELNS1_3gpuE4ELNS1_3repE0EEENS1_30default_config_static_selectorELNS0_4arch9wavefront6targetE1EEEvT1_, .Lfunc_end232-_ZN7rocprim17ROCPRIM_400000_NS6detail17trampoline_kernelINS0_14default_configENS1_25partition_config_selectorILNS1_17partition_subalgoE5EiNS0_10empty_typeEbEEZZNS1_14partition_implILS5_5ELb0ES3_mPiPS6_N6thrust23THRUST_200600_302600_NS18transform_iteratorINSC_6detail9not_fun_tIN6dUtils10isMinusOneIiEEEES9_NSC_11use_defaultESK_EENS0_5tupleIJS9_S6_EEENSM_IJSA_SA_EEES6_PlJS6_EEE10hipError_tPvRmT3_T4_T5_T6_T7_T9_mT8_P12ihipStream_tbDpT10_ENKUlT_T0_E_clISt17integral_constantIbLb1EES19_EEDaS14_S15_EUlS14_E_NS1_11comp_targetILNS1_3genE10ELNS1_11target_archE1200ELNS1_3gpuE4ELNS1_3repE0EEENS1_30default_config_static_selectorELNS0_4arch9wavefront6targetE1EEEvT1_
                                        ; -- End function
	.section	.AMDGPU.csdata,"",@progbits
; Kernel info:
; codeLenInByte = 0
; NumSgprs: 4
; NumVgprs: 0
; NumAgprs: 0
; TotalNumVgprs: 0
; ScratchSize: 0
; MemoryBound: 0
; FloatMode: 240
; IeeeMode: 1
; LDSByteSize: 0 bytes/workgroup (compile time only)
; SGPRBlocks: 0
; VGPRBlocks: 0
; NumSGPRsForWavesPerEU: 4
; NumVGPRsForWavesPerEU: 1
; AccumOffset: 4
; Occupancy: 8
; WaveLimiterHint : 0
; COMPUTE_PGM_RSRC2:SCRATCH_EN: 0
; COMPUTE_PGM_RSRC2:USER_SGPR: 6
; COMPUTE_PGM_RSRC2:TRAP_HANDLER: 0
; COMPUTE_PGM_RSRC2:TGID_X_EN: 1
; COMPUTE_PGM_RSRC2:TGID_Y_EN: 0
; COMPUTE_PGM_RSRC2:TGID_Z_EN: 0
; COMPUTE_PGM_RSRC2:TIDIG_COMP_CNT: 0
; COMPUTE_PGM_RSRC3_GFX90A:ACCUM_OFFSET: 0
; COMPUTE_PGM_RSRC3_GFX90A:TG_SPLIT: 0
	.section	.text._ZN7rocprim17ROCPRIM_400000_NS6detail17trampoline_kernelINS0_14default_configENS1_25partition_config_selectorILNS1_17partition_subalgoE5EiNS0_10empty_typeEbEEZZNS1_14partition_implILS5_5ELb0ES3_mPiPS6_N6thrust23THRUST_200600_302600_NS18transform_iteratorINSC_6detail9not_fun_tIN6dUtils10isMinusOneIiEEEES9_NSC_11use_defaultESK_EENS0_5tupleIJS9_S6_EEENSM_IJSA_SA_EEES6_PlJS6_EEE10hipError_tPvRmT3_T4_T5_T6_T7_T9_mT8_P12ihipStream_tbDpT10_ENKUlT_T0_E_clISt17integral_constantIbLb1EES19_EEDaS14_S15_EUlS14_E_NS1_11comp_targetILNS1_3genE9ELNS1_11target_archE1100ELNS1_3gpuE3ELNS1_3repE0EEENS1_30default_config_static_selectorELNS0_4arch9wavefront6targetE1EEEvT1_,"axG",@progbits,_ZN7rocprim17ROCPRIM_400000_NS6detail17trampoline_kernelINS0_14default_configENS1_25partition_config_selectorILNS1_17partition_subalgoE5EiNS0_10empty_typeEbEEZZNS1_14partition_implILS5_5ELb0ES3_mPiPS6_N6thrust23THRUST_200600_302600_NS18transform_iteratorINSC_6detail9not_fun_tIN6dUtils10isMinusOneIiEEEES9_NSC_11use_defaultESK_EENS0_5tupleIJS9_S6_EEENSM_IJSA_SA_EEES6_PlJS6_EEE10hipError_tPvRmT3_T4_T5_T6_T7_T9_mT8_P12ihipStream_tbDpT10_ENKUlT_T0_E_clISt17integral_constantIbLb1EES19_EEDaS14_S15_EUlS14_E_NS1_11comp_targetILNS1_3genE9ELNS1_11target_archE1100ELNS1_3gpuE3ELNS1_3repE0EEENS1_30default_config_static_selectorELNS0_4arch9wavefront6targetE1EEEvT1_,comdat
	.protected	_ZN7rocprim17ROCPRIM_400000_NS6detail17trampoline_kernelINS0_14default_configENS1_25partition_config_selectorILNS1_17partition_subalgoE5EiNS0_10empty_typeEbEEZZNS1_14partition_implILS5_5ELb0ES3_mPiPS6_N6thrust23THRUST_200600_302600_NS18transform_iteratorINSC_6detail9not_fun_tIN6dUtils10isMinusOneIiEEEES9_NSC_11use_defaultESK_EENS0_5tupleIJS9_S6_EEENSM_IJSA_SA_EEES6_PlJS6_EEE10hipError_tPvRmT3_T4_T5_T6_T7_T9_mT8_P12ihipStream_tbDpT10_ENKUlT_T0_E_clISt17integral_constantIbLb1EES19_EEDaS14_S15_EUlS14_E_NS1_11comp_targetILNS1_3genE9ELNS1_11target_archE1100ELNS1_3gpuE3ELNS1_3repE0EEENS1_30default_config_static_selectorELNS0_4arch9wavefront6targetE1EEEvT1_ ; -- Begin function _ZN7rocprim17ROCPRIM_400000_NS6detail17trampoline_kernelINS0_14default_configENS1_25partition_config_selectorILNS1_17partition_subalgoE5EiNS0_10empty_typeEbEEZZNS1_14partition_implILS5_5ELb0ES3_mPiPS6_N6thrust23THRUST_200600_302600_NS18transform_iteratorINSC_6detail9not_fun_tIN6dUtils10isMinusOneIiEEEES9_NSC_11use_defaultESK_EENS0_5tupleIJS9_S6_EEENSM_IJSA_SA_EEES6_PlJS6_EEE10hipError_tPvRmT3_T4_T5_T6_T7_T9_mT8_P12ihipStream_tbDpT10_ENKUlT_T0_E_clISt17integral_constantIbLb1EES19_EEDaS14_S15_EUlS14_E_NS1_11comp_targetILNS1_3genE9ELNS1_11target_archE1100ELNS1_3gpuE3ELNS1_3repE0EEENS1_30default_config_static_selectorELNS0_4arch9wavefront6targetE1EEEvT1_
	.globl	_ZN7rocprim17ROCPRIM_400000_NS6detail17trampoline_kernelINS0_14default_configENS1_25partition_config_selectorILNS1_17partition_subalgoE5EiNS0_10empty_typeEbEEZZNS1_14partition_implILS5_5ELb0ES3_mPiPS6_N6thrust23THRUST_200600_302600_NS18transform_iteratorINSC_6detail9not_fun_tIN6dUtils10isMinusOneIiEEEES9_NSC_11use_defaultESK_EENS0_5tupleIJS9_S6_EEENSM_IJSA_SA_EEES6_PlJS6_EEE10hipError_tPvRmT3_T4_T5_T6_T7_T9_mT8_P12ihipStream_tbDpT10_ENKUlT_T0_E_clISt17integral_constantIbLb1EES19_EEDaS14_S15_EUlS14_E_NS1_11comp_targetILNS1_3genE9ELNS1_11target_archE1100ELNS1_3gpuE3ELNS1_3repE0EEENS1_30default_config_static_selectorELNS0_4arch9wavefront6targetE1EEEvT1_
	.p2align	8
	.type	_ZN7rocprim17ROCPRIM_400000_NS6detail17trampoline_kernelINS0_14default_configENS1_25partition_config_selectorILNS1_17partition_subalgoE5EiNS0_10empty_typeEbEEZZNS1_14partition_implILS5_5ELb0ES3_mPiPS6_N6thrust23THRUST_200600_302600_NS18transform_iteratorINSC_6detail9not_fun_tIN6dUtils10isMinusOneIiEEEES9_NSC_11use_defaultESK_EENS0_5tupleIJS9_S6_EEENSM_IJSA_SA_EEES6_PlJS6_EEE10hipError_tPvRmT3_T4_T5_T6_T7_T9_mT8_P12ihipStream_tbDpT10_ENKUlT_T0_E_clISt17integral_constantIbLb1EES19_EEDaS14_S15_EUlS14_E_NS1_11comp_targetILNS1_3genE9ELNS1_11target_archE1100ELNS1_3gpuE3ELNS1_3repE0EEENS1_30default_config_static_selectorELNS0_4arch9wavefront6targetE1EEEvT1_,@function
_ZN7rocprim17ROCPRIM_400000_NS6detail17trampoline_kernelINS0_14default_configENS1_25partition_config_selectorILNS1_17partition_subalgoE5EiNS0_10empty_typeEbEEZZNS1_14partition_implILS5_5ELb0ES3_mPiPS6_N6thrust23THRUST_200600_302600_NS18transform_iteratorINSC_6detail9not_fun_tIN6dUtils10isMinusOneIiEEEES9_NSC_11use_defaultESK_EENS0_5tupleIJS9_S6_EEENSM_IJSA_SA_EEES6_PlJS6_EEE10hipError_tPvRmT3_T4_T5_T6_T7_T9_mT8_P12ihipStream_tbDpT10_ENKUlT_T0_E_clISt17integral_constantIbLb1EES19_EEDaS14_S15_EUlS14_E_NS1_11comp_targetILNS1_3genE9ELNS1_11target_archE1100ELNS1_3gpuE3ELNS1_3repE0EEENS1_30default_config_static_selectorELNS0_4arch9wavefront6targetE1EEEvT1_: ; @_ZN7rocprim17ROCPRIM_400000_NS6detail17trampoline_kernelINS0_14default_configENS1_25partition_config_selectorILNS1_17partition_subalgoE5EiNS0_10empty_typeEbEEZZNS1_14partition_implILS5_5ELb0ES3_mPiPS6_N6thrust23THRUST_200600_302600_NS18transform_iteratorINSC_6detail9not_fun_tIN6dUtils10isMinusOneIiEEEES9_NSC_11use_defaultESK_EENS0_5tupleIJS9_S6_EEENSM_IJSA_SA_EEES6_PlJS6_EEE10hipError_tPvRmT3_T4_T5_T6_T7_T9_mT8_P12ihipStream_tbDpT10_ENKUlT_T0_E_clISt17integral_constantIbLb1EES19_EEDaS14_S15_EUlS14_E_NS1_11comp_targetILNS1_3genE9ELNS1_11target_archE1100ELNS1_3gpuE3ELNS1_3repE0EEENS1_30default_config_static_selectorELNS0_4arch9wavefront6targetE1EEEvT1_
; %bb.0:
	.section	.rodata,"a",@progbits
	.p2align	6, 0x0
	.amdhsa_kernel _ZN7rocprim17ROCPRIM_400000_NS6detail17trampoline_kernelINS0_14default_configENS1_25partition_config_selectorILNS1_17partition_subalgoE5EiNS0_10empty_typeEbEEZZNS1_14partition_implILS5_5ELb0ES3_mPiPS6_N6thrust23THRUST_200600_302600_NS18transform_iteratorINSC_6detail9not_fun_tIN6dUtils10isMinusOneIiEEEES9_NSC_11use_defaultESK_EENS0_5tupleIJS9_S6_EEENSM_IJSA_SA_EEES6_PlJS6_EEE10hipError_tPvRmT3_T4_T5_T6_T7_T9_mT8_P12ihipStream_tbDpT10_ENKUlT_T0_E_clISt17integral_constantIbLb1EES19_EEDaS14_S15_EUlS14_E_NS1_11comp_targetILNS1_3genE9ELNS1_11target_archE1100ELNS1_3gpuE3ELNS1_3repE0EEENS1_30default_config_static_selectorELNS0_4arch9wavefront6targetE1EEEvT1_
		.amdhsa_group_segment_fixed_size 0
		.amdhsa_private_segment_fixed_size 0
		.amdhsa_kernarg_size 136
		.amdhsa_user_sgpr_count 6
		.amdhsa_user_sgpr_private_segment_buffer 1
		.amdhsa_user_sgpr_dispatch_ptr 0
		.amdhsa_user_sgpr_queue_ptr 0
		.amdhsa_user_sgpr_kernarg_segment_ptr 1
		.amdhsa_user_sgpr_dispatch_id 0
		.amdhsa_user_sgpr_flat_scratch_init 0
		.amdhsa_user_sgpr_kernarg_preload_length 0
		.amdhsa_user_sgpr_kernarg_preload_offset 0
		.amdhsa_user_sgpr_private_segment_size 0
		.amdhsa_uses_dynamic_stack 0
		.amdhsa_system_sgpr_private_segment_wavefront_offset 0
		.amdhsa_system_sgpr_workgroup_id_x 1
		.amdhsa_system_sgpr_workgroup_id_y 0
		.amdhsa_system_sgpr_workgroup_id_z 0
		.amdhsa_system_sgpr_workgroup_info 0
		.amdhsa_system_vgpr_workitem_id 0
		.amdhsa_next_free_vgpr 1
		.amdhsa_next_free_sgpr 0
		.amdhsa_accum_offset 4
		.amdhsa_reserve_vcc 0
		.amdhsa_reserve_flat_scratch 0
		.amdhsa_float_round_mode_32 0
		.amdhsa_float_round_mode_16_64 0
		.amdhsa_float_denorm_mode_32 3
		.amdhsa_float_denorm_mode_16_64 3
		.amdhsa_dx10_clamp 1
		.amdhsa_ieee_mode 1
		.amdhsa_fp16_overflow 0
		.amdhsa_tg_split 0
		.amdhsa_exception_fp_ieee_invalid_op 0
		.amdhsa_exception_fp_denorm_src 0
		.amdhsa_exception_fp_ieee_div_zero 0
		.amdhsa_exception_fp_ieee_overflow 0
		.amdhsa_exception_fp_ieee_underflow 0
		.amdhsa_exception_fp_ieee_inexact 0
		.amdhsa_exception_int_div_zero 0
	.end_amdhsa_kernel
	.section	.text._ZN7rocprim17ROCPRIM_400000_NS6detail17trampoline_kernelINS0_14default_configENS1_25partition_config_selectorILNS1_17partition_subalgoE5EiNS0_10empty_typeEbEEZZNS1_14partition_implILS5_5ELb0ES3_mPiPS6_N6thrust23THRUST_200600_302600_NS18transform_iteratorINSC_6detail9not_fun_tIN6dUtils10isMinusOneIiEEEES9_NSC_11use_defaultESK_EENS0_5tupleIJS9_S6_EEENSM_IJSA_SA_EEES6_PlJS6_EEE10hipError_tPvRmT3_T4_T5_T6_T7_T9_mT8_P12ihipStream_tbDpT10_ENKUlT_T0_E_clISt17integral_constantIbLb1EES19_EEDaS14_S15_EUlS14_E_NS1_11comp_targetILNS1_3genE9ELNS1_11target_archE1100ELNS1_3gpuE3ELNS1_3repE0EEENS1_30default_config_static_selectorELNS0_4arch9wavefront6targetE1EEEvT1_,"axG",@progbits,_ZN7rocprim17ROCPRIM_400000_NS6detail17trampoline_kernelINS0_14default_configENS1_25partition_config_selectorILNS1_17partition_subalgoE5EiNS0_10empty_typeEbEEZZNS1_14partition_implILS5_5ELb0ES3_mPiPS6_N6thrust23THRUST_200600_302600_NS18transform_iteratorINSC_6detail9not_fun_tIN6dUtils10isMinusOneIiEEEES9_NSC_11use_defaultESK_EENS0_5tupleIJS9_S6_EEENSM_IJSA_SA_EEES6_PlJS6_EEE10hipError_tPvRmT3_T4_T5_T6_T7_T9_mT8_P12ihipStream_tbDpT10_ENKUlT_T0_E_clISt17integral_constantIbLb1EES19_EEDaS14_S15_EUlS14_E_NS1_11comp_targetILNS1_3genE9ELNS1_11target_archE1100ELNS1_3gpuE3ELNS1_3repE0EEENS1_30default_config_static_selectorELNS0_4arch9wavefront6targetE1EEEvT1_,comdat
.Lfunc_end233:
	.size	_ZN7rocprim17ROCPRIM_400000_NS6detail17trampoline_kernelINS0_14default_configENS1_25partition_config_selectorILNS1_17partition_subalgoE5EiNS0_10empty_typeEbEEZZNS1_14partition_implILS5_5ELb0ES3_mPiPS6_N6thrust23THRUST_200600_302600_NS18transform_iteratorINSC_6detail9not_fun_tIN6dUtils10isMinusOneIiEEEES9_NSC_11use_defaultESK_EENS0_5tupleIJS9_S6_EEENSM_IJSA_SA_EEES6_PlJS6_EEE10hipError_tPvRmT3_T4_T5_T6_T7_T9_mT8_P12ihipStream_tbDpT10_ENKUlT_T0_E_clISt17integral_constantIbLb1EES19_EEDaS14_S15_EUlS14_E_NS1_11comp_targetILNS1_3genE9ELNS1_11target_archE1100ELNS1_3gpuE3ELNS1_3repE0EEENS1_30default_config_static_selectorELNS0_4arch9wavefront6targetE1EEEvT1_, .Lfunc_end233-_ZN7rocprim17ROCPRIM_400000_NS6detail17trampoline_kernelINS0_14default_configENS1_25partition_config_selectorILNS1_17partition_subalgoE5EiNS0_10empty_typeEbEEZZNS1_14partition_implILS5_5ELb0ES3_mPiPS6_N6thrust23THRUST_200600_302600_NS18transform_iteratorINSC_6detail9not_fun_tIN6dUtils10isMinusOneIiEEEES9_NSC_11use_defaultESK_EENS0_5tupleIJS9_S6_EEENSM_IJSA_SA_EEES6_PlJS6_EEE10hipError_tPvRmT3_T4_T5_T6_T7_T9_mT8_P12ihipStream_tbDpT10_ENKUlT_T0_E_clISt17integral_constantIbLb1EES19_EEDaS14_S15_EUlS14_E_NS1_11comp_targetILNS1_3genE9ELNS1_11target_archE1100ELNS1_3gpuE3ELNS1_3repE0EEENS1_30default_config_static_selectorELNS0_4arch9wavefront6targetE1EEEvT1_
                                        ; -- End function
	.section	.AMDGPU.csdata,"",@progbits
; Kernel info:
; codeLenInByte = 0
; NumSgprs: 4
; NumVgprs: 0
; NumAgprs: 0
; TotalNumVgprs: 0
; ScratchSize: 0
; MemoryBound: 0
; FloatMode: 240
; IeeeMode: 1
; LDSByteSize: 0 bytes/workgroup (compile time only)
; SGPRBlocks: 0
; VGPRBlocks: 0
; NumSGPRsForWavesPerEU: 4
; NumVGPRsForWavesPerEU: 1
; AccumOffset: 4
; Occupancy: 8
; WaveLimiterHint : 0
; COMPUTE_PGM_RSRC2:SCRATCH_EN: 0
; COMPUTE_PGM_RSRC2:USER_SGPR: 6
; COMPUTE_PGM_RSRC2:TRAP_HANDLER: 0
; COMPUTE_PGM_RSRC2:TGID_X_EN: 1
; COMPUTE_PGM_RSRC2:TGID_Y_EN: 0
; COMPUTE_PGM_RSRC2:TGID_Z_EN: 0
; COMPUTE_PGM_RSRC2:TIDIG_COMP_CNT: 0
; COMPUTE_PGM_RSRC3_GFX90A:ACCUM_OFFSET: 0
; COMPUTE_PGM_RSRC3_GFX90A:TG_SPLIT: 0
	.section	.text._ZN7rocprim17ROCPRIM_400000_NS6detail17trampoline_kernelINS0_14default_configENS1_25partition_config_selectorILNS1_17partition_subalgoE5EiNS0_10empty_typeEbEEZZNS1_14partition_implILS5_5ELb0ES3_mPiPS6_N6thrust23THRUST_200600_302600_NS18transform_iteratorINSC_6detail9not_fun_tIN6dUtils10isMinusOneIiEEEES9_NSC_11use_defaultESK_EENS0_5tupleIJS9_S6_EEENSM_IJSA_SA_EEES6_PlJS6_EEE10hipError_tPvRmT3_T4_T5_T6_T7_T9_mT8_P12ihipStream_tbDpT10_ENKUlT_T0_E_clISt17integral_constantIbLb1EES19_EEDaS14_S15_EUlS14_E_NS1_11comp_targetILNS1_3genE8ELNS1_11target_archE1030ELNS1_3gpuE2ELNS1_3repE0EEENS1_30default_config_static_selectorELNS0_4arch9wavefront6targetE1EEEvT1_,"axG",@progbits,_ZN7rocprim17ROCPRIM_400000_NS6detail17trampoline_kernelINS0_14default_configENS1_25partition_config_selectorILNS1_17partition_subalgoE5EiNS0_10empty_typeEbEEZZNS1_14partition_implILS5_5ELb0ES3_mPiPS6_N6thrust23THRUST_200600_302600_NS18transform_iteratorINSC_6detail9not_fun_tIN6dUtils10isMinusOneIiEEEES9_NSC_11use_defaultESK_EENS0_5tupleIJS9_S6_EEENSM_IJSA_SA_EEES6_PlJS6_EEE10hipError_tPvRmT3_T4_T5_T6_T7_T9_mT8_P12ihipStream_tbDpT10_ENKUlT_T0_E_clISt17integral_constantIbLb1EES19_EEDaS14_S15_EUlS14_E_NS1_11comp_targetILNS1_3genE8ELNS1_11target_archE1030ELNS1_3gpuE2ELNS1_3repE0EEENS1_30default_config_static_selectorELNS0_4arch9wavefront6targetE1EEEvT1_,comdat
	.protected	_ZN7rocprim17ROCPRIM_400000_NS6detail17trampoline_kernelINS0_14default_configENS1_25partition_config_selectorILNS1_17partition_subalgoE5EiNS0_10empty_typeEbEEZZNS1_14partition_implILS5_5ELb0ES3_mPiPS6_N6thrust23THRUST_200600_302600_NS18transform_iteratorINSC_6detail9not_fun_tIN6dUtils10isMinusOneIiEEEES9_NSC_11use_defaultESK_EENS0_5tupleIJS9_S6_EEENSM_IJSA_SA_EEES6_PlJS6_EEE10hipError_tPvRmT3_T4_T5_T6_T7_T9_mT8_P12ihipStream_tbDpT10_ENKUlT_T0_E_clISt17integral_constantIbLb1EES19_EEDaS14_S15_EUlS14_E_NS1_11comp_targetILNS1_3genE8ELNS1_11target_archE1030ELNS1_3gpuE2ELNS1_3repE0EEENS1_30default_config_static_selectorELNS0_4arch9wavefront6targetE1EEEvT1_ ; -- Begin function _ZN7rocprim17ROCPRIM_400000_NS6detail17trampoline_kernelINS0_14default_configENS1_25partition_config_selectorILNS1_17partition_subalgoE5EiNS0_10empty_typeEbEEZZNS1_14partition_implILS5_5ELb0ES3_mPiPS6_N6thrust23THRUST_200600_302600_NS18transform_iteratorINSC_6detail9not_fun_tIN6dUtils10isMinusOneIiEEEES9_NSC_11use_defaultESK_EENS0_5tupleIJS9_S6_EEENSM_IJSA_SA_EEES6_PlJS6_EEE10hipError_tPvRmT3_T4_T5_T6_T7_T9_mT8_P12ihipStream_tbDpT10_ENKUlT_T0_E_clISt17integral_constantIbLb1EES19_EEDaS14_S15_EUlS14_E_NS1_11comp_targetILNS1_3genE8ELNS1_11target_archE1030ELNS1_3gpuE2ELNS1_3repE0EEENS1_30default_config_static_selectorELNS0_4arch9wavefront6targetE1EEEvT1_
	.globl	_ZN7rocprim17ROCPRIM_400000_NS6detail17trampoline_kernelINS0_14default_configENS1_25partition_config_selectorILNS1_17partition_subalgoE5EiNS0_10empty_typeEbEEZZNS1_14partition_implILS5_5ELb0ES3_mPiPS6_N6thrust23THRUST_200600_302600_NS18transform_iteratorINSC_6detail9not_fun_tIN6dUtils10isMinusOneIiEEEES9_NSC_11use_defaultESK_EENS0_5tupleIJS9_S6_EEENSM_IJSA_SA_EEES6_PlJS6_EEE10hipError_tPvRmT3_T4_T5_T6_T7_T9_mT8_P12ihipStream_tbDpT10_ENKUlT_T0_E_clISt17integral_constantIbLb1EES19_EEDaS14_S15_EUlS14_E_NS1_11comp_targetILNS1_3genE8ELNS1_11target_archE1030ELNS1_3gpuE2ELNS1_3repE0EEENS1_30default_config_static_selectorELNS0_4arch9wavefront6targetE1EEEvT1_
	.p2align	8
	.type	_ZN7rocprim17ROCPRIM_400000_NS6detail17trampoline_kernelINS0_14default_configENS1_25partition_config_selectorILNS1_17partition_subalgoE5EiNS0_10empty_typeEbEEZZNS1_14partition_implILS5_5ELb0ES3_mPiPS6_N6thrust23THRUST_200600_302600_NS18transform_iteratorINSC_6detail9not_fun_tIN6dUtils10isMinusOneIiEEEES9_NSC_11use_defaultESK_EENS0_5tupleIJS9_S6_EEENSM_IJSA_SA_EEES6_PlJS6_EEE10hipError_tPvRmT3_T4_T5_T6_T7_T9_mT8_P12ihipStream_tbDpT10_ENKUlT_T0_E_clISt17integral_constantIbLb1EES19_EEDaS14_S15_EUlS14_E_NS1_11comp_targetILNS1_3genE8ELNS1_11target_archE1030ELNS1_3gpuE2ELNS1_3repE0EEENS1_30default_config_static_selectorELNS0_4arch9wavefront6targetE1EEEvT1_,@function
_ZN7rocprim17ROCPRIM_400000_NS6detail17trampoline_kernelINS0_14default_configENS1_25partition_config_selectorILNS1_17partition_subalgoE5EiNS0_10empty_typeEbEEZZNS1_14partition_implILS5_5ELb0ES3_mPiPS6_N6thrust23THRUST_200600_302600_NS18transform_iteratorINSC_6detail9not_fun_tIN6dUtils10isMinusOneIiEEEES9_NSC_11use_defaultESK_EENS0_5tupleIJS9_S6_EEENSM_IJSA_SA_EEES6_PlJS6_EEE10hipError_tPvRmT3_T4_T5_T6_T7_T9_mT8_P12ihipStream_tbDpT10_ENKUlT_T0_E_clISt17integral_constantIbLb1EES19_EEDaS14_S15_EUlS14_E_NS1_11comp_targetILNS1_3genE8ELNS1_11target_archE1030ELNS1_3gpuE2ELNS1_3repE0EEENS1_30default_config_static_selectorELNS0_4arch9wavefront6targetE1EEEvT1_: ; @_ZN7rocprim17ROCPRIM_400000_NS6detail17trampoline_kernelINS0_14default_configENS1_25partition_config_selectorILNS1_17partition_subalgoE5EiNS0_10empty_typeEbEEZZNS1_14partition_implILS5_5ELb0ES3_mPiPS6_N6thrust23THRUST_200600_302600_NS18transform_iteratorINSC_6detail9not_fun_tIN6dUtils10isMinusOneIiEEEES9_NSC_11use_defaultESK_EENS0_5tupleIJS9_S6_EEENSM_IJSA_SA_EEES6_PlJS6_EEE10hipError_tPvRmT3_T4_T5_T6_T7_T9_mT8_P12ihipStream_tbDpT10_ENKUlT_T0_E_clISt17integral_constantIbLb1EES19_EEDaS14_S15_EUlS14_E_NS1_11comp_targetILNS1_3genE8ELNS1_11target_archE1030ELNS1_3gpuE2ELNS1_3repE0EEENS1_30default_config_static_selectorELNS0_4arch9wavefront6targetE1EEEvT1_
; %bb.0:
	.section	.rodata,"a",@progbits
	.p2align	6, 0x0
	.amdhsa_kernel _ZN7rocprim17ROCPRIM_400000_NS6detail17trampoline_kernelINS0_14default_configENS1_25partition_config_selectorILNS1_17partition_subalgoE5EiNS0_10empty_typeEbEEZZNS1_14partition_implILS5_5ELb0ES3_mPiPS6_N6thrust23THRUST_200600_302600_NS18transform_iteratorINSC_6detail9not_fun_tIN6dUtils10isMinusOneIiEEEES9_NSC_11use_defaultESK_EENS0_5tupleIJS9_S6_EEENSM_IJSA_SA_EEES6_PlJS6_EEE10hipError_tPvRmT3_T4_T5_T6_T7_T9_mT8_P12ihipStream_tbDpT10_ENKUlT_T0_E_clISt17integral_constantIbLb1EES19_EEDaS14_S15_EUlS14_E_NS1_11comp_targetILNS1_3genE8ELNS1_11target_archE1030ELNS1_3gpuE2ELNS1_3repE0EEENS1_30default_config_static_selectorELNS0_4arch9wavefront6targetE1EEEvT1_
		.amdhsa_group_segment_fixed_size 0
		.amdhsa_private_segment_fixed_size 0
		.amdhsa_kernarg_size 136
		.amdhsa_user_sgpr_count 6
		.amdhsa_user_sgpr_private_segment_buffer 1
		.amdhsa_user_sgpr_dispatch_ptr 0
		.amdhsa_user_sgpr_queue_ptr 0
		.amdhsa_user_sgpr_kernarg_segment_ptr 1
		.amdhsa_user_sgpr_dispatch_id 0
		.amdhsa_user_sgpr_flat_scratch_init 0
		.amdhsa_user_sgpr_kernarg_preload_length 0
		.amdhsa_user_sgpr_kernarg_preload_offset 0
		.amdhsa_user_sgpr_private_segment_size 0
		.amdhsa_uses_dynamic_stack 0
		.amdhsa_system_sgpr_private_segment_wavefront_offset 0
		.amdhsa_system_sgpr_workgroup_id_x 1
		.amdhsa_system_sgpr_workgroup_id_y 0
		.amdhsa_system_sgpr_workgroup_id_z 0
		.amdhsa_system_sgpr_workgroup_info 0
		.amdhsa_system_vgpr_workitem_id 0
		.amdhsa_next_free_vgpr 1
		.amdhsa_next_free_sgpr 0
		.amdhsa_accum_offset 4
		.amdhsa_reserve_vcc 0
		.amdhsa_reserve_flat_scratch 0
		.amdhsa_float_round_mode_32 0
		.amdhsa_float_round_mode_16_64 0
		.amdhsa_float_denorm_mode_32 3
		.amdhsa_float_denorm_mode_16_64 3
		.amdhsa_dx10_clamp 1
		.amdhsa_ieee_mode 1
		.amdhsa_fp16_overflow 0
		.amdhsa_tg_split 0
		.amdhsa_exception_fp_ieee_invalid_op 0
		.amdhsa_exception_fp_denorm_src 0
		.amdhsa_exception_fp_ieee_div_zero 0
		.amdhsa_exception_fp_ieee_overflow 0
		.amdhsa_exception_fp_ieee_underflow 0
		.amdhsa_exception_fp_ieee_inexact 0
		.amdhsa_exception_int_div_zero 0
	.end_amdhsa_kernel
	.section	.text._ZN7rocprim17ROCPRIM_400000_NS6detail17trampoline_kernelINS0_14default_configENS1_25partition_config_selectorILNS1_17partition_subalgoE5EiNS0_10empty_typeEbEEZZNS1_14partition_implILS5_5ELb0ES3_mPiPS6_N6thrust23THRUST_200600_302600_NS18transform_iteratorINSC_6detail9not_fun_tIN6dUtils10isMinusOneIiEEEES9_NSC_11use_defaultESK_EENS0_5tupleIJS9_S6_EEENSM_IJSA_SA_EEES6_PlJS6_EEE10hipError_tPvRmT3_T4_T5_T6_T7_T9_mT8_P12ihipStream_tbDpT10_ENKUlT_T0_E_clISt17integral_constantIbLb1EES19_EEDaS14_S15_EUlS14_E_NS1_11comp_targetILNS1_3genE8ELNS1_11target_archE1030ELNS1_3gpuE2ELNS1_3repE0EEENS1_30default_config_static_selectorELNS0_4arch9wavefront6targetE1EEEvT1_,"axG",@progbits,_ZN7rocprim17ROCPRIM_400000_NS6detail17trampoline_kernelINS0_14default_configENS1_25partition_config_selectorILNS1_17partition_subalgoE5EiNS0_10empty_typeEbEEZZNS1_14partition_implILS5_5ELb0ES3_mPiPS6_N6thrust23THRUST_200600_302600_NS18transform_iteratorINSC_6detail9not_fun_tIN6dUtils10isMinusOneIiEEEES9_NSC_11use_defaultESK_EENS0_5tupleIJS9_S6_EEENSM_IJSA_SA_EEES6_PlJS6_EEE10hipError_tPvRmT3_T4_T5_T6_T7_T9_mT8_P12ihipStream_tbDpT10_ENKUlT_T0_E_clISt17integral_constantIbLb1EES19_EEDaS14_S15_EUlS14_E_NS1_11comp_targetILNS1_3genE8ELNS1_11target_archE1030ELNS1_3gpuE2ELNS1_3repE0EEENS1_30default_config_static_selectorELNS0_4arch9wavefront6targetE1EEEvT1_,comdat
.Lfunc_end234:
	.size	_ZN7rocprim17ROCPRIM_400000_NS6detail17trampoline_kernelINS0_14default_configENS1_25partition_config_selectorILNS1_17partition_subalgoE5EiNS0_10empty_typeEbEEZZNS1_14partition_implILS5_5ELb0ES3_mPiPS6_N6thrust23THRUST_200600_302600_NS18transform_iteratorINSC_6detail9not_fun_tIN6dUtils10isMinusOneIiEEEES9_NSC_11use_defaultESK_EENS0_5tupleIJS9_S6_EEENSM_IJSA_SA_EEES6_PlJS6_EEE10hipError_tPvRmT3_T4_T5_T6_T7_T9_mT8_P12ihipStream_tbDpT10_ENKUlT_T0_E_clISt17integral_constantIbLb1EES19_EEDaS14_S15_EUlS14_E_NS1_11comp_targetILNS1_3genE8ELNS1_11target_archE1030ELNS1_3gpuE2ELNS1_3repE0EEENS1_30default_config_static_selectorELNS0_4arch9wavefront6targetE1EEEvT1_, .Lfunc_end234-_ZN7rocprim17ROCPRIM_400000_NS6detail17trampoline_kernelINS0_14default_configENS1_25partition_config_selectorILNS1_17partition_subalgoE5EiNS0_10empty_typeEbEEZZNS1_14partition_implILS5_5ELb0ES3_mPiPS6_N6thrust23THRUST_200600_302600_NS18transform_iteratorINSC_6detail9not_fun_tIN6dUtils10isMinusOneIiEEEES9_NSC_11use_defaultESK_EENS0_5tupleIJS9_S6_EEENSM_IJSA_SA_EEES6_PlJS6_EEE10hipError_tPvRmT3_T4_T5_T6_T7_T9_mT8_P12ihipStream_tbDpT10_ENKUlT_T0_E_clISt17integral_constantIbLb1EES19_EEDaS14_S15_EUlS14_E_NS1_11comp_targetILNS1_3genE8ELNS1_11target_archE1030ELNS1_3gpuE2ELNS1_3repE0EEENS1_30default_config_static_selectorELNS0_4arch9wavefront6targetE1EEEvT1_
                                        ; -- End function
	.section	.AMDGPU.csdata,"",@progbits
; Kernel info:
; codeLenInByte = 0
; NumSgprs: 4
; NumVgprs: 0
; NumAgprs: 0
; TotalNumVgprs: 0
; ScratchSize: 0
; MemoryBound: 0
; FloatMode: 240
; IeeeMode: 1
; LDSByteSize: 0 bytes/workgroup (compile time only)
; SGPRBlocks: 0
; VGPRBlocks: 0
; NumSGPRsForWavesPerEU: 4
; NumVGPRsForWavesPerEU: 1
; AccumOffset: 4
; Occupancy: 8
; WaveLimiterHint : 0
; COMPUTE_PGM_RSRC2:SCRATCH_EN: 0
; COMPUTE_PGM_RSRC2:USER_SGPR: 6
; COMPUTE_PGM_RSRC2:TRAP_HANDLER: 0
; COMPUTE_PGM_RSRC2:TGID_X_EN: 1
; COMPUTE_PGM_RSRC2:TGID_Y_EN: 0
; COMPUTE_PGM_RSRC2:TGID_Z_EN: 0
; COMPUTE_PGM_RSRC2:TIDIG_COMP_CNT: 0
; COMPUTE_PGM_RSRC3_GFX90A:ACCUM_OFFSET: 0
; COMPUTE_PGM_RSRC3_GFX90A:TG_SPLIT: 0
	.section	.text._ZN7rocprim17ROCPRIM_400000_NS6detail17trampoline_kernelINS0_14default_configENS1_25partition_config_selectorILNS1_17partition_subalgoE5EiNS0_10empty_typeEbEEZZNS1_14partition_implILS5_5ELb0ES3_mPiPS6_N6thrust23THRUST_200600_302600_NS18transform_iteratorINSC_6detail9not_fun_tIN6dUtils10isMinusOneIiEEEES9_NSC_11use_defaultESK_EENS0_5tupleIJS9_S6_EEENSM_IJSA_SA_EEES6_PlJS6_EEE10hipError_tPvRmT3_T4_T5_T6_T7_T9_mT8_P12ihipStream_tbDpT10_ENKUlT_T0_E_clISt17integral_constantIbLb1EES18_IbLb0EEEEDaS14_S15_EUlS14_E_NS1_11comp_targetILNS1_3genE0ELNS1_11target_archE4294967295ELNS1_3gpuE0ELNS1_3repE0EEENS1_30default_config_static_selectorELNS0_4arch9wavefront6targetE1EEEvT1_,"axG",@progbits,_ZN7rocprim17ROCPRIM_400000_NS6detail17trampoline_kernelINS0_14default_configENS1_25partition_config_selectorILNS1_17partition_subalgoE5EiNS0_10empty_typeEbEEZZNS1_14partition_implILS5_5ELb0ES3_mPiPS6_N6thrust23THRUST_200600_302600_NS18transform_iteratorINSC_6detail9not_fun_tIN6dUtils10isMinusOneIiEEEES9_NSC_11use_defaultESK_EENS0_5tupleIJS9_S6_EEENSM_IJSA_SA_EEES6_PlJS6_EEE10hipError_tPvRmT3_T4_T5_T6_T7_T9_mT8_P12ihipStream_tbDpT10_ENKUlT_T0_E_clISt17integral_constantIbLb1EES18_IbLb0EEEEDaS14_S15_EUlS14_E_NS1_11comp_targetILNS1_3genE0ELNS1_11target_archE4294967295ELNS1_3gpuE0ELNS1_3repE0EEENS1_30default_config_static_selectorELNS0_4arch9wavefront6targetE1EEEvT1_,comdat
	.protected	_ZN7rocprim17ROCPRIM_400000_NS6detail17trampoline_kernelINS0_14default_configENS1_25partition_config_selectorILNS1_17partition_subalgoE5EiNS0_10empty_typeEbEEZZNS1_14partition_implILS5_5ELb0ES3_mPiPS6_N6thrust23THRUST_200600_302600_NS18transform_iteratorINSC_6detail9not_fun_tIN6dUtils10isMinusOneIiEEEES9_NSC_11use_defaultESK_EENS0_5tupleIJS9_S6_EEENSM_IJSA_SA_EEES6_PlJS6_EEE10hipError_tPvRmT3_T4_T5_T6_T7_T9_mT8_P12ihipStream_tbDpT10_ENKUlT_T0_E_clISt17integral_constantIbLb1EES18_IbLb0EEEEDaS14_S15_EUlS14_E_NS1_11comp_targetILNS1_3genE0ELNS1_11target_archE4294967295ELNS1_3gpuE0ELNS1_3repE0EEENS1_30default_config_static_selectorELNS0_4arch9wavefront6targetE1EEEvT1_ ; -- Begin function _ZN7rocprim17ROCPRIM_400000_NS6detail17trampoline_kernelINS0_14default_configENS1_25partition_config_selectorILNS1_17partition_subalgoE5EiNS0_10empty_typeEbEEZZNS1_14partition_implILS5_5ELb0ES3_mPiPS6_N6thrust23THRUST_200600_302600_NS18transform_iteratorINSC_6detail9not_fun_tIN6dUtils10isMinusOneIiEEEES9_NSC_11use_defaultESK_EENS0_5tupleIJS9_S6_EEENSM_IJSA_SA_EEES6_PlJS6_EEE10hipError_tPvRmT3_T4_T5_T6_T7_T9_mT8_P12ihipStream_tbDpT10_ENKUlT_T0_E_clISt17integral_constantIbLb1EES18_IbLb0EEEEDaS14_S15_EUlS14_E_NS1_11comp_targetILNS1_3genE0ELNS1_11target_archE4294967295ELNS1_3gpuE0ELNS1_3repE0EEENS1_30default_config_static_selectorELNS0_4arch9wavefront6targetE1EEEvT1_
	.globl	_ZN7rocprim17ROCPRIM_400000_NS6detail17trampoline_kernelINS0_14default_configENS1_25partition_config_selectorILNS1_17partition_subalgoE5EiNS0_10empty_typeEbEEZZNS1_14partition_implILS5_5ELb0ES3_mPiPS6_N6thrust23THRUST_200600_302600_NS18transform_iteratorINSC_6detail9not_fun_tIN6dUtils10isMinusOneIiEEEES9_NSC_11use_defaultESK_EENS0_5tupleIJS9_S6_EEENSM_IJSA_SA_EEES6_PlJS6_EEE10hipError_tPvRmT3_T4_T5_T6_T7_T9_mT8_P12ihipStream_tbDpT10_ENKUlT_T0_E_clISt17integral_constantIbLb1EES18_IbLb0EEEEDaS14_S15_EUlS14_E_NS1_11comp_targetILNS1_3genE0ELNS1_11target_archE4294967295ELNS1_3gpuE0ELNS1_3repE0EEENS1_30default_config_static_selectorELNS0_4arch9wavefront6targetE1EEEvT1_
	.p2align	8
	.type	_ZN7rocprim17ROCPRIM_400000_NS6detail17trampoline_kernelINS0_14default_configENS1_25partition_config_selectorILNS1_17partition_subalgoE5EiNS0_10empty_typeEbEEZZNS1_14partition_implILS5_5ELb0ES3_mPiPS6_N6thrust23THRUST_200600_302600_NS18transform_iteratorINSC_6detail9not_fun_tIN6dUtils10isMinusOneIiEEEES9_NSC_11use_defaultESK_EENS0_5tupleIJS9_S6_EEENSM_IJSA_SA_EEES6_PlJS6_EEE10hipError_tPvRmT3_T4_T5_T6_T7_T9_mT8_P12ihipStream_tbDpT10_ENKUlT_T0_E_clISt17integral_constantIbLb1EES18_IbLb0EEEEDaS14_S15_EUlS14_E_NS1_11comp_targetILNS1_3genE0ELNS1_11target_archE4294967295ELNS1_3gpuE0ELNS1_3repE0EEENS1_30default_config_static_selectorELNS0_4arch9wavefront6targetE1EEEvT1_,@function
_ZN7rocprim17ROCPRIM_400000_NS6detail17trampoline_kernelINS0_14default_configENS1_25partition_config_selectorILNS1_17partition_subalgoE5EiNS0_10empty_typeEbEEZZNS1_14partition_implILS5_5ELb0ES3_mPiPS6_N6thrust23THRUST_200600_302600_NS18transform_iteratorINSC_6detail9not_fun_tIN6dUtils10isMinusOneIiEEEES9_NSC_11use_defaultESK_EENS0_5tupleIJS9_S6_EEENSM_IJSA_SA_EEES6_PlJS6_EEE10hipError_tPvRmT3_T4_T5_T6_T7_T9_mT8_P12ihipStream_tbDpT10_ENKUlT_T0_E_clISt17integral_constantIbLb1EES18_IbLb0EEEEDaS14_S15_EUlS14_E_NS1_11comp_targetILNS1_3genE0ELNS1_11target_archE4294967295ELNS1_3gpuE0ELNS1_3repE0EEENS1_30default_config_static_selectorELNS0_4arch9wavefront6targetE1EEEvT1_: ; @_ZN7rocprim17ROCPRIM_400000_NS6detail17trampoline_kernelINS0_14default_configENS1_25partition_config_selectorILNS1_17partition_subalgoE5EiNS0_10empty_typeEbEEZZNS1_14partition_implILS5_5ELb0ES3_mPiPS6_N6thrust23THRUST_200600_302600_NS18transform_iteratorINSC_6detail9not_fun_tIN6dUtils10isMinusOneIiEEEES9_NSC_11use_defaultESK_EENS0_5tupleIJS9_S6_EEENSM_IJSA_SA_EEES6_PlJS6_EEE10hipError_tPvRmT3_T4_T5_T6_T7_T9_mT8_P12ihipStream_tbDpT10_ENKUlT_T0_E_clISt17integral_constantIbLb1EES18_IbLb0EEEEDaS14_S15_EUlS14_E_NS1_11comp_targetILNS1_3genE0ELNS1_11target_archE4294967295ELNS1_3gpuE0ELNS1_3repE0EEENS1_30default_config_static_selectorELNS0_4arch9wavefront6targetE1EEEvT1_
; %bb.0:
	.section	.rodata,"a",@progbits
	.p2align	6, 0x0
	.amdhsa_kernel _ZN7rocprim17ROCPRIM_400000_NS6detail17trampoline_kernelINS0_14default_configENS1_25partition_config_selectorILNS1_17partition_subalgoE5EiNS0_10empty_typeEbEEZZNS1_14partition_implILS5_5ELb0ES3_mPiPS6_N6thrust23THRUST_200600_302600_NS18transform_iteratorINSC_6detail9not_fun_tIN6dUtils10isMinusOneIiEEEES9_NSC_11use_defaultESK_EENS0_5tupleIJS9_S6_EEENSM_IJSA_SA_EEES6_PlJS6_EEE10hipError_tPvRmT3_T4_T5_T6_T7_T9_mT8_P12ihipStream_tbDpT10_ENKUlT_T0_E_clISt17integral_constantIbLb1EES18_IbLb0EEEEDaS14_S15_EUlS14_E_NS1_11comp_targetILNS1_3genE0ELNS1_11target_archE4294967295ELNS1_3gpuE0ELNS1_3repE0EEENS1_30default_config_static_selectorELNS0_4arch9wavefront6targetE1EEEvT1_
		.amdhsa_group_segment_fixed_size 0
		.amdhsa_private_segment_fixed_size 0
		.amdhsa_kernarg_size 120
		.amdhsa_user_sgpr_count 6
		.amdhsa_user_sgpr_private_segment_buffer 1
		.amdhsa_user_sgpr_dispatch_ptr 0
		.amdhsa_user_sgpr_queue_ptr 0
		.amdhsa_user_sgpr_kernarg_segment_ptr 1
		.amdhsa_user_sgpr_dispatch_id 0
		.amdhsa_user_sgpr_flat_scratch_init 0
		.amdhsa_user_sgpr_kernarg_preload_length 0
		.amdhsa_user_sgpr_kernarg_preload_offset 0
		.amdhsa_user_sgpr_private_segment_size 0
		.amdhsa_uses_dynamic_stack 0
		.amdhsa_system_sgpr_private_segment_wavefront_offset 0
		.amdhsa_system_sgpr_workgroup_id_x 1
		.amdhsa_system_sgpr_workgroup_id_y 0
		.amdhsa_system_sgpr_workgroup_id_z 0
		.amdhsa_system_sgpr_workgroup_info 0
		.amdhsa_system_vgpr_workitem_id 0
		.amdhsa_next_free_vgpr 1
		.amdhsa_next_free_sgpr 0
		.amdhsa_accum_offset 4
		.amdhsa_reserve_vcc 0
		.amdhsa_reserve_flat_scratch 0
		.amdhsa_float_round_mode_32 0
		.amdhsa_float_round_mode_16_64 0
		.amdhsa_float_denorm_mode_32 3
		.amdhsa_float_denorm_mode_16_64 3
		.amdhsa_dx10_clamp 1
		.amdhsa_ieee_mode 1
		.amdhsa_fp16_overflow 0
		.amdhsa_tg_split 0
		.amdhsa_exception_fp_ieee_invalid_op 0
		.amdhsa_exception_fp_denorm_src 0
		.amdhsa_exception_fp_ieee_div_zero 0
		.amdhsa_exception_fp_ieee_overflow 0
		.amdhsa_exception_fp_ieee_underflow 0
		.amdhsa_exception_fp_ieee_inexact 0
		.amdhsa_exception_int_div_zero 0
	.end_amdhsa_kernel
	.section	.text._ZN7rocprim17ROCPRIM_400000_NS6detail17trampoline_kernelINS0_14default_configENS1_25partition_config_selectorILNS1_17partition_subalgoE5EiNS0_10empty_typeEbEEZZNS1_14partition_implILS5_5ELb0ES3_mPiPS6_N6thrust23THRUST_200600_302600_NS18transform_iteratorINSC_6detail9not_fun_tIN6dUtils10isMinusOneIiEEEES9_NSC_11use_defaultESK_EENS0_5tupleIJS9_S6_EEENSM_IJSA_SA_EEES6_PlJS6_EEE10hipError_tPvRmT3_T4_T5_T6_T7_T9_mT8_P12ihipStream_tbDpT10_ENKUlT_T0_E_clISt17integral_constantIbLb1EES18_IbLb0EEEEDaS14_S15_EUlS14_E_NS1_11comp_targetILNS1_3genE0ELNS1_11target_archE4294967295ELNS1_3gpuE0ELNS1_3repE0EEENS1_30default_config_static_selectorELNS0_4arch9wavefront6targetE1EEEvT1_,"axG",@progbits,_ZN7rocprim17ROCPRIM_400000_NS6detail17trampoline_kernelINS0_14default_configENS1_25partition_config_selectorILNS1_17partition_subalgoE5EiNS0_10empty_typeEbEEZZNS1_14partition_implILS5_5ELb0ES3_mPiPS6_N6thrust23THRUST_200600_302600_NS18transform_iteratorINSC_6detail9not_fun_tIN6dUtils10isMinusOneIiEEEES9_NSC_11use_defaultESK_EENS0_5tupleIJS9_S6_EEENSM_IJSA_SA_EEES6_PlJS6_EEE10hipError_tPvRmT3_T4_T5_T6_T7_T9_mT8_P12ihipStream_tbDpT10_ENKUlT_T0_E_clISt17integral_constantIbLb1EES18_IbLb0EEEEDaS14_S15_EUlS14_E_NS1_11comp_targetILNS1_3genE0ELNS1_11target_archE4294967295ELNS1_3gpuE0ELNS1_3repE0EEENS1_30default_config_static_selectorELNS0_4arch9wavefront6targetE1EEEvT1_,comdat
.Lfunc_end235:
	.size	_ZN7rocprim17ROCPRIM_400000_NS6detail17trampoline_kernelINS0_14default_configENS1_25partition_config_selectorILNS1_17partition_subalgoE5EiNS0_10empty_typeEbEEZZNS1_14partition_implILS5_5ELb0ES3_mPiPS6_N6thrust23THRUST_200600_302600_NS18transform_iteratorINSC_6detail9not_fun_tIN6dUtils10isMinusOneIiEEEES9_NSC_11use_defaultESK_EENS0_5tupleIJS9_S6_EEENSM_IJSA_SA_EEES6_PlJS6_EEE10hipError_tPvRmT3_T4_T5_T6_T7_T9_mT8_P12ihipStream_tbDpT10_ENKUlT_T0_E_clISt17integral_constantIbLb1EES18_IbLb0EEEEDaS14_S15_EUlS14_E_NS1_11comp_targetILNS1_3genE0ELNS1_11target_archE4294967295ELNS1_3gpuE0ELNS1_3repE0EEENS1_30default_config_static_selectorELNS0_4arch9wavefront6targetE1EEEvT1_, .Lfunc_end235-_ZN7rocprim17ROCPRIM_400000_NS6detail17trampoline_kernelINS0_14default_configENS1_25partition_config_selectorILNS1_17partition_subalgoE5EiNS0_10empty_typeEbEEZZNS1_14partition_implILS5_5ELb0ES3_mPiPS6_N6thrust23THRUST_200600_302600_NS18transform_iteratorINSC_6detail9not_fun_tIN6dUtils10isMinusOneIiEEEES9_NSC_11use_defaultESK_EENS0_5tupleIJS9_S6_EEENSM_IJSA_SA_EEES6_PlJS6_EEE10hipError_tPvRmT3_T4_T5_T6_T7_T9_mT8_P12ihipStream_tbDpT10_ENKUlT_T0_E_clISt17integral_constantIbLb1EES18_IbLb0EEEEDaS14_S15_EUlS14_E_NS1_11comp_targetILNS1_3genE0ELNS1_11target_archE4294967295ELNS1_3gpuE0ELNS1_3repE0EEENS1_30default_config_static_selectorELNS0_4arch9wavefront6targetE1EEEvT1_
                                        ; -- End function
	.section	.AMDGPU.csdata,"",@progbits
; Kernel info:
; codeLenInByte = 0
; NumSgprs: 4
; NumVgprs: 0
; NumAgprs: 0
; TotalNumVgprs: 0
; ScratchSize: 0
; MemoryBound: 0
; FloatMode: 240
; IeeeMode: 1
; LDSByteSize: 0 bytes/workgroup (compile time only)
; SGPRBlocks: 0
; VGPRBlocks: 0
; NumSGPRsForWavesPerEU: 4
; NumVGPRsForWavesPerEU: 1
; AccumOffset: 4
; Occupancy: 8
; WaveLimiterHint : 0
; COMPUTE_PGM_RSRC2:SCRATCH_EN: 0
; COMPUTE_PGM_RSRC2:USER_SGPR: 6
; COMPUTE_PGM_RSRC2:TRAP_HANDLER: 0
; COMPUTE_PGM_RSRC2:TGID_X_EN: 1
; COMPUTE_PGM_RSRC2:TGID_Y_EN: 0
; COMPUTE_PGM_RSRC2:TGID_Z_EN: 0
; COMPUTE_PGM_RSRC2:TIDIG_COMP_CNT: 0
; COMPUTE_PGM_RSRC3_GFX90A:ACCUM_OFFSET: 0
; COMPUTE_PGM_RSRC3_GFX90A:TG_SPLIT: 0
	.section	.text._ZN7rocprim17ROCPRIM_400000_NS6detail17trampoline_kernelINS0_14default_configENS1_25partition_config_selectorILNS1_17partition_subalgoE5EiNS0_10empty_typeEbEEZZNS1_14partition_implILS5_5ELb0ES3_mPiPS6_N6thrust23THRUST_200600_302600_NS18transform_iteratorINSC_6detail9not_fun_tIN6dUtils10isMinusOneIiEEEES9_NSC_11use_defaultESK_EENS0_5tupleIJS9_S6_EEENSM_IJSA_SA_EEES6_PlJS6_EEE10hipError_tPvRmT3_T4_T5_T6_T7_T9_mT8_P12ihipStream_tbDpT10_ENKUlT_T0_E_clISt17integral_constantIbLb1EES18_IbLb0EEEEDaS14_S15_EUlS14_E_NS1_11comp_targetILNS1_3genE5ELNS1_11target_archE942ELNS1_3gpuE9ELNS1_3repE0EEENS1_30default_config_static_selectorELNS0_4arch9wavefront6targetE1EEEvT1_,"axG",@progbits,_ZN7rocprim17ROCPRIM_400000_NS6detail17trampoline_kernelINS0_14default_configENS1_25partition_config_selectorILNS1_17partition_subalgoE5EiNS0_10empty_typeEbEEZZNS1_14partition_implILS5_5ELb0ES3_mPiPS6_N6thrust23THRUST_200600_302600_NS18transform_iteratorINSC_6detail9not_fun_tIN6dUtils10isMinusOneIiEEEES9_NSC_11use_defaultESK_EENS0_5tupleIJS9_S6_EEENSM_IJSA_SA_EEES6_PlJS6_EEE10hipError_tPvRmT3_T4_T5_T6_T7_T9_mT8_P12ihipStream_tbDpT10_ENKUlT_T0_E_clISt17integral_constantIbLb1EES18_IbLb0EEEEDaS14_S15_EUlS14_E_NS1_11comp_targetILNS1_3genE5ELNS1_11target_archE942ELNS1_3gpuE9ELNS1_3repE0EEENS1_30default_config_static_selectorELNS0_4arch9wavefront6targetE1EEEvT1_,comdat
	.protected	_ZN7rocprim17ROCPRIM_400000_NS6detail17trampoline_kernelINS0_14default_configENS1_25partition_config_selectorILNS1_17partition_subalgoE5EiNS0_10empty_typeEbEEZZNS1_14partition_implILS5_5ELb0ES3_mPiPS6_N6thrust23THRUST_200600_302600_NS18transform_iteratorINSC_6detail9not_fun_tIN6dUtils10isMinusOneIiEEEES9_NSC_11use_defaultESK_EENS0_5tupleIJS9_S6_EEENSM_IJSA_SA_EEES6_PlJS6_EEE10hipError_tPvRmT3_T4_T5_T6_T7_T9_mT8_P12ihipStream_tbDpT10_ENKUlT_T0_E_clISt17integral_constantIbLb1EES18_IbLb0EEEEDaS14_S15_EUlS14_E_NS1_11comp_targetILNS1_3genE5ELNS1_11target_archE942ELNS1_3gpuE9ELNS1_3repE0EEENS1_30default_config_static_selectorELNS0_4arch9wavefront6targetE1EEEvT1_ ; -- Begin function _ZN7rocprim17ROCPRIM_400000_NS6detail17trampoline_kernelINS0_14default_configENS1_25partition_config_selectorILNS1_17partition_subalgoE5EiNS0_10empty_typeEbEEZZNS1_14partition_implILS5_5ELb0ES3_mPiPS6_N6thrust23THRUST_200600_302600_NS18transform_iteratorINSC_6detail9not_fun_tIN6dUtils10isMinusOneIiEEEES9_NSC_11use_defaultESK_EENS0_5tupleIJS9_S6_EEENSM_IJSA_SA_EEES6_PlJS6_EEE10hipError_tPvRmT3_T4_T5_T6_T7_T9_mT8_P12ihipStream_tbDpT10_ENKUlT_T0_E_clISt17integral_constantIbLb1EES18_IbLb0EEEEDaS14_S15_EUlS14_E_NS1_11comp_targetILNS1_3genE5ELNS1_11target_archE942ELNS1_3gpuE9ELNS1_3repE0EEENS1_30default_config_static_selectorELNS0_4arch9wavefront6targetE1EEEvT1_
	.globl	_ZN7rocprim17ROCPRIM_400000_NS6detail17trampoline_kernelINS0_14default_configENS1_25partition_config_selectorILNS1_17partition_subalgoE5EiNS0_10empty_typeEbEEZZNS1_14partition_implILS5_5ELb0ES3_mPiPS6_N6thrust23THRUST_200600_302600_NS18transform_iteratorINSC_6detail9not_fun_tIN6dUtils10isMinusOneIiEEEES9_NSC_11use_defaultESK_EENS0_5tupleIJS9_S6_EEENSM_IJSA_SA_EEES6_PlJS6_EEE10hipError_tPvRmT3_T4_T5_T6_T7_T9_mT8_P12ihipStream_tbDpT10_ENKUlT_T0_E_clISt17integral_constantIbLb1EES18_IbLb0EEEEDaS14_S15_EUlS14_E_NS1_11comp_targetILNS1_3genE5ELNS1_11target_archE942ELNS1_3gpuE9ELNS1_3repE0EEENS1_30default_config_static_selectorELNS0_4arch9wavefront6targetE1EEEvT1_
	.p2align	8
	.type	_ZN7rocprim17ROCPRIM_400000_NS6detail17trampoline_kernelINS0_14default_configENS1_25partition_config_selectorILNS1_17partition_subalgoE5EiNS0_10empty_typeEbEEZZNS1_14partition_implILS5_5ELb0ES3_mPiPS6_N6thrust23THRUST_200600_302600_NS18transform_iteratorINSC_6detail9not_fun_tIN6dUtils10isMinusOneIiEEEES9_NSC_11use_defaultESK_EENS0_5tupleIJS9_S6_EEENSM_IJSA_SA_EEES6_PlJS6_EEE10hipError_tPvRmT3_T4_T5_T6_T7_T9_mT8_P12ihipStream_tbDpT10_ENKUlT_T0_E_clISt17integral_constantIbLb1EES18_IbLb0EEEEDaS14_S15_EUlS14_E_NS1_11comp_targetILNS1_3genE5ELNS1_11target_archE942ELNS1_3gpuE9ELNS1_3repE0EEENS1_30default_config_static_selectorELNS0_4arch9wavefront6targetE1EEEvT1_,@function
_ZN7rocprim17ROCPRIM_400000_NS6detail17trampoline_kernelINS0_14default_configENS1_25partition_config_selectorILNS1_17partition_subalgoE5EiNS0_10empty_typeEbEEZZNS1_14partition_implILS5_5ELb0ES3_mPiPS6_N6thrust23THRUST_200600_302600_NS18transform_iteratorINSC_6detail9not_fun_tIN6dUtils10isMinusOneIiEEEES9_NSC_11use_defaultESK_EENS0_5tupleIJS9_S6_EEENSM_IJSA_SA_EEES6_PlJS6_EEE10hipError_tPvRmT3_T4_T5_T6_T7_T9_mT8_P12ihipStream_tbDpT10_ENKUlT_T0_E_clISt17integral_constantIbLb1EES18_IbLb0EEEEDaS14_S15_EUlS14_E_NS1_11comp_targetILNS1_3genE5ELNS1_11target_archE942ELNS1_3gpuE9ELNS1_3repE0EEENS1_30default_config_static_selectorELNS0_4arch9wavefront6targetE1EEEvT1_: ; @_ZN7rocprim17ROCPRIM_400000_NS6detail17trampoline_kernelINS0_14default_configENS1_25partition_config_selectorILNS1_17partition_subalgoE5EiNS0_10empty_typeEbEEZZNS1_14partition_implILS5_5ELb0ES3_mPiPS6_N6thrust23THRUST_200600_302600_NS18transform_iteratorINSC_6detail9not_fun_tIN6dUtils10isMinusOneIiEEEES9_NSC_11use_defaultESK_EENS0_5tupleIJS9_S6_EEENSM_IJSA_SA_EEES6_PlJS6_EEE10hipError_tPvRmT3_T4_T5_T6_T7_T9_mT8_P12ihipStream_tbDpT10_ENKUlT_T0_E_clISt17integral_constantIbLb1EES18_IbLb0EEEEDaS14_S15_EUlS14_E_NS1_11comp_targetILNS1_3genE5ELNS1_11target_archE942ELNS1_3gpuE9ELNS1_3repE0EEENS1_30default_config_static_selectorELNS0_4arch9wavefront6targetE1EEEvT1_
; %bb.0:
	.section	.rodata,"a",@progbits
	.p2align	6, 0x0
	.amdhsa_kernel _ZN7rocprim17ROCPRIM_400000_NS6detail17trampoline_kernelINS0_14default_configENS1_25partition_config_selectorILNS1_17partition_subalgoE5EiNS0_10empty_typeEbEEZZNS1_14partition_implILS5_5ELb0ES3_mPiPS6_N6thrust23THRUST_200600_302600_NS18transform_iteratorINSC_6detail9not_fun_tIN6dUtils10isMinusOneIiEEEES9_NSC_11use_defaultESK_EENS0_5tupleIJS9_S6_EEENSM_IJSA_SA_EEES6_PlJS6_EEE10hipError_tPvRmT3_T4_T5_T6_T7_T9_mT8_P12ihipStream_tbDpT10_ENKUlT_T0_E_clISt17integral_constantIbLb1EES18_IbLb0EEEEDaS14_S15_EUlS14_E_NS1_11comp_targetILNS1_3genE5ELNS1_11target_archE942ELNS1_3gpuE9ELNS1_3repE0EEENS1_30default_config_static_selectorELNS0_4arch9wavefront6targetE1EEEvT1_
		.amdhsa_group_segment_fixed_size 0
		.amdhsa_private_segment_fixed_size 0
		.amdhsa_kernarg_size 120
		.amdhsa_user_sgpr_count 6
		.amdhsa_user_sgpr_private_segment_buffer 1
		.amdhsa_user_sgpr_dispatch_ptr 0
		.amdhsa_user_sgpr_queue_ptr 0
		.amdhsa_user_sgpr_kernarg_segment_ptr 1
		.amdhsa_user_sgpr_dispatch_id 0
		.amdhsa_user_sgpr_flat_scratch_init 0
		.amdhsa_user_sgpr_kernarg_preload_length 0
		.amdhsa_user_sgpr_kernarg_preload_offset 0
		.amdhsa_user_sgpr_private_segment_size 0
		.amdhsa_uses_dynamic_stack 0
		.amdhsa_system_sgpr_private_segment_wavefront_offset 0
		.amdhsa_system_sgpr_workgroup_id_x 1
		.amdhsa_system_sgpr_workgroup_id_y 0
		.amdhsa_system_sgpr_workgroup_id_z 0
		.amdhsa_system_sgpr_workgroup_info 0
		.amdhsa_system_vgpr_workitem_id 0
		.amdhsa_next_free_vgpr 1
		.amdhsa_next_free_sgpr 0
		.amdhsa_accum_offset 4
		.amdhsa_reserve_vcc 0
		.amdhsa_reserve_flat_scratch 0
		.amdhsa_float_round_mode_32 0
		.amdhsa_float_round_mode_16_64 0
		.amdhsa_float_denorm_mode_32 3
		.amdhsa_float_denorm_mode_16_64 3
		.amdhsa_dx10_clamp 1
		.amdhsa_ieee_mode 1
		.amdhsa_fp16_overflow 0
		.amdhsa_tg_split 0
		.amdhsa_exception_fp_ieee_invalid_op 0
		.amdhsa_exception_fp_denorm_src 0
		.amdhsa_exception_fp_ieee_div_zero 0
		.amdhsa_exception_fp_ieee_overflow 0
		.amdhsa_exception_fp_ieee_underflow 0
		.amdhsa_exception_fp_ieee_inexact 0
		.amdhsa_exception_int_div_zero 0
	.end_amdhsa_kernel
	.section	.text._ZN7rocprim17ROCPRIM_400000_NS6detail17trampoline_kernelINS0_14default_configENS1_25partition_config_selectorILNS1_17partition_subalgoE5EiNS0_10empty_typeEbEEZZNS1_14partition_implILS5_5ELb0ES3_mPiPS6_N6thrust23THRUST_200600_302600_NS18transform_iteratorINSC_6detail9not_fun_tIN6dUtils10isMinusOneIiEEEES9_NSC_11use_defaultESK_EENS0_5tupleIJS9_S6_EEENSM_IJSA_SA_EEES6_PlJS6_EEE10hipError_tPvRmT3_T4_T5_T6_T7_T9_mT8_P12ihipStream_tbDpT10_ENKUlT_T0_E_clISt17integral_constantIbLb1EES18_IbLb0EEEEDaS14_S15_EUlS14_E_NS1_11comp_targetILNS1_3genE5ELNS1_11target_archE942ELNS1_3gpuE9ELNS1_3repE0EEENS1_30default_config_static_selectorELNS0_4arch9wavefront6targetE1EEEvT1_,"axG",@progbits,_ZN7rocprim17ROCPRIM_400000_NS6detail17trampoline_kernelINS0_14default_configENS1_25partition_config_selectorILNS1_17partition_subalgoE5EiNS0_10empty_typeEbEEZZNS1_14partition_implILS5_5ELb0ES3_mPiPS6_N6thrust23THRUST_200600_302600_NS18transform_iteratorINSC_6detail9not_fun_tIN6dUtils10isMinusOneIiEEEES9_NSC_11use_defaultESK_EENS0_5tupleIJS9_S6_EEENSM_IJSA_SA_EEES6_PlJS6_EEE10hipError_tPvRmT3_T4_T5_T6_T7_T9_mT8_P12ihipStream_tbDpT10_ENKUlT_T0_E_clISt17integral_constantIbLb1EES18_IbLb0EEEEDaS14_S15_EUlS14_E_NS1_11comp_targetILNS1_3genE5ELNS1_11target_archE942ELNS1_3gpuE9ELNS1_3repE0EEENS1_30default_config_static_selectorELNS0_4arch9wavefront6targetE1EEEvT1_,comdat
.Lfunc_end236:
	.size	_ZN7rocprim17ROCPRIM_400000_NS6detail17trampoline_kernelINS0_14default_configENS1_25partition_config_selectorILNS1_17partition_subalgoE5EiNS0_10empty_typeEbEEZZNS1_14partition_implILS5_5ELb0ES3_mPiPS6_N6thrust23THRUST_200600_302600_NS18transform_iteratorINSC_6detail9not_fun_tIN6dUtils10isMinusOneIiEEEES9_NSC_11use_defaultESK_EENS0_5tupleIJS9_S6_EEENSM_IJSA_SA_EEES6_PlJS6_EEE10hipError_tPvRmT3_T4_T5_T6_T7_T9_mT8_P12ihipStream_tbDpT10_ENKUlT_T0_E_clISt17integral_constantIbLb1EES18_IbLb0EEEEDaS14_S15_EUlS14_E_NS1_11comp_targetILNS1_3genE5ELNS1_11target_archE942ELNS1_3gpuE9ELNS1_3repE0EEENS1_30default_config_static_selectorELNS0_4arch9wavefront6targetE1EEEvT1_, .Lfunc_end236-_ZN7rocprim17ROCPRIM_400000_NS6detail17trampoline_kernelINS0_14default_configENS1_25partition_config_selectorILNS1_17partition_subalgoE5EiNS0_10empty_typeEbEEZZNS1_14partition_implILS5_5ELb0ES3_mPiPS6_N6thrust23THRUST_200600_302600_NS18transform_iteratorINSC_6detail9not_fun_tIN6dUtils10isMinusOneIiEEEES9_NSC_11use_defaultESK_EENS0_5tupleIJS9_S6_EEENSM_IJSA_SA_EEES6_PlJS6_EEE10hipError_tPvRmT3_T4_T5_T6_T7_T9_mT8_P12ihipStream_tbDpT10_ENKUlT_T0_E_clISt17integral_constantIbLb1EES18_IbLb0EEEEDaS14_S15_EUlS14_E_NS1_11comp_targetILNS1_3genE5ELNS1_11target_archE942ELNS1_3gpuE9ELNS1_3repE0EEENS1_30default_config_static_selectorELNS0_4arch9wavefront6targetE1EEEvT1_
                                        ; -- End function
	.section	.AMDGPU.csdata,"",@progbits
; Kernel info:
; codeLenInByte = 0
; NumSgprs: 4
; NumVgprs: 0
; NumAgprs: 0
; TotalNumVgprs: 0
; ScratchSize: 0
; MemoryBound: 0
; FloatMode: 240
; IeeeMode: 1
; LDSByteSize: 0 bytes/workgroup (compile time only)
; SGPRBlocks: 0
; VGPRBlocks: 0
; NumSGPRsForWavesPerEU: 4
; NumVGPRsForWavesPerEU: 1
; AccumOffset: 4
; Occupancy: 8
; WaveLimiterHint : 0
; COMPUTE_PGM_RSRC2:SCRATCH_EN: 0
; COMPUTE_PGM_RSRC2:USER_SGPR: 6
; COMPUTE_PGM_RSRC2:TRAP_HANDLER: 0
; COMPUTE_PGM_RSRC2:TGID_X_EN: 1
; COMPUTE_PGM_RSRC2:TGID_Y_EN: 0
; COMPUTE_PGM_RSRC2:TGID_Z_EN: 0
; COMPUTE_PGM_RSRC2:TIDIG_COMP_CNT: 0
; COMPUTE_PGM_RSRC3_GFX90A:ACCUM_OFFSET: 0
; COMPUTE_PGM_RSRC3_GFX90A:TG_SPLIT: 0
	.section	.text._ZN7rocprim17ROCPRIM_400000_NS6detail17trampoline_kernelINS0_14default_configENS1_25partition_config_selectorILNS1_17partition_subalgoE5EiNS0_10empty_typeEbEEZZNS1_14partition_implILS5_5ELb0ES3_mPiPS6_N6thrust23THRUST_200600_302600_NS18transform_iteratorINSC_6detail9not_fun_tIN6dUtils10isMinusOneIiEEEES9_NSC_11use_defaultESK_EENS0_5tupleIJS9_S6_EEENSM_IJSA_SA_EEES6_PlJS6_EEE10hipError_tPvRmT3_T4_T5_T6_T7_T9_mT8_P12ihipStream_tbDpT10_ENKUlT_T0_E_clISt17integral_constantIbLb1EES18_IbLb0EEEEDaS14_S15_EUlS14_E_NS1_11comp_targetILNS1_3genE4ELNS1_11target_archE910ELNS1_3gpuE8ELNS1_3repE0EEENS1_30default_config_static_selectorELNS0_4arch9wavefront6targetE1EEEvT1_,"axG",@progbits,_ZN7rocprim17ROCPRIM_400000_NS6detail17trampoline_kernelINS0_14default_configENS1_25partition_config_selectorILNS1_17partition_subalgoE5EiNS0_10empty_typeEbEEZZNS1_14partition_implILS5_5ELb0ES3_mPiPS6_N6thrust23THRUST_200600_302600_NS18transform_iteratorINSC_6detail9not_fun_tIN6dUtils10isMinusOneIiEEEES9_NSC_11use_defaultESK_EENS0_5tupleIJS9_S6_EEENSM_IJSA_SA_EEES6_PlJS6_EEE10hipError_tPvRmT3_T4_T5_T6_T7_T9_mT8_P12ihipStream_tbDpT10_ENKUlT_T0_E_clISt17integral_constantIbLb1EES18_IbLb0EEEEDaS14_S15_EUlS14_E_NS1_11comp_targetILNS1_3genE4ELNS1_11target_archE910ELNS1_3gpuE8ELNS1_3repE0EEENS1_30default_config_static_selectorELNS0_4arch9wavefront6targetE1EEEvT1_,comdat
	.protected	_ZN7rocprim17ROCPRIM_400000_NS6detail17trampoline_kernelINS0_14default_configENS1_25partition_config_selectorILNS1_17partition_subalgoE5EiNS0_10empty_typeEbEEZZNS1_14partition_implILS5_5ELb0ES3_mPiPS6_N6thrust23THRUST_200600_302600_NS18transform_iteratorINSC_6detail9not_fun_tIN6dUtils10isMinusOneIiEEEES9_NSC_11use_defaultESK_EENS0_5tupleIJS9_S6_EEENSM_IJSA_SA_EEES6_PlJS6_EEE10hipError_tPvRmT3_T4_T5_T6_T7_T9_mT8_P12ihipStream_tbDpT10_ENKUlT_T0_E_clISt17integral_constantIbLb1EES18_IbLb0EEEEDaS14_S15_EUlS14_E_NS1_11comp_targetILNS1_3genE4ELNS1_11target_archE910ELNS1_3gpuE8ELNS1_3repE0EEENS1_30default_config_static_selectorELNS0_4arch9wavefront6targetE1EEEvT1_ ; -- Begin function _ZN7rocprim17ROCPRIM_400000_NS6detail17trampoline_kernelINS0_14default_configENS1_25partition_config_selectorILNS1_17partition_subalgoE5EiNS0_10empty_typeEbEEZZNS1_14partition_implILS5_5ELb0ES3_mPiPS6_N6thrust23THRUST_200600_302600_NS18transform_iteratorINSC_6detail9not_fun_tIN6dUtils10isMinusOneIiEEEES9_NSC_11use_defaultESK_EENS0_5tupleIJS9_S6_EEENSM_IJSA_SA_EEES6_PlJS6_EEE10hipError_tPvRmT3_T4_T5_T6_T7_T9_mT8_P12ihipStream_tbDpT10_ENKUlT_T0_E_clISt17integral_constantIbLb1EES18_IbLb0EEEEDaS14_S15_EUlS14_E_NS1_11comp_targetILNS1_3genE4ELNS1_11target_archE910ELNS1_3gpuE8ELNS1_3repE0EEENS1_30default_config_static_selectorELNS0_4arch9wavefront6targetE1EEEvT1_
	.globl	_ZN7rocprim17ROCPRIM_400000_NS6detail17trampoline_kernelINS0_14default_configENS1_25partition_config_selectorILNS1_17partition_subalgoE5EiNS0_10empty_typeEbEEZZNS1_14partition_implILS5_5ELb0ES3_mPiPS6_N6thrust23THRUST_200600_302600_NS18transform_iteratorINSC_6detail9not_fun_tIN6dUtils10isMinusOneIiEEEES9_NSC_11use_defaultESK_EENS0_5tupleIJS9_S6_EEENSM_IJSA_SA_EEES6_PlJS6_EEE10hipError_tPvRmT3_T4_T5_T6_T7_T9_mT8_P12ihipStream_tbDpT10_ENKUlT_T0_E_clISt17integral_constantIbLb1EES18_IbLb0EEEEDaS14_S15_EUlS14_E_NS1_11comp_targetILNS1_3genE4ELNS1_11target_archE910ELNS1_3gpuE8ELNS1_3repE0EEENS1_30default_config_static_selectorELNS0_4arch9wavefront6targetE1EEEvT1_
	.p2align	8
	.type	_ZN7rocprim17ROCPRIM_400000_NS6detail17trampoline_kernelINS0_14default_configENS1_25partition_config_selectorILNS1_17partition_subalgoE5EiNS0_10empty_typeEbEEZZNS1_14partition_implILS5_5ELb0ES3_mPiPS6_N6thrust23THRUST_200600_302600_NS18transform_iteratorINSC_6detail9not_fun_tIN6dUtils10isMinusOneIiEEEES9_NSC_11use_defaultESK_EENS0_5tupleIJS9_S6_EEENSM_IJSA_SA_EEES6_PlJS6_EEE10hipError_tPvRmT3_T4_T5_T6_T7_T9_mT8_P12ihipStream_tbDpT10_ENKUlT_T0_E_clISt17integral_constantIbLb1EES18_IbLb0EEEEDaS14_S15_EUlS14_E_NS1_11comp_targetILNS1_3genE4ELNS1_11target_archE910ELNS1_3gpuE8ELNS1_3repE0EEENS1_30default_config_static_selectorELNS0_4arch9wavefront6targetE1EEEvT1_,@function
_ZN7rocprim17ROCPRIM_400000_NS6detail17trampoline_kernelINS0_14default_configENS1_25partition_config_selectorILNS1_17partition_subalgoE5EiNS0_10empty_typeEbEEZZNS1_14partition_implILS5_5ELb0ES3_mPiPS6_N6thrust23THRUST_200600_302600_NS18transform_iteratorINSC_6detail9not_fun_tIN6dUtils10isMinusOneIiEEEES9_NSC_11use_defaultESK_EENS0_5tupleIJS9_S6_EEENSM_IJSA_SA_EEES6_PlJS6_EEE10hipError_tPvRmT3_T4_T5_T6_T7_T9_mT8_P12ihipStream_tbDpT10_ENKUlT_T0_E_clISt17integral_constantIbLb1EES18_IbLb0EEEEDaS14_S15_EUlS14_E_NS1_11comp_targetILNS1_3genE4ELNS1_11target_archE910ELNS1_3gpuE8ELNS1_3repE0EEENS1_30default_config_static_selectorELNS0_4arch9wavefront6targetE1EEEvT1_: ; @_ZN7rocprim17ROCPRIM_400000_NS6detail17trampoline_kernelINS0_14default_configENS1_25partition_config_selectorILNS1_17partition_subalgoE5EiNS0_10empty_typeEbEEZZNS1_14partition_implILS5_5ELb0ES3_mPiPS6_N6thrust23THRUST_200600_302600_NS18transform_iteratorINSC_6detail9not_fun_tIN6dUtils10isMinusOneIiEEEES9_NSC_11use_defaultESK_EENS0_5tupleIJS9_S6_EEENSM_IJSA_SA_EEES6_PlJS6_EEE10hipError_tPvRmT3_T4_T5_T6_T7_T9_mT8_P12ihipStream_tbDpT10_ENKUlT_T0_E_clISt17integral_constantIbLb1EES18_IbLb0EEEEDaS14_S15_EUlS14_E_NS1_11comp_targetILNS1_3genE4ELNS1_11target_archE910ELNS1_3gpuE8ELNS1_3repE0EEENS1_30default_config_static_selectorELNS0_4arch9wavefront6targetE1EEEvT1_
; %bb.0:
	s_load_dwordx2 s[0:1], s[4:5], 0x58
	s_load_dwordx4 s[12:15], s[4:5], 0x8
	s_load_dwordx2 s[2:3], s[4:5], 0x20
	s_load_dwordx4 s[16:19], s[4:5], 0x48
	s_mul_i32 s10, s6, 0x700
	s_waitcnt lgkmcnt(0)
	v_mov_b32_e32 v3, s1
	s_load_dword s1, s[4:5], 0x70
	s_lshl_b64 s[8:9], s[14:15], 2
	s_add_u32 s24, s12, s8
	s_addc_u32 s25, s13, s9
	v_mov_b32_e32 v2, s0
	s_waitcnt lgkmcnt(0)
	s_add_i32 s12, s1, -1
	s_mulk_i32 s1, 0x700
	s_add_i32 s7, s1, s14
	s_sub_i32 s7, s0, s7
	s_addk_i32 s7, 0x700
	s_add_u32 s0, s14, s1
	s_addc_u32 s1, s15, 0
	s_cmp_eq_u32 s6, s12
	s_load_dwordx2 s[18:19], s[18:19], 0x0
	v_cmp_ge_u64_e32 vcc, s[0:1], v[2:3]
	s_cselect_b64 s[20:21], -1, 0
	s_mov_b32 s11, 0
	s_and_b64 s[12:13], s[20:21], vcc
	s_xor_b64 s[22:23], s[12:13], -1
	s_lshl_b64 s[10:11], s[10:11], 2
	s_add_u32 s12, s24, s10
	s_mov_b64 s[0:1], -1
	s_addc_u32 s13, s25, s11
	s_and_b64 vcc, exec, s[22:23]
	s_cbranch_vccz .LBB237_2
; %bb.1:
	v_lshlrev_b32_e32 v1, 2, v0
	v_mov_b32_e32 v2, s13
	v_add_co_u32_e32 v3, vcc, s12, v1
	v_addc_co_u32_e32 v4, vcc, 0, v2, vcc
	v_add_co_u32_e32 v2, vcc, 0x1000, v3
	v_addc_co_u32_e32 v3, vcc, 0, v4, vcc
	global_load_dword v4, v1, s[12:13]
	global_load_dword v5, v1, s[12:13] offset:1024
	global_load_dword v6, v1, s[12:13] offset:2048
	global_load_dword v7, v1, s[12:13] offset:3072
	global_load_dword v8, v[2:3], off
	global_load_dword v9, v[2:3], off offset:1024
	global_load_dword v10, v[2:3], off offset:2048
	s_mov_b64 s[0:1], 0
	s_waitcnt vmcnt(5)
	ds_write2st64_b32 v1, v4, v5 offset1:4
	s_waitcnt vmcnt(3)
	ds_write2st64_b32 v1, v6, v7 offset0:8 offset1:12
	s_waitcnt vmcnt(1)
	ds_write2st64_b32 v1, v8, v9 offset0:16 offset1:20
	s_waitcnt vmcnt(0)
	ds_write_b32 v1, v10 offset:6144
	s_waitcnt lgkmcnt(0)
	s_barrier
.LBB237_2:
	s_andn2_b64 vcc, exec, s[0:1]
	v_cmp_gt_u32_e64 s[0:1], s7, v0
	s_cbranch_vccnz .LBB237_18
; %bb.3:
                                        ; implicit-def: $vgpr2_vgpr3_vgpr4_vgpr5_vgpr6_vgpr7_vgpr8
	s_and_saveexec_b64 s[14:15], s[0:1]
	s_cbranch_execz .LBB237_5
; %bb.4:
	v_lshlrev_b32_e32 v1, 2, v0
	global_load_dword v2, v1, s[12:13]
.LBB237_5:
	s_or_b64 exec, exec, s[14:15]
	v_or_b32_e32 v1, 0x100, v0
	v_cmp_gt_u32_e32 vcc, s7, v1
	s_and_saveexec_b64 s[0:1], vcc
	s_cbranch_execz .LBB237_7
; %bb.6:
	v_lshlrev_b32_e32 v1, 2, v0
	global_load_dword v3, v1, s[12:13] offset:1024
.LBB237_7:
	s_or_b64 exec, exec, s[0:1]
	v_or_b32_e32 v1, 0x200, v0
	v_cmp_gt_u32_e32 vcc, s7, v1
	s_and_saveexec_b64 s[0:1], vcc
	s_cbranch_execz .LBB237_9
; %bb.8:
	v_lshlrev_b32_e32 v1, 2, v0
	global_load_dword v4, v1, s[12:13] offset:2048
.LBB237_9:
	;; [unrolled: 9-line block ×3, first 2 shown]
	s_or_b64 exec, exec, s[0:1]
	v_or_b32_e32 v1, 0x400, v0
	v_cmp_gt_u32_e32 vcc, s7, v1
	s_and_saveexec_b64 s[0:1], vcc
	s_cbranch_execz .LBB237_13
; %bb.12:
	v_lshlrev_b32_e32 v1, 2, v1
	global_load_dword v6, v1, s[12:13]
.LBB237_13:
	s_or_b64 exec, exec, s[0:1]
	v_or_b32_e32 v1, 0x500, v0
	v_cmp_gt_u32_e32 vcc, s7, v1
	s_and_saveexec_b64 s[0:1], vcc
	s_cbranch_execz .LBB237_15
; %bb.14:
	v_lshlrev_b32_e32 v1, 2, v1
	global_load_dword v7, v1, s[12:13]
.LBB237_15:
	;; [unrolled: 9-line block ×3, first 2 shown]
	s_or_b64 exec, exec, s[0:1]
	v_lshlrev_b32_e32 v1, 2, v0
	s_waitcnt vmcnt(0)
	ds_write2st64_b32 v1, v2, v3 offset1:4
	ds_write2st64_b32 v1, v4, v5 offset0:8 offset1:12
	ds_write2st64_b32 v1, v6, v7 offset0:16 offset1:20
	ds_write_b32 v1, v8 offset:6144
	s_waitcnt lgkmcnt(0)
	s_barrier
.LBB237_18:
	v_mul_u32_u24_e32 v1, 7, v0
	v_lshlrev_b32_e32 v1, 2, v1
	s_waitcnt lgkmcnt(0)
	ds_read2_b32 v[14:15], v1 offset1:1
	ds_read2_b32 v[12:13], v1 offset0:2 offset1:3
	ds_read2_b32 v[10:11], v1 offset0:4 offset1:5
	ds_read_b32 v17, v1 offset:24
	s_add_u32 s0, s2, s8
	s_addc_u32 s1, s3, s9
	s_add_u32 s0, s0, s10
	s_addc_u32 s1, s1, s11
	s_mov_b64 s[2:3], -1
	s_and_b64 vcc, exec, s[22:23]
	s_waitcnt lgkmcnt(0)
	s_barrier
	s_cbranch_vccz .LBB237_20
; %bb.19:
	v_lshlrev_b32_e32 v2, 2, v0
	v_mov_b32_e32 v3, s1
	global_load_dword v4, v2, s[0:1]
	global_load_dword v5, v2, s[0:1] offset:1024
	global_load_dword v6, v2, s[0:1] offset:2048
	v_add_co_u32_e32 v7, vcc, s0, v2
	v_addc_co_u32_e32 v3, vcc, 0, v3, vcc
	global_load_dword v8, v2, s[0:1] offset:3072
	s_movk_i32 s2, 0x1000
	v_add_co_u32_e32 v2, vcc, s2, v7
	v_addc_co_u32_e32 v3, vcc, 0, v3, vcc
	global_load_dword v7, v[2:3], off
	global_load_dword v9, v[2:3], off offset:1024
	global_load_dword v16, v[2:3], off offset:2048
	s_mov_b64 s[2:3], 0
	s_waitcnt vmcnt(6)
	v_cmp_ne_u32_e32 vcc, -1, v4
	v_cndmask_b32_e64 v2, 0, 1, vcc
	s_waitcnt vmcnt(5)
	v_cmp_ne_u32_e32 vcc, -1, v5
	v_cndmask_b32_e64 v3, 0, 1, vcc
	;; [unrolled: 3-line block ×4, first 2 shown]
	ds_write_b8 v0, v2
	ds_write_b8 v0, v3 offset:256
	ds_write_b8 v0, v4 offset:512
	;; [unrolled: 1-line block ×3, first 2 shown]
	s_waitcnt vmcnt(2)
	v_cmp_ne_u32_e32 vcc, -1, v7
	v_cndmask_b32_e64 v2, 0, 1, vcc
	s_waitcnt vmcnt(1)
	v_cmp_ne_u32_e32 vcc, -1, v9
	v_cndmask_b32_e64 v3, 0, 1, vcc
	;; [unrolled: 3-line block ×3, first 2 shown]
	ds_write_b8 v0, v2 offset:1024
	ds_write_b8 v0, v3 offset:1280
	;; [unrolled: 1-line block ×3, first 2 shown]
	s_waitcnt lgkmcnt(0)
	s_barrier
.LBB237_20:
	s_load_dwordx2 s[24:25], s[4:5], 0x68
	s_andn2_b64 vcc, exec, s[2:3]
	s_cbranch_vccnz .LBB237_36
; %bb.21:
	v_cmp_gt_u32_e32 vcc, s7, v0
	v_mov_b32_e32 v2, 0
	v_mov_b32_e32 v3, 0
	s_and_saveexec_b64 s[2:3], vcc
	s_cbranch_execz .LBB237_23
; %bb.22:
	v_lshlrev_b32_e32 v3, 2, v0
	global_load_dword v3, v3, s[0:1]
	s_waitcnt vmcnt(0)
	v_cmp_ne_u32_e32 vcc, -1, v3
	v_cndmask_b32_e64 v3, 0, 1, vcc
.LBB237_23:
	s_or_b64 exec, exec, s[2:3]
	v_or_b32_e32 v4, 0x100, v0
	v_cmp_gt_u32_e32 vcc, s7, v4
	s_and_saveexec_b64 s[2:3], vcc
	s_cbranch_execz .LBB237_25
; %bb.24:
	v_lshlrev_b32_e32 v2, 2, v0
	global_load_dword v2, v2, s[0:1] offset:1024
	s_waitcnt vmcnt(0)
	v_cmp_ne_u32_e32 vcc, -1, v2
	v_cndmask_b32_e64 v2, 0, 1, vcc
.LBB237_25:
	s_or_b64 exec, exec, s[2:3]
	v_or_b32_e32 v4, 0x200, v0
	v_cmp_gt_u32_e32 vcc, s7, v4
	v_mov_b32_e32 v4, 0
	v_mov_b32_e32 v5, 0
	s_and_saveexec_b64 s[2:3], vcc
	s_cbranch_execz .LBB237_27
; %bb.26:
	v_lshlrev_b32_e32 v5, 2, v0
	global_load_dword v5, v5, s[0:1] offset:2048
	s_waitcnt vmcnt(0)
	v_cmp_ne_u32_e32 vcc, -1, v5
	v_cndmask_b32_e64 v5, 0, 1, vcc
.LBB237_27:
	s_or_b64 exec, exec, s[2:3]
	v_or_b32_e32 v6, 0x300, v0
	v_cmp_gt_u32_e32 vcc, s7, v6
	s_and_saveexec_b64 s[2:3], vcc
	s_cbranch_execz .LBB237_29
; %bb.28:
	v_lshlrev_b32_e32 v4, 2, v0
	global_load_dword v4, v4, s[0:1] offset:3072
	s_waitcnt vmcnt(0)
	v_cmp_ne_u32_e32 vcc, -1, v4
	v_cndmask_b32_e64 v4, 0, 1, vcc
.LBB237_29:
	s_or_b64 exec, exec, s[2:3]
	v_or_b32_e32 v8, 0x400, v0
	v_cmp_gt_u32_e32 vcc, s7, v8
	v_mov_b32_e32 v6, 0
	v_mov_b32_e32 v7, 0
	s_and_saveexec_b64 s[2:3], vcc
	s_cbranch_execz .LBB237_31
; %bb.30:
	v_lshlrev_b32_e32 v7, 2, v8
	global_load_dword v7, v7, s[0:1]
	s_waitcnt vmcnt(0)
	v_cmp_ne_u32_e32 vcc, -1, v7
	v_cndmask_b32_e64 v7, 0, 1, vcc
.LBB237_31:
	s_or_b64 exec, exec, s[2:3]
	v_or_b32_e32 v8, 0x500, v0
	v_cmp_gt_u32_e32 vcc, s7, v8
	s_and_saveexec_b64 s[2:3], vcc
	s_cbranch_execz .LBB237_33
; %bb.32:
	v_lshlrev_b32_e32 v6, 2, v8
	global_load_dword v6, v6, s[0:1]
	s_waitcnt vmcnt(0)
	v_cmp_ne_u32_e32 vcc, -1, v6
	v_cndmask_b32_e64 v6, 0, 1, vcc
.LBB237_33:
	s_or_b64 exec, exec, s[2:3]
	v_or_b32_e32 v9, 0x600, v0
	v_cmp_gt_u32_e32 vcc, s7, v9
	v_mov_b32_e32 v8, 0
	s_and_saveexec_b64 s[2:3], vcc
	s_cbranch_execz .LBB237_35
; %bb.34:
	v_lshlrev_b32_e32 v8, 2, v9
	global_load_dword v8, v8, s[0:1]
	s_waitcnt vmcnt(0)
	v_cmp_ne_u32_e32 vcc, -1, v8
	v_cndmask_b32_e64 v8, 0, 1, vcc
.LBB237_35:
	s_or_b64 exec, exec, s[2:3]
	ds_write_b8 v0, v3
	ds_write_b8 v0, v2 offset:256
	ds_write_b8 v0, v5 offset:512
	;; [unrolled: 1-line block ×6, first 2 shown]
	s_waitcnt lgkmcnt(0)
	s_barrier
.LBB237_36:
	s_movk_i32 s0, 0xffeb
	v_mad_i32_i24 v23, v0, s0, v1
	s_waitcnt lgkmcnt(0)
	ds_read_u8 v1, v23
	ds_read_u8 v2, v23 offset:1
	ds_read_u8 v3, v23 offset:2
	;; [unrolled: 1-line block ×6, first 2 shown]
	s_waitcnt lgkmcnt(6)
	v_and_b32_e32 v26, 1, v1
	s_waitcnt lgkmcnt(5)
	v_and_b32_e32 v24, 1, v2
	;; [unrolled: 2-line block ×3, first 2 shown]
	v_add_co_u32_e32 v2, vcc, v24, v26
	v_addc_co_u32_e64 v3, s[0:1], 0, 0, vcc
	v_add_co_u32_e32 v2, vcc, v2, v22
	s_waitcnt lgkmcnt(3)
	v_and_b32_e32 v20, 1, v4
	v_addc_co_u32_e32 v3, vcc, 0, v3, vcc
	v_add_co_u32_e32 v2, vcc, v2, v20
	s_waitcnt lgkmcnt(2)
	v_and_b32_e32 v18, 1, v5
	v_addc_co_u32_e32 v3, vcc, 0, v3, vcc
	;; [unrolled: 4-line block ×4, first 2 shown]
	v_add_co_u32_e32 v28, vcc, v2, v19
	v_mbcnt_lo_u32_b32 v2, -1, 0
	v_mbcnt_hi_u32_b32 v21, -1, v2
	v_addc_co_u32_e32 v29, vcc, 0, v3, vcc
	v_and_b32_e32 v27, 15, v21
	s_cmp_lg_u32 s6, 0
	v_mov_b32_e32 v1, 0
	v_cmp_eq_u32_e64 s[2:3], 0, v27
	v_cmp_lt_u32_e64 s[0:1], 1, v27
	v_cmp_lt_u32_e64 s[10:11], 3, v27
	;; [unrolled: 1-line block ×3, first 2 shown]
	v_and_b32_e32 v25, 16, v21
	v_cmp_eq_u32_e64 s[12:13], 0, v21
	v_cmp_ne_u32_e32 vcc, 0, v21
	s_barrier
	s_cbranch_scc0 .LBB237_69
; %bb.37:
	v_mov_b32_dpp v2, v28 row_shr:1 row_mask:0xf bank_mask:0xf
	v_add_co_u32_e64 v2, s[14:15], v28, v2
	v_addc_co_u32_e64 v3, s[14:15], 0, v29, s[14:15]
	v_mov_b32_dpp v1, v1 row_shr:1 row_mask:0xf bank_mask:0xf
	v_add_co_u32_e64 v4, s[14:15], 0, v2
	v_addc_co_u32_e64 v1, s[14:15], v1, v3, s[14:15]
	v_cndmask_b32_e64 v2, v2, v28, s[2:3]
	v_cndmask_b32_e64 v3, v1, 0, s[2:3]
	v_cndmask_b32_e64 v4, v4, v28, s[2:3]
	v_mov_b32_dpp v5, v2 row_shr:2 row_mask:0xf bank_mask:0xf
	v_cndmask_b32_e64 v1, v1, v29, s[2:3]
	v_mov_b32_dpp v6, v3 row_shr:2 row_mask:0xf bank_mask:0xf
	v_add_co_u32_e64 v5, s[14:15], v5, v4
	v_addc_co_u32_e64 v6, s[14:15], v6, v1, s[14:15]
	v_cndmask_b32_e64 v2, v2, v5, s[0:1]
	v_cndmask_b32_e64 v3, v3, v6, s[0:1]
	v_cndmask_b32_e64 v4, v4, v5, s[0:1]
	v_mov_b32_dpp v5, v2 row_shr:4 row_mask:0xf bank_mask:0xf
	v_cndmask_b32_e64 v1, v1, v6, s[0:1]
	;; [unrolled: 8-line block ×3, first 2 shown]
	v_mov_b32_dpp v6, v3 row_shr:8 row_mask:0xf bank_mask:0xf
	v_add_co_u32_e64 v5, s[10:11], v5, v4
	v_addc_co_u32_e64 v6, s[10:11], v6, v1, s[10:11]
	v_cndmask_b32_e64 v2, v2, v5, s[8:9]
	v_cndmask_b32_e64 v3, v3, v6, s[8:9]
	;; [unrolled: 1-line block ×3, first 2 shown]
	v_mov_b32_dpp v5, v2 row_bcast:15 row_mask:0xf bank_mask:0xf
	v_cndmask_b32_e64 v1, v1, v6, s[8:9]
	v_mov_b32_dpp v6, v3 row_bcast:15 row_mask:0xf bank_mask:0xf
	v_add_co_u32_e64 v5, s[8:9], v5, v4
	v_addc_co_u32_e64 v7, s[8:9], v6, v1, s[8:9]
	v_cmp_eq_u32_e64 s[8:9], 0, v25
	v_cndmask_b32_e64 v3, v7, v3, s[8:9]
	v_cndmask_b32_e64 v2, v5, v2, s[8:9]
	s_nop 0
	v_mov_b32_dpp v8, v3 row_bcast:31 row_mask:0xf bank_mask:0xf
	v_mov_b32_dpp v6, v2 row_bcast:31 row_mask:0xf bank_mask:0xf
	v_pk_mov_b32 v[2:3], v[28:29], v[28:29] op_sel:[0,1]
	s_and_saveexec_b64 s[10:11], vcc
; %bb.38:
	v_cmp_lt_u32_e32 vcc, 31, v21
	v_cndmask_b32_e64 v2, v5, v4, s[8:9]
	v_cndmask_b32_e32 v4, 0, v6, vcc
	v_cndmask_b32_e64 v1, v7, v1, s[8:9]
	v_cndmask_b32_e32 v3, 0, v8, vcc
	v_add_co_u32_e32 v2, vcc, v4, v2
	v_addc_co_u32_e32 v3, vcc, v3, v1, vcc
; %bb.39:
	s_or_b64 exec, exec, s[10:11]
	v_or_b32_e32 v4, 63, v0
	v_lshrrev_b32_e32 v1, 6, v0
	v_cmp_eq_u32_e32 vcc, v4, v0
	s_and_saveexec_b64 s[8:9], vcc
	s_cbranch_execz .LBB237_41
; %bb.40:
	v_lshlrev_b32_e32 v4, 3, v1
	ds_write_b64 v4, v[2:3]
.LBB237_41:
	s_or_b64 exec, exec, s[8:9]
	v_cmp_gt_u32_e32 vcc, 4, v0
	s_waitcnt lgkmcnt(0)
	s_barrier
	s_and_saveexec_b64 s[10:11], vcc
	s_cbranch_execz .LBB237_43
; %bb.42:
	v_lshlrev_b32_e32 v6, 3, v0
	ds_read_b64 v[4:5], v6
	v_and_b32_e32 v7, 3, v21
	v_cmp_ne_u32_e64 s[8:9], 1, v7
	s_waitcnt lgkmcnt(0)
	v_mov_b32_dpp v8, v4 row_shr:1 row_mask:0xf bank_mask:0xf
	v_add_co_u32_e32 v8, vcc, v4, v8
	v_addc_co_u32_e32 v30, vcc, 0, v5, vcc
	v_mov_b32_dpp v9, v5 row_shr:1 row_mask:0xf bank_mask:0xf
	v_add_co_u32_e32 v31, vcc, 0, v8
	v_addc_co_u32_e32 v9, vcc, v9, v30, vcc
	v_cmp_eq_u32_e32 vcc, 0, v7
	v_cndmask_b32_e32 v8, v8, v4, vcc
	v_cndmask_b32_e32 v30, v9, v5, vcc
	s_nop 0
	v_mov_b32_dpp v8, v8 row_shr:2 row_mask:0xf bank_mask:0xf
	v_mov_b32_dpp v30, v30 row_shr:2 row_mask:0xf bank_mask:0xf
	v_cndmask_b32_e64 v7, 0, v8, s[8:9]
	v_cndmask_b32_e64 v8, 0, v30, s[8:9]
	v_add_co_u32_e64 v7, s[8:9], v7, v31
	v_addc_co_u32_e64 v8, s[8:9], v8, v9, s[8:9]
	v_cndmask_b32_e32 v5, v8, v5, vcc
	v_cndmask_b32_e32 v4, v7, v4, vcc
	ds_write_b64 v6, v[4:5]
.LBB237_43:
	s_or_b64 exec, exec, s[10:11]
	v_cmp_gt_u32_e32 vcc, 64, v0
	v_cmp_lt_u32_e64 s[8:9], 63, v0
	s_waitcnt lgkmcnt(0)
	s_barrier
	s_waitcnt lgkmcnt(0)
                                        ; implicit-def: $vgpr30_vgpr31
	s_and_saveexec_b64 s[10:11], s[8:9]
	s_cbranch_execz .LBB237_45
; %bb.44:
	v_lshl_add_u32 v1, v1, 3, -8
	ds_read_b64 v[30:31], v1
	s_waitcnt lgkmcnt(0)
	v_add_co_u32_e64 v2, s[8:9], v30, v2
	v_addc_co_u32_e64 v3, s[8:9], v31, v3, s[8:9]
.LBB237_45:
	s_or_b64 exec, exec, s[10:11]
	v_add_u32_e32 v1, -1, v21
	v_and_b32_e32 v4, 64, v21
	v_cmp_lt_i32_e64 s[8:9], v1, v4
	v_cndmask_b32_e64 v1, v1, v21, s[8:9]
	v_lshlrev_b32_e32 v4, 2, v1
	ds_bpermute_b32 v1, v4, v2
	ds_bpermute_b32 v38, v4, v3
	s_and_saveexec_b64 s[14:15], vcc
	s_cbranch_execz .LBB237_68
; %bb.46:
	v_mov_b32_e32 v5, 0
	ds_read_b64 v[2:3], v5 offset:24
	s_and_saveexec_b64 s[8:9], s[12:13]
	s_cbranch_execz .LBB237_48
; %bb.47:
	s_add_i32 s10, s6, 64
	s_mov_b32 s11, 0
	s_lshl_b64 s[10:11], s[10:11], 4
	s_add_u32 s10, s24, s10
	s_addc_u32 s11, s25, s11
	v_mov_b32_e32 v4, 1
	v_pk_mov_b32 v[6:7], s[10:11], s[10:11] op_sel:[0,1]
	s_waitcnt lgkmcnt(0)
	;;#ASMSTART
	global_store_dwordx4 v[6:7], v[2:5] off	
s_waitcnt vmcnt(0)
	;;#ASMEND
.LBB237_48:
	s_or_b64 exec, exec, s[8:9]
	v_xad_u32 v32, v21, -1, s6
	v_add_u32_e32 v4, 64, v32
	v_lshlrev_b64 v[6:7], 4, v[4:5]
	v_mov_b32_e32 v4, s25
	v_add_co_u32_e32 v34, vcc, s24, v6
	v_addc_co_u32_e32 v35, vcc, v4, v7, vcc
	;;#ASMSTART
	global_load_dwordx4 v[6:9], v[34:35] off glc	
s_waitcnt vmcnt(0)
	;;#ASMEND
	v_and_b32_e32 v4, 0xff, v7
	v_and_b32_e32 v9, 0xff00, v7
	v_or3_b32 v4, 0, v4, v9
	v_or3_b32 v6, v6, 0, 0
	v_and_b32_e32 v9, 0xff000000, v7
	v_and_b32_e32 v7, 0xff0000, v7
	v_or3_b32 v7, v4, v7, v9
	v_or3_b32 v6, v6, 0, 0
	v_cmp_eq_u16_sdwa s[10:11], v8, v5 src0_sel:BYTE_0 src1_sel:DWORD
	s_and_saveexec_b64 s[8:9], s[10:11]
	s_cbranch_execz .LBB237_54
; %bb.49:
	s_mov_b32 s7, 1
	s_mov_b64 s[10:11], 0
	v_mov_b32_e32 v4, 0
.LBB237_50:                             ; =>This Loop Header: Depth=1
                                        ;     Child Loop BB237_51 Depth 2
	s_max_u32 s26, s7, 1
.LBB237_51:                             ;   Parent Loop BB237_50 Depth=1
                                        ; =>  This Inner Loop Header: Depth=2
	s_add_i32 s26, s26, -1
	s_cmp_eq_u32 s26, 0
	s_sleep 1
	s_cbranch_scc0 .LBB237_51
; %bb.52:                               ;   in Loop: Header=BB237_50 Depth=1
	s_cmp_lt_u32 s7, 32
	s_cselect_b64 s[26:27], -1, 0
	s_cmp_lg_u64 s[26:27], 0
	s_addc_u32 s7, s7, 0
	;;#ASMSTART
	global_load_dwordx4 v[6:9], v[34:35] off glc	
s_waitcnt vmcnt(0)
	;;#ASMEND
	v_cmp_ne_u16_sdwa s[26:27], v8, v4 src0_sel:BYTE_0 src1_sel:DWORD
	s_or_b64 s[10:11], s[26:27], s[10:11]
	s_andn2_b64 exec, exec, s[10:11]
	s_cbranch_execnz .LBB237_50
; %bb.53:
	s_or_b64 exec, exec, s[10:11]
.LBB237_54:
	s_or_b64 exec, exec, s[8:9]
	v_and_b32_e32 v40, 63, v21
	v_mov_b32_e32 v39, 2
	v_cmp_ne_u32_e32 vcc, 63, v40
	v_cmp_eq_u16_sdwa s[8:9], v8, v39 src0_sel:BYTE_0 src1_sel:DWORD
	v_lshlrev_b64 v[34:35], v21, -1
	v_addc_co_u32_e32 v9, vcc, 0, v21, vcc
	v_and_b32_e32 v4, s9, v35
	v_lshlrev_b32_e32 v41, 2, v9
	v_or_b32_e32 v4, 0x80000000, v4
	ds_bpermute_b32 v9, v41, v6
	v_and_b32_e32 v5, s8, v34
	v_ffbl_b32_e32 v4, v4
	v_add_u32_e32 v4, 32, v4
	v_ffbl_b32_e32 v5, v5
	v_min_u32_e32 v4, v5, v4
	ds_bpermute_b32 v5, v41, v7
	s_waitcnt lgkmcnt(1)
	v_add_co_u32_e32 v9, vcc, v6, v9
	v_addc_co_u32_e32 v36, vcc, 0, v7, vcc
	v_add_co_u32_e32 v37, vcc, 0, v9
	v_cmp_gt_u32_e64 s[8:9], 62, v40
	s_waitcnt lgkmcnt(0)
	v_addc_co_u32_e32 v5, vcc, v5, v36, vcc
	v_cndmask_b32_e64 v36, 0, 1, s[8:9]
	v_cmp_lt_u32_e32 vcc, v40, v4
	v_lshlrev_b32_e32 v36, 1, v36
	v_cndmask_b32_e32 v9, v6, v9, vcc
	v_add_lshl_u32 v42, v36, v21, 2
	v_cndmask_b32_e32 v5, v7, v5, vcc
	ds_bpermute_b32 v36, v42, v9
	ds_bpermute_b32 v44, v42, v5
	v_cndmask_b32_e32 v37, v6, v37, vcc
	v_add_u32_e32 v43, 2, v40
	v_cmp_gt_u32_e64 s[10:11], 60, v40
	s_waitcnt lgkmcnt(1)
	v_add_co_u32_e64 v36, s[8:9], v36, v37
	s_waitcnt lgkmcnt(0)
	v_addc_co_u32_e64 v44, s[8:9], v44, v5, s[8:9]
	v_cmp_gt_u32_e64 s[8:9], v43, v4
	v_cndmask_b32_e64 v5, v44, v5, s[8:9]
	v_cndmask_b32_e64 v44, 0, 1, s[10:11]
	v_lshlrev_b32_e32 v44, 2, v44
	v_cndmask_b32_e64 v9, v36, v9, s[8:9]
	v_add_lshl_u32 v44, v44, v21, 2
	ds_bpermute_b32 v46, v44, v9
	v_cndmask_b32_e64 v36, v36, v37, s[8:9]
	ds_bpermute_b32 v37, v44, v5
	v_add_u32_e32 v45, 4, v40
	v_cmp_gt_u32_e64 s[10:11], 56, v40
	s_waitcnt lgkmcnt(1)
	v_add_co_u32_e64 v47, s[8:9], v46, v36
	s_waitcnt lgkmcnt(0)
	v_addc_co_u32_e64 v37, s[8:9], v37, v5, s[8:9]
	v_cmp_gt_u32_e64 s[8:9], v45, v4
	v_cndmask_b32_e64 v5, v37, v5, s[8:9]
	v_cndmask_b32_e64 v37, 0, 1, s[10:11]
	v_lshlrev_b32_e32 v37, 3, v37
	v_cndmask_b32_e64 v9, v47, v9, s[8:9]
	v_add_lshl_u32 v46, v37, v21, 2
	ds_bpermute_b32 v37, v46, v9
	ds_bpermute_b32 v48, v46, v5
	v_cndmask_b32_e64 v36, v47, v36, s[8:9]
	v_add_u32_e32 v47, 8, v40
	v_cmp_gt_u32_e64 s[10:11], 48, v40
	s_waitcnt lgkmcnt(1)
	v_add_co_u32_e64 v37, s[8:9], v37, v36
	s_waitcnt lgkmcnt(0)
	v_addc_co_u32_e64 v48, s[8:9], v48, v5, s[8:9]
	v_cmp_gt_u32_e64 s[8:9], v47, v4
	v_cndmask_b32_e64 v5, v48, v5, s[8:9]
	v_cndmask_b32_e64 v48, 0, 1, s[10:11]
	v_lshlrev_b32_e32 v48, 4, v48
	v_cndmask_b32_e64 v9, v37, v9, s[8:9]
	v_add_lshl_u32 v48, v48, v21, 2
	ds_bpermute_b32 v50, v48, v9
	v_cndmask_b32_e64 v36, v37, v36, s[8:9]
	ds_bpermute_b32 v37, v48, v5
	v_cmp_gt_u32_e64 s[10:11], 32, v40
	v_add_u32_e32 v49, 16, v40
	s_waitcnt lgkmcnt(1)
	v_add_co_u32_e64 v52, s[8:9], v50, v36
	s_waitcnt lgkmcnt(0)
	v_addc_co_u32_e64 v37, s[8:9], v37, v5, s[8:9]
	v_cndmask_b32_e64 v50, 0, 1, s[10:11]
	v_cmp_gt_u32_e64 s[8:9], v49, v4
	v_lshlrev_b32_e32 v50, 5, v50
	v_cndmask_b32_e64 v9, v52, v9, s[8:9]
	v_add_lshl_u32 v50, v50, v21, 2
	v_cndmask_b32_e64 v5, v37, v5, s[8:9]
	ds_bpermute_b32 v9, v50, v9
	ds_bpermute_b32 v37, v50, v5
	v_add_u32_e32 v51, 32, v40
	v_cndmask_b32_e64 v36, v52, v36, s[8:9]
	v_cmp_le_u32_e64 s[8:9], v51, v4
	s_waitcnt lgkmcnt(1)
	v_cndmask_b32_e64 v9, 0, v9, s[8:9]
	s_waitcnt lgkmcnt(0)
	v_cndmask_b32_e64 v4, 0, v37, s[8:9]
	v_add_co_u32_e64 v9, s[8:9], v9, v36
	v_addc_co_u32_e64 v4, s[8:9], v4, v5, s[8:9]
	v_mov_b32_e32 v33, 0
	v_cndmask_b32_e32 v7, v7, v4, vcc
	v_cndmask_b32_e32 v6, v6, v9, vcc
	s_branch .LBB237_56
.LBB237_55:                             ;   in Loop: Header=BB237_56 Depth=1
	s_or_b64 exec, exec, s[8:9]
	v_cmp_eq_u16_sdwa s[8:9], v8, v39 src0_sel:BYTE_0 src1_sel:DWORD
	v_and_b32_e32 v9, s9, v35
	v_or_b32_e32 v9, 0x80000000, v9
	ds_bpermute_b32 v37, v41, v6
	v_and_b32_e32 v36, s8, v34
	v_ffbl_b32_e32 v9, v9
	v_add_u32_e32 v9, 32, v9
	v_ffbl_b32_e32 v36, v36
	v_min_u32_e32 v9, v36, v9
	ds_bpermute_b32 v36, v41, v7
	s_waitcnt lgkmcnt(1)
	v_add_co_u32_e32 v37, vcc, v6, v37
	v_addc_co_u32_e32 v52, vcc, 0, v7, vcc
	v_add_co_u32_e32 v53, vcc, 0, v37
	s_waitcnt lgkmcnt(0)
	v_addc_co_u32_e32 v36, vcc, v36, v52, vcc
	v_cmp_lt_u32_e32 vcc, v40, v9
	v_cndmask_b32_e32 v37, v6, v37, vcc
	ds_bpermute_b32 v52, v42, v37
	v_cndmask_b32_e32 v36, v7, v36, vcc
	ds_bpermute_b32 v54, v42, v36
	v_cndmask_b32_e32 v53, v6, v53, vcc
	v_subrev_u32_e32 v32, 64, v32
	s_waitcnt lgkmcnt(1)
	v_add_co_u32_e64 v52, s[8:9], v52, v53
	s_waitcnt lgkmcnt(0)
	v_addc_co_u32_e64 v54, s[8:9], v54, v36, s[8:9]
	v_cmp_gt_u32_e64 s[8:9], v43, v9
	v_cndmask_b32_e64 v37, v52, v37, s[8:9]
	ds_bpermute_b32 v55, v44, v37
	v_cndmask_b32_e64 v36, v54, v36, s[8:9]
	ds_bpermute_b32 v54, v44, v36
	v_cndmask_b32_e64 v52, v52, v53, s[8:9]
	s_waitcnt lgkmcnt(1)
	v_add_co_u32_e64 v53, s[8:9], v55, v52
	s_waitcnt lgkmcnt(0)
	v_addc_co_u32_e64 v54, s[8:9], v54, v36, s[8:9]
	v_cmp_gt_u32_e64 s[8:9], v45, v9
	v_cndmask_b32_e64 v37, v53, v37, s[8:9]
	ds_bpermute_b32 v55, v46, v37
	v_cndmask_b32_e64 v36, v54, v36, s[8:9]
	ds_bpermute_b32 v54, v46, v36
	v_cndmask_b32_e64 v52, v53, v52, s[8:9]
	;; [unrolled: 10-line block ×3, first 2 shown]
	s_waitcnt lgkmcnt(1)
	v_add_co_u32_e64 v53, s[8:9], v55, v52
	s_waitcnt lgkmcnt(0)
	v_addc_co_u32_e64 v54, s[8:9], v54, v36, s[8:9]
	v_cmp_gt_u32_e64 s[8:9], v49, v9
	v_cndmask_b32_e64 v37, v53, v37, s[8:9]
	v_cndmask_b32_e64 v36, v54, v36, s[8:9]
	ds_bpermute_b32 v37, v50, v37
	ds_bpermute_b32 v54, v50, v36
	v_cndmask_b32_e64 v52, v53, v52, s[8:9]
	v_cmp_le_u32_e64 s[8:9], v51, v9
	s_waitcnt lgkmcnt(1)
	v_cndmask_b32_e64 v37, 0, v37, s[8:9]
	s_waitcnt lgkmcnt(0)
	v_cndmask_b32_e64 v9, 0, v54, s[8:9]
	v_add_co_u32_e64 v37, s[8:9], v37, v52
	v_addc_co_u32_e64 v9, s[8:9], v9, v36, s[8:9]
	v_cndmask_b32_e32 v6, v6, v37, vcc
	v_cndmask_b32_e32 v7, v7, v9, vcc
	v_add_co_u32_e32 v6, vcc, v6, v4
	v_addc_co_u32_e32 v7, vcc, v7, v5, vcc
.LBB237_56:                             ; =>This Loop Header: Depth=1
                                        ;     Child Loop BB237_59 Depth 2
                                        ;       Child Loop BB237_60 Depth 3
	v_cmp_ne_u16_sdwa s[8:9], v8, v39 src0_sel:BYTE_0 src1_sel:DWORD
	v_cndmask_b32_e64 v4, 0, 1, s[8:9]
	;;#ASMSTART
	;;#ASMEND
	v_cmp_ne_u32_e32 vcc, 0, v4
	s_cmp_lg_u64 vcc, exec
	v_pk_mov_b32 v[4:5], v[6:7], v[6:7] op_sel:[0,1]
	s_cbranch_scc1 .LBB237_63
; %bb.57:                               ;   in Loop: Header=BB237_56 Depth=1
	v_lshlrev_b64 v[6:7], 4, v[32:33]
	v_mov_b32_e32 v8, s25
	v_add_co_u32_e32 v36, vcc, s24, v6
	v_addc_co_u32_e32 v37, vcc, v8, v7, vcc
	;;#ASMSTART
	global_load_dwordx4 v[6:9], v[36:37] off glc	
s_waitcnt vmcnt(0)
	;;#ASMEND
	v_and_b32_e32 v9, 0xff, v7
	v_and_b32_e32 v52, 0xff00, v7
	v_or3_b32 v9, 0, v9, v52
	v_or3_b32 v6, v6, 0, 0
	v_and_b32_e32 v52, 0xff000000, v7
	v_and_b32_e32 v7, 0xff0000, v7
	v_or3_b32 v7, v9, v7, v52
	v_or3_b32 v6, v6, 0, 0
	v_cmp_eq_u16_sdwa s[10:11], v8, v33 src0_sel:BYTE_0 src1_sel:DWORD
	s_and_saveexec_b64 s[8:9], s[10:11]
	s_cbranch_execz .LBB237_55
; %bb.58:                               ;   in Loop: Header=BB237_56 Depth=1
	s_mov_b32 s7, 1
	s_mov_b64 s[10:11], 0
.LBB237_59:                             ;   Parent Loop BB237_56 Depth=1
                                        ; =>  This Loop Header: Depth=2
                                        ;       Child Loop BB237_60 Depth 3
	s_max_u32 s26, s7, 1
.LBB237_60:                             ;   Parent Loop BB237_56 Depth=1
                                        ;     Parent Loop BB237_59 Depth=2
                                        ; =>    This Inner Loop Header: Depth=3
	s_add_i32 s26, s26, -1
	s_cmp_eq_u32 s26, 0
	s_sleep 1
	s_cbranch_scc0 .LBB237_60
; %bb.61:                               ;   in Loop: Header=BB237_59 Depth=2
	s_cmp_lt_u32 s7, 32
	s_cselect_b64 s[26:27], -1, 0
	s_cmp_lg_u64 s[26:27], 0
	s_addc_u32 s7, s7, 0
	;;#ASMSTART
	global_load_dwordx4 v[6:9], v[36:37] off glc	
s_waitcnt vmcnt(0)
	;;#ASMEND
	v_cmp_ne_u16_sdwa s[26:27], v8, v33 src0_sel:BYTE_0 src1_sel:DWORD
	s_or_b64 s[10:11], s[26:27], s[10:11]
	s_andn2_b64 exec, exec, s[10:11]
	s_cbranch_execnz .LBB237_59
; %bb.62:                               ;   in Loop: Header=BB237_56 Depth=1
	s_or_b64 exec, exec, s[10:11]
	s_branch .LBB237_55
.LBB237_63:                             ;   in Loop: Header=BB237_56 Depth=1
                                        ; implicit-def: $vgpr6_vgpr7
                                        ; implicit-def: $vgpr8
	s_cbranch_execz .LBB237_56
; %bb.64:
	s_and_saveexec_b64 s[8:9], s[12:13]
	s_cbranch_execz .LBB237_66
; %bb.65:
	s_add_i32 s6, s6, 64
	s_mov_b32 s7, 0
	s_lshl_b64 s[6:7], s[6:7], 4
	s_add_u32 s6, s24, s6
	v_add_co_u32_e32 v6, vcc, v4, v2
	s_addc_u32 s7, s25, s7
	v_addc_co_u32_e32 v7, vcc, v5, v3, vcc
	v_mov_b32_e32 v8, 2
	v_mov_b32_e32 v9, 0
	v_pk_mov_b32 v[32:33], s[6:7], s[6:7] op_sel:[0,1]
	;;#ASMSTART
	global_store_dwordx4 v[32:33], v[6:9] off	
s_waitcnt vmcnt(0)
	;;#ASMEND
	ds_write_b128 v9, v[2:5] offset:7168
.LBB237_66:
	s_or_b64 exec, exec, s[8:9]
	v_cmp_eq_u32_e32 vcc, 0, v0
	s_and_b64 exec, exec, vcc
	s_cbranch_execz .LBB237_68
; %bb.67:
	v_mov_b32_e32 v2, 0
	ds_write_b64 v2, v[4:5] offset:24
.LBB237_68:
	s_or_b64 exec, exec, s[14:15]
	v_mov_b32_e32 v5, 0
	s_waitcnt lgkmcnt(0)
	s_barrier
	ds_read_b64 v[2:3], v5 offset:24
	v_cndmask_b32_e64 v1, v1, v30, s[12:13]
	v_cmp_ne_u32_e32 vcc, 0, v0
	v_cndmask_b32_e64 v4, v38, v31, s[12:13]
	v_cndmask_b32_e32 v1, 0, v1, vcc
	v_cndmask_b32_e32 v4, 0, v4, vcc
	s_waitcnt lgkmcnt(0)
	v_add_co_u32_e32 v38, vcc, v2, v1
	v_addc_co_u32_e32 v39, vcc, v3, v4, vcc
	v_add_co_u32_e32 v36, vcc, v38, v26
	v_addc_co_u32_e32 v37, vcc, 0, v39, vcc
	;; [unrolled: 2-line block ×4, first 2 shown]
	v_add_co_u32_e32 v30, vcc, v32, v20
	s_barrier
	ds_read_b128 v[4:7], v5 offset:7168
	v_addc_co_u32_e32 v31, vcc, 0, v33, vcc
	v_add_co_u32_e32 v2, vcc, v30, v18
	v_addc_co_u32_e32 v3, vcc, 0, v31, vcc
	v_add_co_u32_e32 v8, vcc, v2, v16
	v_addc_co_u32_e32 v9, vcc, 0, v3, vcc
	s_waitcnt lgkmcnt(0)
	v_readfirstlane_b32 s9, v7
	v_readfirstlane_b32 s8, v6
	s_load_dwordx2 s[6:7], s[4:5], 0x30
	s_branch .LBB237_81
.LBB237_69:
                                        ; implicit-def: $sgpr8_sgpr9
                                        ; implicit-def: $vgpr4_vgpr5
                                        ; implicit-def: $vgpr8_vgpr9
                                        ; implicit-def: $vgpr2_vgpr3
                                        ; implicit-def: $vgpr30_vgpr31
                                        ; implicit-def: $vgpr32_vgpr33
                                        ; implicit-def: $vgpr34_vgpr35
                                        ; implicit-def: $vgpr36_vgpr37
                                        ; implicit-def: $vgpr38_vgpr39
	s_load_dwordx2 s[6:7], s[4:5], 0x30
	s_cbranch_execz .LBB237_81
; %bb.70:
	v_mov_b32_dpp v1, v28 row_shr:1 row_mask:0xf bank_mask:0xf
	v_add_co_u32_e32 v1, vcc, v28, v1
	v_mov_b32_e32 v2, 0
	v_addc_co_u32_e32 v3, vcc, 0, v29, vcc
	s_nop 0
	v_mov_b32_dpp v2, v2 row_shr:1 row_mask:0xf bank_mask:0xf
	v_add_co_u32_e32 v4, vcc, 0, v1
	v_addc_co_u32_e32 v2, vcc, v2, v3, vcc
	v_cndmask_b32_e64 v1, v1, v28, s[2:3]
	v_cndmask_b32_e64 v3, v2, 0, s[2:3]
	;; [unrolled: 1-line block ×3, first 2 shown]
	v_mov_b32_dpp v5, v1 row_shr:2 row_mask:0xf bank_mask:0xf
	v_cndmask_b32_e64 v2, v2, v29, s[2:3]
	v_mov_b32_dpp v6, v3 row_shr:2 row_mask:0xf bank_mask:0xf
	v_add_co_u32_e32 v5, vcc, v5, v4
	v_addc_co_u32_e32 v6, vcc, v6, v2, vcc
	v_cndmask_b32_e64 v1, v1, v5, s[0:1]
	v_cndmask_b32_e64 v3, v3, v6, s[0:1]
	;; [unrolled: 1-line block ×3, first 2 shown]
	v_mov_b32_dpp v5, v1 row_shr:4 row_mask:0xf bank_mask:0xf
	v_cndmask_b32_e64 v2, v2, v6, s[0:1]
	v_mov_b32_dpp v6, v3 row_shr:4 row_mask:0xf bank_mask:0xf
	v_add_co_u32_e32 v5, vcc, v5, v4
	v_addc_co_u32_e32 v6, vcc, v6, v2, vcc
	v_cmp_lt_u32_e32 vcc, 3, v27
	v_cndmask_b32_e32 v1, v1, v5, vcc
	v_cndmask_b32_e32 v3, v3, v6, vcc
	;; [unrolled: 1-line block ×3, first 2 shown]
	v_mov_b32_dpp v5, v1 row_shr:8 row_mask:0xf bank_mask:0xf
	v_cndmask_b32_e32 v2, v2, v6, vcc
	v_mov_b32_dpp v6, v3 row_shr:8 row_mask:0xf bank_mask:0xf
	v_add_co_u32_e32 v5, vcc, v5, v4
	v_addc_co_u32_e32 v6, vcc, v6, v2, vcc
	v_cmp_lt_u32_e32 vcc, 7, v27
	v_cndmask_b32_e32 v8, v1, v5, vcc
	v_cndmask_b32_e32 v7, v3, v6, vcc
	;; [unrolled: 1-line block ×4, first 2 shown]
	v_mov_b32_dpp v3, v8 row_bcast:15 row_mask:0xf bank_mask:0xf
	v_mov_b32_dpp v4, v7 row_bcast:15 row_mask:0xf bank_mask:0xf
	v_add_co_u32_e32 v3, vcc, v3, v2
	v_addc_co_u32_e32 v5, vcc, v4, v1, vcc
	v_cmp_eq_u32_e64 s[0:1], 0, v25
	v_cndmask_b32_e64 v6, v5, v7, s[0:1]
	v_cndmask_b32_e64 v4, v3, v8, s[0:1]
	v_cmp_eq_u32_e32 vcc, 0, v21
	v_mov_b32_dpp v6, v6 row_bcast:31 row_mask:0xf bank_mask:0xf
	v_mov_b32_dpp v4, v4 row_bcast:31 row_mask:0xf bank_mask:0xf
	v_cmp_ne_u32_e64 s[2:3], 0, v21
	s_and_saveexec_b64 s[4:5], s[2:3]
; %bb.71:
	v_cndmask_b32_e64 v1, v5, v1, s[0:1]
	v_cndmask_b32_e64 v2, v3, v2, s[0:1]
	v_cmp_lt_u32_e64 s[0:1], 31, v21
	v_cndmask_b32_e64 v4, 0, v4, s[0:1]
	v_cndmask_b32_e64 v3, 0, v6, s[0:1]
	v_add_co_u32_e64 v28, s[0:1], v4, v2
	v_addc_co_u32_e64 v29, s[0:1], v3, v1, s[0:1]
; %bb.72:
	s_or_b64 exec, exec, s[4:5]
	v_or_b32_e32 v2, 63, v0
	v_lshrrev_b32_e32 v1, 6, v0
	v_cmp_eq_u32_e64 s[0:1], v2, v0
	s_and_saveexec_b64 s[2:3], s[0:1]
	s_cbranch_execz .LBB237_74
; %bb.73:
	v_lshlrev_b32_e32 v2, 3, v1
	ds_write_b64 v2, v[28:29]
.LBB237_74:
	s_or_b64 exec, exec, s[2:3]
	v_cmp_gt_u32_e64 s[0:1], 4, v0
	s_waitcnt lgkmcnt(0)
	s_barrier
	s_and_saveexec_b64 s[4:5], s[0:1]
	s_cbranch_execz .LBB237_76
; %bb.75:
	v_add_u32_e32 v4, v23, v0
	ds_read_b64 v[2:3], v4
	v_and_b32_e32 v5, 3, v21
	v_cmp_ne_u32_e64 s[2:3], 1, v5
	s_waitcnt lgkmcnt(0)
	v_mov_b32_dpp v6, v2 row_shr:1 row_mask:0xf bank_mask:0xf
	v_add_co_u32_e64 v6, s[0:1], v2, v6
	v_addc_co_u32_e64 v8, s[0:1], 0, v3, s[0:1]
	v_mov_b32_dpp v7, v3 row_shr:1 row_mask:0xf bank_mask:0xf
	v_add_co_u32_e64 v9, s[0:1], 0, v6
	v_addc_co_u32_e64 v7, s[0:1], v7, v8, s[0:1]
	v_cmp_eq_u32_e64 s[0:1], 0, v5
	v_cndmask_b32_e64 v6, v6, v2, s[0:1]
	v_cndmask_b32_e64 v8, v7, v3, s[0:1]
	s_nop 0
	v_mov_b32_dpp v6, v6 row_shr:2 row_mask:0xf bank_mask:0xf
	v_mov_b32_dpp v8, v8 row_shr:2 row_mask:0xf bank_mask:0xf
	v_cndmask_b32_e64 v5, 0, v6, s[2:3]
	v_cndmask_b32_e64 v6, 0, v8, s[2:3]
	v_add_co_u32_e64 v5, s[2:3], v5, v9
	v_addc_co_u32_e64 v6, s[2:3], v6, v7, s[2:3]
	v_cndmask_b32_e64 v3, v6, v3, s[0:1]
	v_cndmask_b32_e64 v2, v5, v2, s[0:1]
	ds_write_b64 v4, v[2:3]
.LBB237_76:
	s_or_b64 exec, exec, s[4:5]
	v_cmp_lt_u32_e64 s[0:1], 63, v0
	v_pk_mov_b32 v[2:3], 0, 0
	s_waitcnt lgkmcnt(0)
	s_barrier
	s_and_saveexec_b64 s[2:3], s[0:1]
	s_cbranch_execz .LBB237_78
; %bb.77:
	v_lshl_add_u32 v1, v1, 3, -8
	ds_read_b64 v[2:3], v1
.LBB237_78:
	s_or_b64 exec, exec, s[2:3]
	s_waitcnt lgkmcnt(0)
	v_add_co_u32_e64 v1, s[0:1], v2, v28
	v_addc_co_u32_e64 v4, s[0:1], v3, v29, s[0:1]
	v_add_u32_e32 v5, -1, v21
	v_and_b32_e32 v6, 64, v21
	v_cmp_lt_i32_e64 s[0:1], v5, v6
	v_cndmask_b32_e64 v5, v5, v21, s[0:1]
	v_lshlrev_b32_e32 v5, 2, v5
	v_mov_b32_e32 v7, 0
	ds_bpermute_b32 v1, v5, v1
	ds_bpermute_b32 v8, v5, v4
	ds_read_b64 v[4:5], v7 offset:24
	v_cmp_eq_u32_e64 s[0:1], 0, v0
	s_and_saveexec_b64 s[2:3], s[0:1]
	s_cbranch_execz .LBB237_80
; %bb.79:
	s_add_u32 s4, s24, 0x400
	s_addc_u32 s5, s25, 0
	v_mov_b32_e32 v6, 2
	v_pk_mov_b32 v[28:29], s[4:5], s[4:5] op_sel:[0,1]
	s_waitcnt lgkmcnt(0)
	;;#ASMSTART
	global_store_dwordx4 v[28:29], v[4:7] off	
s_waitcnt vmcnt(0)
	;;#ASMEND
.LBB237_80:
	s_or_b64 exec, exec, s[2:3]
	s_waitcnt lgkmcnt(2)
	v_cndmask_b32_e32 v1, v1, v2, vcc
	s_waitcnt lgkmcnt(1)
	v_cndmask_b32_e32 v2, v8, v3, vcc
	v_cndmask_b32_e64 v38, v1, 0, s[0:1]
	v_cndmask_b32_e64 v39, v2, 0, s[0:1]
	v_add_co_u32_e32 v36, vcc, v38, v26
	v_addc_co_u32_e32 v37, vcc, 0, v39, vcc
	v_add_co_u32_e32 v34, vcc, v36, v24
	v_addc_co_u32_e32 v35, vcc, 0, v37, vcc
	;; [unrolled: 2-line block ×6, first 2 shown]
	s_waitcnt lgkmcnt(0)
	s_barrier
	s_mov_b64 s[8:9], 0
.LBB237_81:
	s_mov_b64 s[0:1], 0x101
	v_cmp_gt_u64_e32 vcc, s[0:1], v[4:5]
	s_mov_b64 s[0:1], -1
	s_cbranch_vccnz .LBB237_85
; %bb.82:
	s_and_b64 vcc, exec, s[0:1]
	s_cbranch_vccnz .LBB237_107
.LBB237_83:
	v_cmp_eq_u32_e32 vcc, 0, v0
	s_and_b64 s[0:1], vcc, s[20:21]
	s_and_saveexec_b64 s[2:3], s[0:1]
	s_cbranch_execnz .LBB237_126
.LBB237_84:
	s_endpgm
.LBB237_85:
	v_mov_b32_e32 v1, s9
	v_add_co_u32_e32 v6, vcc, s8, v4
	v_addc_co_u32_e32 v7, vcc, v1, v5, vcc
	s_lshl_b64 s[0:1], s[18:19], 2
	s_waitcnt lgkmcnt(0)
	s_add_u32 s2, s6, s0
	v_cmp_lt_u64_e32 vcc, v[38:39], v[6:7]
	s_addc_u32 s3, s7, s1
	s_or_b64 s[4:5], s[22:23], vcc
	s_and_saveexec_b64 s[0:1], s[4:5]
	s_cbranch_execz .LBB237_88
; %bb.86:
	v_cmp_eq_u32_e32 vcc, 1, v26
	s_and_b64 exec, exec, vcc
	s_cbranch_execz .LBB237_88
; %bb.87:
	v_lshlrev_b64 v[28:29], 2, v[38:39]
	v_mov_b32_e32 v1, s3
	v_add_co_u32_e32 v28, vcc, s2, v28
	v_addc_co_u32_e32 v29, vcc, v1, v29, vcc
	global_store_dword v[28:29], v14, off
.LBB237_88:
	s_or_b64 exec, exec, s[0:1]
	v_cmp_lt_u64_e32 vcc, v[36:37], v[6:7]
	s_or_b64 s[4:5], s[22:23], vcc
	s_and_saveexec_b64 s[0:1], s[4:5]
	s_cbranch_execz .LBB237_91
; %bb.89:
	v_cmp_eq_u32_e32 vcc, 1, v24
	s_and_b64 exec, exec, vcc
	s_cbranch_execz .LBB237_91
; %bb.90:
	v_lshlrev_b64 v[28:29], 2, v[36:37]
	v_mov_b32_e32 v1, s3
	v_add_co_u32_e32 v28, vcc, s2, v28
	v_addc_co_u32_e32 v29, vcc, v1, v29, vcc
	global_store_dword v[28:29], v15, off
.LBB237_91:
	s_or_b64 exec, exec, s[0:1]
	v_cmp_lt_u64_e32 vcc, v[34:35], v[6:7]
	;; [unrolled: 16-line block ×6, first 2 shown]
	s_or_b64 s[4:5], s[22:23], vcc
	s_and_saveexec_b64 s[0:1], s[4:5]
	s_cbranch_execz .LBB237_106
; %bb.104:
	v_cmp_eq_u32_e32 vcc, 1, v19
	s_and_b64 exec, exec, vcc
	s_cbranch_execz .LBB237_106
; %bb.105:
	v_lshlrev_b64 v[6:7], 2, v[8:9]
	v_mov_b32_e32 v1, s3
	v_add_co_u32_e32 v6, vcc, s2, v6
	v_addc_co_u32_e32 v7, vcc, v1, v7, vcc
	global_store_dword v[6:7], v17, off
.LBB237_106:
	s_or_b64 exec, exec, s[0:1]
	s_branch .LBB237_83
.LBB237_107:
	v_cmp_eq_u32_e32 vcc, 1, v26
	s_and_saveexec_b64 s[0:1], vcc
	s_cbranch_execnz .LBB237_127
; %bb.108:
	s_or_b64 exec, exec, s[0:1]
	v_cmp_eq_u32_e32 vcc, 1, v24
	s_and_saveexec_b64 s[0:1], vcc
	s_cbranch_execnz .LBB237_128
.LBB237_109:
	s_or_b64 exec, exec, s[0:1]
	v_cmp_eq_u32_e32 vcc, 1, v22
	s_and_saveexec_b64 s[0:1], vcc
	s_cbranch_execnz .LBB237_129
.LBB237_110:
	s_or_b64 exec, exec, s[0:1]
	v_cmp_eq_u32_e32 vcc, 1, v20
	s_and_saveexec_b64 s[0:1], vcc
	s_cbranch_execnz .LBB237_130
.LBB237_111:
	s_or_b64 exec, exec, s[0:1]
	v_cmp_eq_u32_e32 vcc, 1, v18
	s_and_saveexec_b64 s[0:1], vcc
	s_cbranch_execnz .LBB237_131
.LBB237_112:
	s_or_b64 exec, exec, s[0:1]
	v_cmp_eq_u32_e32 vcc, 1, v16
	s_and_saveexec_b64 s[0:1], vcc
	s_cbranch_execnz .LBB237_132
.LBB237_113:
	s_or_b64 exec, exec, s[0:1]
	v_cmp_eq_u32_e32 vcc, 1, v19
	s_and_saveexec_b64 s[0:1], vcc
	s_cbranch_execz .LBB237_115
.LBB237_114:
	v_subrev_u32_e32 v1, s8, v8
	v_lshlrev_b32_e32 v1, 2, v1
	ds_write_b32 v1, v17
.LBB237_115:
	s_or_b64 exec, exec, s[0:1]
	v_mov_b32_e32 v1, 0
	v_cmp_gt_u64_e32 vcc, v[4:5], v[0:1]
	s_waitcnt lgkmcnt(0)
	s_barrier
	s_and_saveexec_b64 s[10:11], vcc
	s_cbranch_execz .LBB237_125
; %bb.116:
	v_not_b32_e32 v3, v0
	v_not_b32_e32 v2, 0
	v_add_co_u32_e32 v6, vcc, v4, v3
	v_addc_co_u32_e32 v7, vcc, v5, v2, vcc
	s_mov_b64 s[0:1], 0x2f00
	s_mov_b64 s[2:3], 0x2eff
	v_cmp_gt_u64_e64 s[0:1], s[0:1], v[6:7]
	v_cmp_lt_u64_e32 vcc, s[2:3], v[6:7]
	v_mov_b32_e32 v8, v0
	v_pk_mov_b32 v[2:3], v[0:1], v[0:1] op_sel:[0,1]
	s_and_saveexec_b64 s[12:13], vcc
	s_cbranch_execz .LBB237_122
; %bb.117:
	v_alignbit_b32 v2, v7, v6, 8
	s_mov_b32 s2, 0xffffff
	s_mov_b32 s4, -1
	v_lshlrev_b32_e32 v3, 8, v2
	v_cmp_lt_u32_e32 vcc, s2, v2
	v_not_b32_e32 v2, v0
	s_movk_i32 s5, 0xff
	v_cmp_gt_u32_e64 s[2:3], v3, v2
	v_xor_b32_e32 v2, 0xfffffeff, v0
	v_cmp_lt_u64_e64 s[4:5], s[4:5], v[6:7]
	s_or_b64 s[14:15], s[2:3], vcc
	v_cmp_lt_u32_e64 s[2:3], v2, v3
	s_or_b64 s[4:5], vcc, s[4:5]
	s_or_b64 s[2:3], s[4:5], s[2:3]
	s_or_b64 s[4:5], s[14:15], s[2:3]
	s_mov_b64 s[2:3], -1
	s_xor_b64 s[14:15], s[4:5], -1
	v_mov_b32_e32 v8, v0
	v_pk_mov_b32 v[2:3], v[0:1], v[0:1] op_sel:[0,1]
	s_and_saveexec_b64 s[4:5], s[14:15]
	s_cbranch_execz .LBB237_121
; %bb.118:
	s_lshl_b64 s[2:3], s[8:9], 2
	s_lshl_b64 s[14:15], s[18:19], 2
	s_add_u32 s2, s2, s14
	v_lshrrev_b64 v[2:3], 8, v[6:7]
	s_addc_u32 s3, s3, s15
	v_add_co_u32_e32 v10, vcc, 1, v2
	s_add_u32 s2, s6, s2
	v_addc_co_u32_e32 v11, vcc, 0, v3, vcc
	v_lshlrev_b32_e32 v6, 2, v0
	s_addc_u32 s3, s7, s3
	v_mov_b32_e32 v7, s3
	v_add_co_u32_e32 v6, vcc, s2, v6
	v_addc_co_u32_e32 v7, vcc, 0, v7, vcc
	s_movk_i32 s2, 0x400
	v_or_b32_e32 v2, 0x100, v0
	v_mov_b32_e32 v3, v1
	v_add_co_u32_e32 v14, vcc, s2, v6
	v_and_b32_e32 v12, -2, v10
	v_mov_b32_e32 v13, v11
	v_addc_co_u32_e32 v15, vcc, 0, v7, vcc
	v_pk_mov_b32 v[8:9], v[2:3], v[2:3] op_sel:[0,1]
	s_mov_b64 s[14:15], 0
	v_pk_mov_b32 v[16:17], v[12:13], v[12:13] op_sel:[0,1]
	v_pk_mov_b32 v[6:7], v[0:1], v[0:1] op_sel:[0,1]
.LBB237_119:                            ; =>This Inner Loop Header: Depth=1
	v_lshlrev_b32_e32 v1, 2, v6
	v_lshlrev_b32_e32 v2, 2, v8
	ds_read_b32 v1, v1
	ds_read_b32 v2, v2
	v_add_co_u32_e32 v8, vcc, 0x200, v8
	v_addc_co_u32_e32 v9, vcc, 0, v9, vcc
	v_add_co_u32_e64 v16, s[2:3], -2, v16
	v_add_co_u32_e32 v6, vcc, 0x200, v6
	v_addc_co_u32_e64 v17, s[2:3], -1, v17, s[2:3]
	v_addc_co_u32_e32 v7, vcc, 0, v7, vcc
	v_cmp_eq_u64_e64 s[2:3], 0, v[16:17]
	s_waitcnt lgkmcnt(1)
	global_store_dword v[14:15], v1, off offset:-1024
	s_waitcnt lgkmcnt(0)
	global_store_dword v[14:15], v2, off
	v_add_co_u32_e32 v14, vcc, 0x800, v14
	s_or_b64 s[14:15], s[2:3], s[14:15]
	v_addc_co_u32_e32 v15, vcc, 0, v15, vcc
	s_andn2_b64 exec, exec, s[14:15]
	s_cbranch_execnz .LBB237_119
; %bb.120:
	s_or_b64 exec, exec, s[14:15]
	v_lshlrev_b64 v[2:3], 8, v[12:13]
	v_cmp_ne_u64_e32 vcc, v[10:11], v[12:13]
	v_or_b32_e32 v3, 0, v3
	v_or_b32_e32 v2, v2, v0
	v_lshl_or_b32 v8, v12, 8, v0
	s_orn2_b64 s[2:3], vcc, exec
.LBB237_121:
	s_or_b64 exec, exec, s[4:5]
	s_andn2_b64 s[0:1], s[0:1], exec
	s_and_b64 s[2:3], s[2:3], exec
	s_or_b64 s[0:1], s[0:1], s[2:3]
.LBB237_122:
	s_or_b64 exec, exec, s[12:13]
	s_and_b64 exec, exec, s[0:1]
	s_cbranch_execz .LBB237_125
; %bb.123:
	s_lshl_b64 s[0:1], s[8:9], 2
	s_add_u32 s2, s6, s0
	s_addc_u32 s3, s7, s1
	s_lshl_b64 s[0:1], s[18:19], 2
	s_add_u32 s4, s2, s0
	s_addc_u32 s0, s3, s1
	v_add_u32_e32 v6, 0x100, v8
	s_mov_b64 s[2:3], 0
	v_mov_b32_e32 v1, s0
	v_mov_b32_e32 v7, 0
.LBB237_124:                            ; =>This Inner Loop Header: Depth=1
	v_lshlrev_b32_e32 v10, 2, v2
	ds_read_b32 v10, v10
	v_lshlrev_b64 v[8:9], 2, v[2:3]
	v_cmp_le_u64_e32 vcc, v[4:5], v[6:7]
	v_add_co_u32_e64 v8, s[0:1], s4, v8
	v_pk_mov_b32 v[2:3], v[6:7], v[6:7] op_sel:[0,1]
	v_add_u32_e32 v6, 0x100, v6
	v_addc_co_u32_e64 v9, s[0:1], v1, v9, s[0:1]
	s_or_b64 s[2:3], vcc, s[2:3]
	s_waitcnt lgkmcnt(0)
	global_store_dword v[8:9], v10, off
	s_andn2_b64 exec, exec, s[2:3]
	s_cbranch_execnz .LBB237_124
.LBB237_125:
	s_or_b64 exec, exec, s[10:11]
	v_cmp_eq_u32_e32 vcc, 0, v0
	s_and_b64 s[0:1], vcc, s[20:21]
	s_and_saveexec_b64 s[2:3], s[0:1]
	s_cbranch_execz .LBB237_84
.LBB237_126:
	v_mov_b32_e32 v0, s9
	v_add_co_u32_e32 v1, vcc, s8, v4
	v_addc_co_u32_e32 v3, vcc, v0, v5, vcc
	v_mov_b32_e32 v4, s19
	v_add_co_u32_e32 v0, vcc, s18, v1
	v_mov_b32_e32 v2, 0
	v_addc_co_u32_e32 v1, vcc, v3, v4, vcc
	global_store_dwordx2 v2, v[0:1], s[16:17]
	s_endpgm
.LBB237_127:
	v_subrev_u32_e32 v1, s8, v38
	v_lshlrev_b32_e32 v1, 2, v1
	ds_write_b32 v1, v14
	s_or_b64 exec, exec, s[0:1]
	v_cmp_eq_u32_e32 vcc, 1, v24
	s_and_saveexec_b64 s[0:1], vcc
	s_cbranch_execz .LBB237_109
.LBB237_128:
	v_subrev_u32_e32 v1, s8, v36
	v_lshlrev_b32_e32 v1, 2, v1
	ds_write_b32 v1, v15
	s_or_b64 exec, exec, s[0:1]
	v_cmp_eq_u32_e32 vcc, 1, v22
	s_and_saveexec_b64 s[0:1], vcc
	s_cbranch_execz .LBB237_110
.LBB237_129:
	v_subrev_u32_e32 v1, s8, v34
	v_lshlrev_b32_e32 v1, 2, v1
	ds_write_b32 v1, v12
	s_or_b64 exec, exec, s[0:1]
	v_cmp_eq_u32_e32 vcc, 1, v20
	s_and_saveexec_b64 s[0:1], vcc
	s_cbranch_execz .LBB237_111
.LBB237_130:
	v_subrev_u32_e32 v1, s8, v32
	v_lshlrev_b32_e32 v1, 2, v1
	ds_write_b32 v1, v13
	s_or_b64 exec, exec, s[0:1]
	v_cmp_eq_u32_e32 vcc, 1, v18
	s_and_saveexec_b64 s[0:1], vcc
	s_cbranch_execz .LBB237_112
.LBB237_131:
	v_subrev_u32_e32 v1, s8, v30
	v_lshlrev_b32_e32 v1, 2, v1
	ds_write_b32 v1, v10
	s_or_b64 exec, exec, s[0:1]
	v_cmp_eq_u32_e32 vcc, 1, v16
	s_and_saveexec_b64 s[0:1], vcc
	s_cbranch_execz .LBB237_113
.LBB237_132:
	v_subrev_u32_e32 v1, s8, v2
	v_lshlrev_b32_e32 v1, 2, v1
	ds_write_b32 v1, v11
	s_or_b64 exec, exec, s[0:1]
	v_cmp_eq_u32_e32 vcc, 1, v19
	s_and_saveexec_b64 s[0:1], vcc
	s_cbranch_execnz .LBB237_114
	s_branch .LBB237_115
	.section	.rodata,"a",@progbits
	.p2align	6, 0x0
	.amdhsa_kernel _ZN7rocprim17ROCPRIM_400000_NS6detail17trampoline_kernelINS0_14default_configENS1_25partition_config_selectorILNS1_17partition_subalgoE5EiNS0_10empty_typeEbEEZZNS1_14partition_implILS5_5ELb0ES3_mPiPS6_N6thrust23THRUST_200600_302600_NS18transform_iteratorINSC_6detail9not_fun_tIN6dUtils10isMinusOneIiEEEES9_NSC_11use_defaultESK_EENS0_5tupleIJS9_S6_EEENSM_IJSA_SA_EEES6_PlJS6_EEE10hipError_tPvRmT3_T4_T5_T6_T7_T9_mT8_P12ihipStream_tbDpT10_ENKUlT_T0_E_clISt17integral_constantIbLb1EES18_IbLb0EEEEDaS14_S15_EUlS14_E_NS1_11comp_targetILNS1_3genE4ELNS1_11target_archE910ELNS1_3gpuE8ELNS1_3repE0EEENS1_30default_config_static_selectorELNS0_4arch9wavefront6targetE1EEEvT1_
		.amdhsa_group_segment_fixed_size 7184
		.amdhsa_private_segment_fixed_size 0
		.amdhsa_kernarg_size 120
		.amdhsa_user_sgpr_count 6
		.amdhsa_user_sgpr_private_segment_buffer 1
		.amdhsa_user_sgpr_dispatch_ptr 0
		.amdhsa_user_sgpr_queue_ptr 0
		.amdhsa_user_sgpr_kernarg_segment_ptr 1
		.amdhsa_user_sgpr_dispatch_id 0
		.amdhsa_user_sgpr_flat_scratch_init 0
		.amdhsa_user_sgpr_kernarg_preload_length 0
		.amdhsa_user_sgpr_kernarg_preload_offset 0
		.amdhsa_user_sgpr_private_segment_size 0
		.amdhsa_uses_dynamic_stack 0
		.amdhsa_system_sgpr_private_segment_wavefront_offset 0
		.amdhsa_system_sgpr_workgroup_id_x 1
		.amdhsa_system_sgpr_workgroup_id_y 0
		.amdhsa_system_sgpr_workgroup_id_z 0
		.amdhsa_system_sgpr_workgroup_info 0
		.amdhsa_system_vgpr_workitem_id 0
		.amdhsa_next_free_vgpr 56
		.amdhsa_next_free_sgpr 28
		.amdhsa_accum_offset 56
		.amdhsa_reserve_vcc 1
		.amdhsa_reserve_flat_scratch 0
		.amdhsa_float_round_mode_32 0
		.amdhsa_float_round_mode_16_64 0
		.amdhsa_float_denorm_mode_32 3
		.amdhsa_float_denorm_mode_16_64 3
		.amdhsa_dx10_clamp 1
		.amdhsa_ieee_mode 1
		.amdhsa_fp16_overflow 0
		.amdhsa_tg_split 0
		.amdhsa_exception_fp_ieee_invalid_op 0
		.amdhsa_exception_fp_denorm_src 0
		.amdhsa_exception_fp_ieee_div_zero 0
		.amdhsa_exception_fp_ieee_overflow 0
		.amdhsa_exception_fp_ieee_underflow 0
		.amdhsa_exception_fp_ieee_inexact 0
		.amdhsa_exception_int_div_zero 0
	.end_amdhsa_kernel
	.section	.text._ZN7rocprim17ROCPRIM_400000_NS6detail17trampoline_kernelINS0_14default_configENS1_25partition_config_selectorILNS1_17partition_subalgoE5EiNS0_10empty_typeEbEEZZNS1_14partition_implILS5_5ELb0ES3_mPiPS6_N6thrust23THRUST_200600_302600_NS18transform_iteratorINSC_6detail9not_fun_tIN6dUtils10isMinusOneIiEEEES9_NSC_11use_defaultESK_EENS0_5tupleIJS9_S6_EEENSM_IJSA_SA_EEES6_PlJS6_EEE10hipError_tPvRmT3_T4_T5_T6_T7_T9_mT8_P12ihipStream_tbDpT10_ENKUlT_T0_E_clISt17integral_constantIbLb1EES18_IbLb0EEEEDaS14_S15_EUlS14_E_NS1_11comp_targetILNS1_3genE4ELNS1_11target_archE910ELNS1_3gpuE8ELNS1_3repE0EEENS1_30default_config_static_selectorELNS0_4arch9wavefront6targetE1EEEvT1_,"axG",@progbits,_ZN7rocprim17ROCPRIM_400000_NS6detail17trampoline_kernelINS0_14default_configENS1_25partition_config_selectorILNS1_17partition_subalgoE5EiNS0_10empty_typeEbEEZZNS1_14partition_implILS5_5ELb0ES3_mPiPS6_N6thrust23THRUST_200600_302600_NS18transform_iteratorINSC_6detail9not_fun_tIN6dUtils10isMinusOneIiEEEES9_NSC_11use_defaultESK_EENS0_5tupleIJS9_S6_EEENSM_IJSA_SA_EEES6_PlJS6_EEE10hipError_tPvRmT3_T4_T5_T6_T7_T9_mT8_P12ihipStream_tbDpT10_ENKUlT_T0_E_clISt17integral_constantIbLb1EES18_IbLb0EEEEDaS14_S15_EUlS14_E_NS1_11comp_targetILNS1_3genE4ELNS1_11target_archE910ELNS1_3gpuE8ELNS1_3repE0EEENS1_30default_config_static_selectorELNS0_4arch9wavefront6targetE1EEEvT1_,comdat
.Lfunc_end237:
	.size	_ZN7rocprim17ROCPRIM_400000_NS6detail17trampoline_kernelINS0_14default_configENS1_25partition_config_selectorILNS1_17partition_subalgoE5EiNS0_10empty_typeEbEEZZNS1_14partition_implILS5_5ELb0ES3_mPiPS6_N6thrust23THRUST_200600_302600_NS18transform_iteratorINSC_6detail9not_fun_tIN6dUtils10isMinusOneIiEEEES9_NSC_11use_defaultESK_EENS0_5tupleIJS9_S6_EEENSM_IJSA_SA_EEES6_PlJS6_EEE10hipError_tPvRmT3_T4_T5_T6_T7_T9_mT8_P12ihipStream_tbDpT10_ENKUlT_T0_E_clISt17integral_constantIbLb1EES18_IbLb0EEEEDaS14_S15_EUlS14_E_NS1_11comp_targetILNS1_3genE4ELNS1_11target_archE910ELNS1_3gpuE8ELNS1_3repE0EEENS1_30default_config_static_selectorELNS0_4arch9wavefront6targetE1EEEvT1_, .Lfunc_end237-_ZN7rocprim17ROCPRIM_400000_NS6detail17trampoline_kernelINS0_14default_configENS1_25partition_config_selectorILNS1_17partition_subalgoE5EiNS0_10empty_typeEbEEZZNS1_14partition_implILS5_5ELb0ES3_mPiPS6_N6thrust23THRUST_200600_302600_NS18transform_iteratorINSC_6detail9not_fun_tIN6dUtils10isMinusOneIiEEEES9_NSC_11use_defaultESK_EENS0_5tupleIJS9_S6_EEENSM_IJSA_SA_EEES6_PlJS6_EEE10hipError_tPvRmT3_T4_T5_T6_T7_T9_mT8_P12ihipStream_tbDpT10_ENKUlT_T0_E_clISt17integral_constantIbLb1EES18_IbLb0EEEEDaS14_S15_EUlS14_E_NS1_11comp_targetILNS1_3genE4ELNS1_11target_archE910ELNS1_3gpuE8ELNS1_3repE0EEENS1_30default_config_static_selectorELNS0_4arch9wavefront6targetE1EEEvT1_
                                        ; -- End function
	.section	.AMDGPU.csdata,"",@progbits
; Kernel info:
; codeLenInByte = 6724
; NumSgprs: 32
; NumVgprs: 56
; NumAgprs: 0
; TotalNumVgprs: 56
; ScratchSize: 0
; MemoryBound: 0
; FloatMode: 240
; IeeeMode: 1
; LDSByteSize: 7184 bytes/workgroup (compile time only)
; SGPRBlocks: 3
; VGPRBlocks: 6
; NumSGPRsForWavesPerEU: 32
; NumVGPRsForWavesPerEU: 56
; AccumOffset: 56
; Occupancy: 8
; WaveLimiterHint : 1
; COMPUTE_PGM_RSRC2:SCRATCH_EN: 0
; COMPUTE_PGM_RSRC2:USER_SGPR: 6
; COMPUTE_PGM_RSRC2:TRAP_HANDLER: 0
; COMPUTE_PGM_RSRC2:TGID_X_EN: 1
; COMPUTE_PGM_RSRC2:TGID_Y_EN: 0
; COMPUTE_PGM_RSRC2:TGID_Z_EN: 0
; COMPUTE_PGM_RSRC2:TIDIG_COMP_CNT: 0
; COMPUTE_PGM_RSRC3_GFX90A:ACCUM_OFFSET: 13
; COMPUTE_PGM_RSRC3_GFX90A:TG_SPLIT: 0
	.section	.text._ZN7rocprim17ROCPRIM_400000_NS6detail17trampoline_kernelINS0_14default_configENS1_25partition_config_selectorILNS1_17partition_subalgoE5EiNS0_10empty_typeEbEEZZNS1_14partition_implILS5_5ELb0ES3_mPiPS6_N6thrust23THRUST_200600_302600_NS18transform_iteratorINSC_6detail9not_fun_tIN6dUtils10isMinusOneIiEEEES9_NSC_11use_defaultESK_EENS0_5tupleIJS9_S6_EEENSM_IJSA_SA_EEES6_PlJS6_EEE10hipError_tPvRmT3_T4_T5_T6_T7_T9_mT8_P12ihipStream_tbDpT10_ENKUlT_T0_E_clISt17integral_constantIbLb1EES18_IbLb0EEEEDaS14_S15_EUlS14_E_NS1_11comp_targetILNS1_3genE3ELNS1_11target_archE908ELNS1_3gpuE7ELNS1_3repE0EEENS1_30default_config_static_selectorELNS0_4arch9wavefront6targetE1EEEvT1_,"axG",@progbits,_ZN7rocprim17ROCPRIM_400000_NS6detail17trampoline_kernelINS0_14default_configENS1_25partition_config_selectorILNS1_17partition_subalgoE5EiNS0_10empty_typeEbEEZZNS1_14partition_implILS5_5ELb0ES3_mPiPS6_N6thrust23THRUST_200600_302600_NS18transform_iteratorINSC_6detail9not_fun_tIN6dUtils10isMinusOneIiEEEES9_NSC_11use_defaultESK_EENS0_5tupleIJS9_S6_EEENSM_IJSA_SA_EEES6_PlJS6_EEE10hipError_tPvRmT3_T4_T5_T6_T7_T9_mT8_P12ihipStream_tbDpT10_ENKUlT_T0_E_clISt17integral_constantIbLb1EES18_IbLb0EEEEDaS14_S15_EUlS14_E_NS1_11comp_targetILNS1_3genE3ELNS1_11target_archE908ELNS1_3gpuE7ELNS1_3repE0EEENS1_30default_config_static_selectorELNS0_4arch9wavefront6targetE1EEEvT1_,comdat
	.protected	_ZN7rocprim17ROCPRIM_400000_NS6detail17trampoline_kernelINS0_14default_configENS1_25partition_config_selectorILNS1_17partition_subalgoE5EiNS0_10empty_typeEbEEZZNS1_14partition_implILS5_5ELb0ES3_mPiPS6_N6thrust23THRUST_200600_302600_NS18transform_iteratorINSC_6detail9not_fun_tIN6dUtils10isMinusOneIiEEEES9_NSC_11use_defaultESK_EENS0_5tupleIJS9_S6_EEENSM_IJSA_SA_EEES6_PlJS6_EEE10hipError_tPvRmT3_T4_T5_T6_T7_T9_mT8_P12ihipStream_tbDpT10_ENKUlT_T0_E_clISt17integral_constantIbLb1EES18_IbLb0EEEEDaS14_S15_EUlS14_E_NS1_11comp_targetILNS1_3genE3ELNS1_11target_archE908ELNS1_3gpuE7ELNS1_3repE0EEENS1_30default_config_static_selectorELNS0_4arch9wavefront6targetE1EEEvT1_ ; -- Begin function _ZN7rocprim17ROCPRIM_400000_NS6detail17trampoline_kernelINS0_14default_configENS1_25partition_config_selectorILNS1_17partition_subalgoE5EiNS0_10empty_typeEbEEZZNS1_14partition_implILS5_5ELb0ES3_mPiPS6_N6thrust23THRUST_200600_302600_NS18transform_iteratorINSC_6detail9not_fun_tIN6dUtils10isMinusOneIiEEEES9_NSC_11use_defaultESK_EENS0_5tupleIJS9_S6_EEENSM_IJSA_SA_EEES6_PlJS6_EEE10hipError_tPvRmT3_T4_T5_T6_T7_T9_mT8_P12ihipStream_tbDpT10_ENKUlT_T0_E_clISt17integral_constantIbLb1EES18_IbLb0EEEEDaS14_S15_EUlS14_E_NS1_11comp_targetILNS1_3genE3ELNS1_11target_archE908ELNS1_3gpuE7ELNS1_3repE0EEENS1_30default_config_static_selectorELNS0_4arch9wavefront6targetE1EEEvT1_
	.globl	_ZN7rocprim17ROCPRIM_400000_NS6detail17trampoline_kernelINS0_14default_configENS1_25partition_config_selectorILNS1_17partition_subalgoE5EiNS0_10empty_typeEbEEZZNS1_14partition_implILS5_5ELb0ES3_mPiPS6_N6thrust23THRUST_200600_302600_NS18transform_iteratorINSC_6detail9not_fun_tIN6dUtils10isMinusOneIiEEEES9_NSC_11use_defaultESK_EENS0_5tupleIJS9_S6_EEENSM_IJSA_SA_EEES6_PlJS6_EEE10hipError_tPvRmT3_T4_T5_T6_T7_T9_mT8_P12ihipStream_tbDpT10_ENKUlT_T0_E_clISt17integral_constantIbLb1EES18_IbLb0EEEEDaS14_S15_EUlS14_E_NS1_11comp_targetILNS1_3genE3ELNS1_11target_archE908ELNS1_3gpuE7ELNS1_3repE0EEENS1_30default_config_static_selectorELNS0_4arch9wavefront6targetE1EEEvT1_
	.p2align	8
	.type	_ZN7rocprim17ROCPRIM_400000_NS6detail17trampoline_kernelINS0_14default_configENS1_25partition_config_selectorILNS1_17partition_subalgoE5EiNS0_10empty_typeEbEEZZNS1_14partition_implILS5_5ELb0ES3_mPiPS6_N6thrust23THRUST_200600_302600_NS18transform_iteratorINSC_6detail9not_fun_tIN6dUtils10isMinusOneIiEEEES9_NSC_11use_defaultESK_EENS0_5tupleIJS9_S6_EEENSM_IJSA_SA_EEES6_PlJS6_EEE10hipError_tPvRmT3_T4_T5_T6_T7_T9_mT8_P12ihipStream_tbDpT10_ENKUlT_T0_E_clISt17integral_constantIbLb1EES18_IbLb0EEEEDaS14_S15_EUlS14_E_NS1_11comp_targetILNS1_3genE3ELNS1_11target_archE908ELNS1_3gpuE7ELNS1_3repE0EEENS1_30default_config_static_selectorELNS0_4arch9wavefront6targetE1EEEvT1_,@function
_ZN7rocprim17ROCPRIM_400000_NS6detail17trampoline_kernelINS0_14default_configENS1_25partition_config_selectorILNS1_17partition_subalgoE5EiNS0_10empty_typeEbEEZZNS1_14partition_implILS5_5ELb0ES3_mPiPS6_N6thrust23THRUST_200600_302600_NS18transform_iteratorINSC_6detail9not_fun_tIN6dUtils10isMinusOneIiEEEES9_NSC_11use_defaultESK_EENS0_5tupleIJS9_S6_EEENSM_IJSA_SA_EEES6_PlJS6_EEE10hipError_tPvRmT3_T4_T5_T6_T7_T9_mT8_P12ihipStream_tbDpT10_ENKUlT_T0_E_clISt17integral_constantIbLb1EES18_IbLb0EEEEDaS14_S15_EUlS14_E_NS1_11comp_targetILNS1_3genE3ELNS1_11target_archE908ELNS1_3gpuE7ELNS1_3repE0EEENS1_30default_config_static_selectorELNS0_4arch9wavefront6targetE1EEEvT1_: ; @_ZN7rocprim17ROCPRIM_400000_NS6detail17trampoline_kernelINS0_14default_configENS1_25partition_config_selectorILNS1_17partition_subalgoE5EiNS0_10empty_typeEbEEZZNS1_14partition_implILS5_5ELb0ES3_mPiPS6_N6thrust23THRUST_200600_302600_NS18transform_iteratorINSC_6detail9not_fun_tIN6dUtils10isMinusOneIiEEEES9_NSC_11use_defaultESK_EENS0_5tupleIJS9_S6_EEENSM_IJSA_SA_EEES6_PlJS6_EEE10hipError_tPvRmT3_T4_T5_T6_T7_T9_mT8_P12ihipStream_tbDpT10_ENKUlT_T0_E_clISt17integral_constantIbLb1EES18_IbLb0EEEEDaS14_S15_EUlS14_E_NS1_11comp_targetILNS1_3genE3ELNS1_11target_archE908ELNS1_3gpuE7ELNS1_3repE0EEENS1_30default_config_static_selectorELNS0_4arch9wavefront6targetE1EEEvT1_
; %bb.0:
	.section	.rodata,"a",@progbits
	.p2align	6, 0x0
	.amdhsa_kernel _ZN7rocprim17ROCPRIM_400000_NS6detail17trampoline_kernelINS0_14default_configENS1_25partition_config_selectorILNS1_17partition_subalgoE5EiNS0_10empty_typeEbEEZZNS1_14partition_implILS5_5ELb0ES3_mPiPS6_N6thrust23THRUST_200600_302600_NS18transform_iteratorINSC_6detail9not_fun_tIN6dUtils10isMinusOneIiEEEES9_NSC_11use_defaultESK_EENS0_5tupleIJS9_S6_EEENSM_IJSA_SA_EEES6_PlJS6_EEE10hipError_tPvRmT3_T4_T5_T6_T7_T9_mT8_P12ihipStream_tbDpT10_ENKUlT_T0_E_clISt17integral_constantIbLb1EES18_IbLb0EEEEDaS14_S15_EUlS14_E_NS1_11comp_targetILNS1_3genE3ELNS1_11target_archE908ELNS1_3gpuE7ELNS1_3repE0EEENS1_30default_config_static_selectorELNS0_4arch9wavefront6targetE1EEEvT1_
		.amdhsa_group_segment_fixed_size 0
		.amdhsa_private_segment_fixed_size 0
		.amdhsa_kernarg_size 120
		.amdhsa_user_sgpr_count 6
		.amdhsa_user_sgpr_private_segment_buffer 1
		.amdhsa_user_sgpr_dispatch_ptr 0
		.amdhsa_user_sgpr_queue_ptr 0
		.amdhsa_user_sgpr_kernarg_segment_ptr 1
		.amdhsa_user_sgpr_dispatch_id 0
		.amdhsa_user_sgpr_flat_scratch_init 0
		.amdhsa_user_sgpr_kernarg_preload_length 0
		.amdhsa_user_sgpr_kernarg_preload_offset 0
		.amdhsa_user_sgpr_private_segment_size 0
		.amdhsa_uses_dynamic_stack 0
		.amdhsa_system_sgpr_private_segment_wavefront_offset 0
		.amdhsa_system_sgpr_workgroup_id_x 1
		.amdhsa_system_sgpr_workgroup_id_y 0
		.amdhsa_system_sgpr_workgroup_id_z 0
		.amdhsa_system_sgpr_workgroup_info 0
		.amdhsa_system_vgpr_workitem_id 0
		.amdhsa_next_free_vgpr 1
		.amdhsa_next_free_sgpr 0
		.amdhsa_accum_offset 4
		.amdhsa_reserve_vcc 0
		.amdhsa_reserve_flat_scratch 0
		.amdhsa_float_round_mode_32 0
		.amdhsa_float_round_mode_16_64 0
		.amdhsa_float_denorm_mode_32 3
		.amdhsa_float_denorm_mode_16_64 3
		.amdhsa_dx10_clamp 1
		.amdhsa_ieee_mode 1
		.amdhsa_fp16_overflow 0
		.amdhsa_tg_split 0
		.amdhsa_exception_fp_ieee_invalid_op 0
		.amdhsa_exception_fp_denorm_src 0
		.amdhsa_exception_fp_ieee_div_zero 0
		.amdhsa_exception_fp_ieee_overflow 0
		.amdhsa_exception_fp_ieee_underflow 0
		.amdhsa_exception_fp_ieee_inexact 0
		.amdhsa_exception_int_div_zero 0
	.end_amdhsa_kernel
	.section	.text._ZN7rocprim17ROCPRIM_400000_NS6detail17trampoline_kernelINS0_14default_configENS1_25partition_config_selectorILNS1_17partition_subalgoE5EiNS0_10empty_typeEbEEZZNS1_14partition_implILS5_5ELb0ES3_mPiPS6_N6thrust23THRUST_200600_302600_NS18transform_iteratorINSC_6detail9not_fun_tIN6dUtils10isMinusOneIiEEEES9_NSC_11use_defaultESK_EENS0_5tupleIJS9_S6_EEENSM_IJSA_SA_EEES6_PlJS6_EEE10hipError_tPvRmT3_T4_T5_T6_T7_T9_mT8_P12ihipStream_tbDpT10_ENKUlT_T0_E_clISt17integral_constantIbLb1EES18_IbLb0EEEEDaS14_S15_EUlS14_E_NS1_11comp_targetILNS1_3genE3ELNS1_11target_archE908ELNS1_3gpuE7ELNS1_3repE0EEENS1_30default_config_static_selectorELNS0_4arch9wavefront6targetE1EEEvT1_,"axG",@progbits,_ZN7rocprim17ROCPRIM_400000_NS6detail17trampoline_kernelINS0_14default_configENS1_25partition_config_selectorILNS1_17partition_subalgoE5EiNS0_10empty_typeEbEEZZNS1_14partition_implILS5_5ELb0ES3_mPiPS6_N6thrust23THRUST_200600_302600_NS18transform_iteratorINSC_6detail9not_fun_tIN6dUtils10isMinusOneIiEEEES9_NSC_11use_defaultESK_EENS0_5tupleIJS9_S6_EEENSM_IJSA_SA_EEES6_PlJS6_EEE10hipError_tPvRmT3_T4_T5_T6_T7_T9_mT8_P12ihipStream_tbDpT10_ENKUlT_T0_E_clISt17integral_constantIbLb1EES18_IbLb0EEEEDaS14_S15_EUlS14_E_NS1_11comp_targetILNS1_3genE3ELNS1_11target_archE908ELNS1_3gpuE7ELNS1_3repE0EEENS1_30default_config_static_selectorELNS0_4arch9wavefront6targetE1EEEvT1_,comdat
.Lfunc_end238:
	.size	_ZN7rocprim17ROCPRIM_400000_NS6detail17trampoline_kernelINS0_14default_configENS1_25partition_config_selectorILNS1_17partition_subalgoE5EiNS0_10empty_typeEbEEZZNS1_14partition_implILS5_5ELb0ES3_mPiPS6_N6thrust23THRUST_200600_302600_NS18transform_iteratorINSC_6detail9not_fun_tIN6dUtils10isMinusOneIiEEEES9_NSC_11use_defaultESK_EENS0_5tupleIJS9_S6_EEENSM_IJSA_SA_EEES6_PlJS6_EEE10hipError_tPvRmT3_T4_T5_T6_T7_T9_mT8_P12ihipStream_tbDpT10_ENKUlT_T0_E_clISt17integral_constantIbLb1EES18_IbLb0EEEEDaS14_S15_EUlS14_E_NS1_11comp_targetILNS1_3genE3ELNS1_11target_archE908ELNS1_3gpuE7ELNS1_3repE0EEENS1_30default_config_static_selectorELNS0_4arch9wavefront6targetE1EEEvT1_, .Lfunc_end238-_ZN7rocprim17ROCPRIM_400000_NS6detail17trampoline_kernelINS0_14default_configENS1_25partition_config_selectorILNS1_17partition_subalgoE5EiNS0_10empty_typeEbEEZZNS1_14partition_implILS5_5ELb0ES3_mPiPS6_N6thrust23THRUST_200600_302600_NS18transform_iteratorINSC_6detail9not_fun_tIN6dUtils10isMinusOneIiEEEES9_NSC_11use_defaultESK_EENS0_5tupleIJS9_S6_EEENSM_IJSA_SA_EEES6_PlJS6_EEE10hipError_tPvRmT3_T4_T5_T6_T7_T9_mT8_P12ihipStream_tbDpT10_ENKUlT_T0_E_clISt17integral_constantIbLb1EES18_IbLb0EEEEDaS14_S15_EUlS14_E_NS1_11comp_targetILNS1_3genE3ELNS1_11target_archE908ELNS1_3gpuE7ELNS1_3repE0EEENS1_30default_config_static_selectorELNS0_4arch9wavefront6targetE1EEEvT1_
                                        ; -- End function
	.section	.AMDGPU.csdata,"",@progbits
; Kernel info:
; codeLenInByte = 0
; NumSgprs: 4
; NumVgprs: 0
; NumAgprs: 0
; TotalNumVgprs: 0
; ScratchSize: 0
; MemoryBound: 0
; FloatMode: 240
; IeeeMode: 1
; LDSByteSize: 0 bytes/workgroup (compile time only)
; SGPRBlocks: 0
; VGPRBlocks: 0
; NumSGPRsForWavesPerEU: 4
; NumVGPRsForWavesPerEU: 1
; AccumOffset: 4
; Occupancy: 8
; WaveLimiterHint : 0
; COMPUTE_PGM_RSRC2:SCRATCH_EN: 0
; COMPUTE_PGM_RSRC2:USER_SGPR: 6
; COMPUTE_PGM_RSRC2:TRAP_HANDLER: 0
; COMPUTE_PGM_RSRC2:TGID_X_EN: 1
; COMPUTE_PGM_RSRC2:TGID_Y_EN: 0
; COMPUTE_PGM_RSRC2:TGID_Z_EN: 0
; COMPUTE_PGM_RSRC2:TIDIG_COMP_CNT: 0
; COMPUTE_PGM_RSRC3_GFX90A:ACCUM_OFFSET: 0
; COMPUTE_PGM_RSRC3_GFX90A:TG_SPLIT: 0
	.section	.text._ZN7rocprim17ROCPRIM_400000_NS6detail17trampoline_kernelINS0_14default_configENS1_25partition_config_selectorILNS1_17partition_subalgoE5EiNS0_10empty_typeEbEEZZNS1_14partition_implILS5_5ELb0ES3_mPiPS6_N6thrust23THRUST_200600_302600_NS18transform_iteratorINSC_6detail9not_fun_tIN6dUtils10isMinusOneIiEEEES9_NSC_11use_defaultESK_EENS0_5tupleIJS9_S6_EEENSM_IJSA_SA_EEES6_PlJS6_EEE10hipError_tPvRmT3_T4_T5_T6_T7_T9_mT8_P12ihipStream_tbDpT10_ENKUlT_T0_E_clISt17integral_constantIbLb1EES18_IbLb0EEEEDaS14_S15_EUlS14_E_NS1_11comp_targetILNS1_3genE2ELNS1_11target_archE906ELNS1_3gpuE6ELNS1_3repE0EEENS1_30default_config_static_selectorELNS0_4arch9wavefront6targetE1EEEvT1_,"axG",@progbits,_ZN7rocprim17ROCPRIM_400000_NS6detail17trampoline_kernelINS0_14default_configENS1_25partition_config_selectorILNS1_17partition_subalgoE5EiNS0_10empty_typeEbEEZZNS1_14partition_implILS5_5ELb0ES3_mPiPS6_N6thrust23THRUST_200600_302600_NS18transform_iteratorINSC_6detail9not_fun_tIN6dUtils10isMinusOneIiEEEES9_NSC_11use_defaultESK_EENS0_5tupleIJS9_S6_EEENSM_IJSA_SA_EEES6_PlJS6_EEE10hipError_tPvRmT3_T4_T5_T6_T7_T9_mT8_P12ihipStream_tbDpT10_ENKUlT_T0_E_clISt17integral_constantIbLb1EES18_IbLb0EEEEDaS14_S15_EUlS14_E_NS1_11comp_targetILNS1_3genE2ELNS1_11target_archE906ELNS1_3gpuE6ELNS1_3repE0EEENS1_30default_config_static_selectorELNS0_4arch9wavefront6targetE1EEEvT1_,comdat
	.protected	_ZN7rocprim17ROCPRIM_400000_NS6detail17trampoline_kernelINS0_14default_configENS1_25partition_config_selectorILNS1_17partition_subalgoE5EiNS0_10empty_typeEbEEZZNS1_14partition_implILS5_5ELb0ES3_mPiPS6_N6thrust23THRUST_200600_302600_NS18transform_iteratorINSC_6detail9not_fun_tIN6dUtils10isMinusOneIiEEEES9_NSC_11use_defaultESK_EENS0_5tupleIJS9_S6_EEENSM_IJSA_SA_EEES6_PlJS6_EEE10hipError_tPvRmT3_T4_T5_T6_T7_T9_mT8_P12ihipStream_tbDpT10_ENKUlT_T0_E_clISt17integral_constantIbLb1EES18_IbLb0EEEEDaS14_S15_EUlS14_E_NS1_11comp_targetILNS1_3genE2ELNS1_11target_archE906ELNS1_3gpuE6ELNS1_3repE0EEENS1_30default_config_static_selectorELNS0_4arch9wavefront6targetE1EEEvT1_ ; -- Begin function _ZN7rocprim17ROCPRIM_400000_NS6detail17trampoline_kernelINS0_14default_configENS1_25partition_config_selectorILNS1_17partition_subalgoE5EiNS0_10empty_typeEbEEZZNS1_14partition_implILS5_5ELb0ES3_mPiPS6_N6thrust23THRUST_200600_302600_NS18transform_iteratorINSC_6detail9not_fun_tIN6dUtils10isMinusOneIiEEEES9_NSC_11use_defaultESK_EENS0_5tupleIJS9_S6_EEENSM_IJSA_SA_EEES6_PlJS6_EEE10hipError_tPvRmT3_T4_T5_T6_T7_T9_mT8_P12ihipStream_tbDpT10_ENKUlT_T0_E_clISt17integral_constantIbLb1EES18_IbLb0EEEEDaS14_S15_EUlS14_E_NS1_11comp_targetILNS1_3genE2ELNS1_11target_archE906ELNS1_3gpuE6ELNS1_3repE0EEENS1_30default_config_static_selectorELNS0_4arch9wavefront6targetE1EEEvT1_
	.globl	_ZN7rocprim17ROCPRIM_400000_NS6detail17trampoline_kernelINS0_14default_configENS1_25partition_config_selectorILNS1_17partition_subalgoE5EiNS0_10empty_typeEbEEZZNS1_14partition_implILS5_5ELb0ES3_mPiPS6_N6thrust23THRUST_200600_302600_NS18transform_iteratorINSC_6detail9not_fun_tIN6dUtils10isMinusOneIiEEEES9_NSC_11use_defaultESK_EENS0_5tupleIJS9_S6_EEENSM_IJSA_SA_EEES6_PlJS6_EEE10hipError_tPvRmT3_T4_T5_T6_T7_T9_mT8_P12ihipStream_tbDpT10_ENKUlT_T0_E_clISt17integral_constantIbLb1EES18_IbLb0EEEEDaS14_S15_EUlS14_E_NS1_11comp_targetILNS1_3genE2ELNS1_11target_archE906ELNS1_3gpuE6ELNS1_3repE0EEENS1_30default_config_static_selectorELNS0_4arch9wavefront6targetE1EEEvT1_
	.p2align	8
	.type	_ZN7rocprim17ROCPRIM_400000_NS6detail17trampoline_kernelINS0_14default_configENS1_25partition_config_selectorILNS1_17partition_subalgoE5EiNS0_10empty_typeEbEEZZNS1_14partition_implILS5_5ELb0ES3_mPiPS6_N6thrust23THRUST_200600_302600_NS18transform_iteratorINSC_6detail9not_fun_tIN6dUtils10isMinusOneIiEEEES9_NSC_11use_defaultESK_EENS0_5tupleIJS9_S6_EEENSM_IJSA_SA_EEES6_PlJS6_EEE10hipError_tPvRmT3_T4_T5_T6_T7_T9_mT8_P12ihipStream_tbDpT10_ENKUlT_T0_E_clISt17integral_constantIbLb1EES18_IbLb0EEEEDaS14_S15_EUlS14_E_NS1_11comp_targetILNS1_3genE2ELNS1_11target_archE906ELNS1_3gpuE6ELNS1_3repE0EEENS1_30default_config_static_selectorELNS0_4arch9wavefront6targetE1EEEvT1_,@function
_ZN7rocprim17ROCPRIM_400000_NS6detail17trampoline_kernelINS0_14default_configENS1_25partition_config_selectorILNS1_17partition_subalgoE5EiNS0_10empty_typeEbEEZZNS1_14partition_implILS5_5ELb0ES3_mPiPS6_N6thrust23THRUST_200600_302600_NS18transform_iteratorINSC_6detail9not_fun_tIN6dUtils10isMinusOneIiEEEES9_NSC_11use_defaultESK_EENS0_5tupleIJS9_S6_EEENSM_IJSA_SA_EEES6_PlJS6_EEE10hipError_tPvRmT3_T4_T5_T6_T7_T9_mT8_P12ihipStream_tbDpT10_ENKUlT_T0_E_clISt17integral_constantIbLb1EES18_IbLb0EEEEDaS14_S15_EUlS14_E_NS1_11comp_targetILNS1_3genE2ELNS1_11target_archE906ELNS1_3gpuE6ELNS1_3repE0EEENS1_30default_config_static_selectorELNS0_4arch9wavefront6targetE1EEEvT1_: ; @_ZN7rocprim17ROCPRIM_400000_NS6detail17trampoline_kernelINS0_14default_configENS1_25partition_config_selectorILNS1_17partition_subalgoE5EiNS0_10empty_typeEbEEZZNS1_14partition_implILS5_5ELb0ES3_mPiPS6_N6thrust23THRUST_200600_302600_NS18transform_iteratorINSC_6detail9not_fun_tIN6dUtils10isMinusOneIiEEEES9_NSC_11use_defaultESK_EENS0_5tupleIJS9_S6_EEENSM_IJSA_SA_EEES6_PlJS6_EEE10hipError_tPvRmT3_T4_T5_T6_T7_T9_mT8_P12ihipStream_tbDpT10_ENKUlT_T0_E_clISt17integral_constantIbLb1EES18_IbLb0EEEEDaS14_S15_EUlS14_E_NS1_11comp_targetILNS1_3genE2ELNS1_11target_archE906ELNS1_3gpuE6ELNS1_3repE0EEENS1_30default_config_static_selectorELNS0_4arch9wavefront6targetE1EEEvT1_
; %bb.0:
	.section	.rodata,"a",@progbits
	.p2align	6, 0x0
	.amdhsa_kernel _ZN7rocprim17ROCPRIM_400000_NS6detail17trampoline_kernelINS0_14default_configENS1_25partition_config_selectorILNS1_17partition_subalgoE5EiNS0_10empty_typeEbEEZZNS1_14partition_implILS5_5ELb0ES3_mPiPS6_N6thrust23THRUST_200600_302600_NS18transform_iteratorINSC_6detail9not_fun_tIN6dUtils10isMinusOneIiEEEES9_NSC_11use_defaultESK_EENS0_5tupleIJS9_S6_EEENSM_IJSA_SA_EEES6_PlJS6_EEE10hipError_tPvRmT3_T4_T5_T6_T7_T9_mT8_P12ihipStream_tbDpT10_ENKUlT_T0_E_clISt17integral_constantIbLb1EES18_IbLb0EEEEDaS14_S15_EUlS14_E_NS1_11comp_targetILNS1_3genE2ELNS1_11target_archE906ELNS1_3gpuE6ELNS1_3repE0EEENS1_30default_config_static_selectorELNS0_4arch9wavefront6targetE1EEEvT1_
		.amdhsa_group_segment_fixed_size 0
		.amdhsa_private_segment_fixed_size 0
		.amdhsa_kernarg_size 120
		.amdhsa_user_sgpr_count 6
		.amdhsa_user_sgpr_private_segment_buffer 1
		.amdhsa_user_sgpr_dispatch_ptr 0
		.amdhsa_user_sgpr_queue_ptr 0
		.amdhsa_user_sgpr_kernarg_segment_ptr 1
		.amdhsa_user_sgpr_dispatch_id 0
		.amdhsa_user_sgpr_flat_scratch_init 0
		.amdhsa_user_sgpr_kernarg_preload_length 0
		.amdhsa_user_sgpr_kernarg_preload_offset 0
		.amdhsa_user_sgpr_private_segment_size 0
		.amdhsa_uses_dynamic_stack 0
		.amdhsa_system_sgpr_private_segment_wavefront_offset 0
		.amdhsa_system_sgpr_workgroup_id_x 1
		.amdhsa_system_sgpr_workgroup_id_y 0
		.amdhsa_system_sgpr_workgroup_id_z 0
		.amdhsa_system_sgpr_workgroup_info 0
		.amdhsa_system_vgpr_workitem_id 0
		.amdhsa_next_free_vgpr 1
		.amdhsa_next_free_sgpr 0
		.amdhsa_accum_offset 4
		.amdhsa_reserve_vcc 0
		.amdhsa_reserve_flat_scratch 0
		.amdhsa_float_round_mode_32 0
		.amdhsa_float_round_mode_16_64 0
		.amdhsa_float_denorm_mode_32 3
		.amdhsa_float_denorm_mode_16_64 3
		.amdhsa_dx10_clamp 1
		.amdhsa_ieee_mode 1
		.amdhsa_fp16_overflow 0
		.amdhsa_tg_split 0
		.amdhsa_exception_fp_ieee_invalid_op 0
		.amdhsa_exception_fp_denorm_src 0
		.amdhsa_exception_fp_ieee_div_zero 0
		.amdhsa_exception_fp_ieee_overflow 0
		.amdhsa_exception_fp_ieee_underflow 0
		.amdhsa_exception_fp_ieee_inexact 0
		.amdhsa_exception_int_div_zero 0
	.end_amdhsa_kernel
	.section	.text._ZN7rocprim17ROCPRIM_400000_NS6detail17trampoline_kernelINS0_14default_configENS1_25partition_config_selectorILNS1_17partition_subalgoE5EiNS0_10empty_typeEbEEZZNS1_14partition_implILS5_5ELb0ES3_mPiPS6_N6thrust23THRUST_200600_302600_NS18transform_iteratorINSC_6detail9not_fun_tIN6dUtils10isMinusOneIiEEEES9_NSC_11use_defaultESK_EENS0_5tupleIJS9_S6_EEENSM_IJSA_SA_EEES6_PlJS6_EEE10hipError_tPvRmT3_T4_T5_T6_T7_T9_mT8_P12ihipStream_tbDpT10_ENKUlT_T0_E_clISt17integral_constantIbLb1EES18_IbLb0EEEEDaS14_S15_EUlS14_E_NS1_11comp_targetILNS1_3genE2ELNS1_11target_archE906ELNS1_3gpuE6ELNS1_3repE0EEENS1_30default_config_static_selectorELNS0_4arch9wavefront6targetE1EEEvT1_,"axG",@progbits,_ZN7rocprim17ROCPRIM_400000_NS6detail17trampoline_kernelINS0_14default_configENS1_25partition_config_selectorILNS1_17partition_subalgoE5EiNS0_10empty_typeEbEEZZNS1_14partition_implILS5_5ELb0ES3_mPiPS6_N6thrust23THRUST_200600_302600_NS18transform_iteratorINSC_6detail9not_fun_tIN6dUtils10isMinusOneIiEEEES9_NSC_11use_defaultESK_EENS0_5tupleIJS9_S6_EEENSM_IJSA_SA_EEES6_PlJS6_EEE10hipError_tPvRmT3_T4_T5_T6_T7_T9_mT8_P12ihipStream_tbDpT10_ENKUlT_T0_E_clISt17integral_constantIbLb1EES18_IbLb0EEEEDaS14_S15_EUlS14_E_NS1_11comp_targetILNS1_3genE2ELNS1_11target_archE906ELNS1_3gpuE6ELNS1_3repE0EEENS1_30default_config_static_selectorELNS0_4arch9wavefront6targetE1EEEvT1_,comdat
.Lfunc_end239:
	.size	_ZN7rocprim17ROCPRIM_400000_NS6detail17trampoline_kernelINS0_14default_configENS1_25partition_config_selectorILNS1_17partition_subalgoE5EiNS0_10empty_typeEbEEZZNS1_14partition_implILS5_5ELb0ES3_mPiPS6_N6thrust23THRUST_200600_302600_NS18transform_iteratorINSC_6detail9not_fun_tIN6dUtils10isMinusOneIiEEEES9_NSC_11use_defaultESK_EENS0_5tupleIJS9_S6_EEENSM_IJSA_SA_EEES6_PlJS6_EEE10hipError_tPvRmT3_T4_T5_T6_T7_T9_mT8_P12ihipStream_tbDpT10_ENKUlT_T0_E_clISt17integral_constantIbLb1EES18_IbLb0EEEEDaS14_S15_EUlS14_E_NS1_11comp_targetILNS1_3genE2ELNS1_11target_archE906ELNS1_3gpuE6ELNS1_3repE0EEENS1_30default_config_static_selectorELNS0_4arch9wavefront6targetE1EEEvT1_, .Lfunc_end239-_ZN7rocprim17ROCPRIM_400000_NS6detail17trampoline_kernelINS0_14default_configENS1_25partition_config_selectorILNS1_17partition_subalgoE5EiNS0_10empty_typeEbEEZZNS1_14partition_implILS5_5ELb0ES3_mPiPS6_N6thrust23THRUST_200600_302600_NS18transform_iteratorINSC_6detail9not_fun_tIN6dUtils10isMinusOneIiEEEES9_NSC_11use_defaultESK_EENS0_5tupleIJS9_S6_EEENSM_IJSA_SA_EEES6_PlJS6_EEE10hipError_tPvRmT3_T4_T5_T6_T7_T9_mT8_P12ihipStream_tbDpT10_ENKUlT_T0_E_clISt17integral_constantIbLb1EES18_IbLb0EEEEDaS14_S15_EUlS14_E_NS1_11comp_targetILNS1_3genE2ELNS1_11target_archE906ELNS1_3gpuE6ELNS1_3repE0EEENS1_30default_config_static_selectorELNS0_4arch9wavefront6targetE1EEEvT1_
                                        ; -- End function
	.section	.AMDGPU.csdata,"",@progbits
; Kernel info:
; codeLenInByte = 0
; NumSgprs: 4
; NumVgprs: 0
; NumAgprs: 0
; TotalNumVgprs: 0
; ScratchSize: 0
; MemoryBound: 0
; FloatMode: 240
; IeeeMode: 1
; LDSByteSize: 0 bytes/workgroup (compile time only)
; SGPRBlocks: 0
; VGPRBlocks: 0
; NumSGPRsForWavesPerEU: 4
; NumVGPRsForWavesPerEU: 1
; AccumOffset: 4
; Occupancy: 8
; WaveLimiterHint : 0
; COMPUTE_PGM_RSRC2:SCRATCH_EN: 0
; COMPUTE_PGM_RSRC2:USER_SGPR: 6
; COMPUTE_PGM_RSRC2:TRAP_HANDLER: 0
; COMPUTE_PGM_RSRC2:TGID_X_EN: 1
; COMPUTE_PGM_RSRC2:TGID_Y_EN: 0
; COMPUTE_PGM_RSRC2:TGID_Z_EN: 0
; COMPUTE_PGM_RSRC2:TIDIG_COMP_CNT: 0
; COMPUTE_PGM_RSRC3_GFX90A:ACCUM_OFFSET: 0
; COMPUTE_PGM_RSRC3_GFX90A:TG_SPLIT: 0
	.section	.text._ZN7rocprim17ROCPRIM_400000_NS6detail17trampoline_kernelINS0_14default_configENS1_25partition_config_selectorILNS1_17partition_subalgoE5EiNS0_10empty_typeEbEEZZNS1_14partition_implILS5_5ELb0ES3_mPiPS6_N6thrust23THRUST_200600_302600_NS18transform_iteratorINSC_6detail9not_fun_tIN6dUtils10isMinusOneIiEEEES9_NSC_11use_defaultESK_EENS0_5tupleIJS9_S6_EEENSM_IJSA_SA_EEES6_PlJS6_EEE10hipError_tPvRmT3_T4_T5_T6_T7_T9_mT8_P12ihipStream_tbDpT10_ENKUlT_T0_E_clISt17integral_constantIbLb1EES18_IbLb0EEEEDaS14_S15_EUlS14_E_NS1_11comp_targetILNS1_3genE10ELNS1_11target_archE1200ELNS1_3gpuE4ELNS1_3repE0EEENS1_30default_config_static_selectorELNS0_4arch9wavefront6targetE1EEEvT1_,"axG",@progbits,_ZN7rocprim17ROCPRIM_400000_NS6detail17trampoline_kernelINS0_14default_configENS1_25partition_config_selectorILNS1_17partition_subalgoE5EiNS0_10empty_typeEbEEZZNS1_14partition_implILS5_5ELb0ES3_mPiPS6_N6thrust23THRUST_200600_302600_NS18transform_iteratorINSC_6detail9not_fun_tIN6dUtils10isMinusOneIiEEEES9_NSC_11use_defaultESK_EENS0_5tupleIJS9_S6_EEENSM_IJSA_SA_EEES6_PlJS6_EEE10hipError_tPvRmT3_T4_T5_T6_T7_T9_mT8_P12ihipStream_tbDpT10_ENKUlT_T0_E_clISt17integral_constantIbLb1EES18_IbLb0EEEEDaS14_S15_EUlS14_E_NS1_11comp_targetILNS1_3genE10ELNS1_11target_archE1200ELNS1_3gpuE4ELNS1_3repE0EEENS1_30default_config_static_selectorELNS0_4arch9wavefront6targetE1EEEvT1_,comdat
	.protected	_ZN7rocprim17ROCPRIM_400000_NS6detail17trampoline_kernelINS0_14default_configENS1_25partition_config_selectorILNS1_17partition_subalgoE5EiNS0_10empty_typeEbEEZZNS1_14partition_implILS5_5ELb0ES3_mPiPS6_N6thrust23THRUST_200600_302600_NS18transform_iteratorINSC_6detail9not_fun_tIN6dUtils10isMinusOneIiEEEES9_NSC_11use_defaultESK_EENS0_5tupleIJS9_S6_EEENSM_IJSA_SA_EEES6_PlJS6_EEE10hipError_tPvRmT3_T4_T5_T6_T7_T9_mT8_P12ihipStream_tbDpT10_ENKUlT_T0_E_clISt17integral_constantIbLb1EES18_IbLb0EEEEDaS14_S15_EUlS14_E_NS1_11comp_targetILNS1_3genE10ELNS1_11target_archE1200ELNS1_3gpuE4ELNS1_3repE0EEENS1_30default_config_static_selectorELNS0_4arch9wavefront6targetE1EEEvT1_ ; -- Begin function _ZN7rocprim17ROCPRIM_400000_NS6detail17trampoline_kernelINS0_14default_configENS1_25partition_config_selectorILNS1_17partition_subalgoE5EiNS0_10empty_typeEbEEZZNS1_14partition_implILS5_5ELb0ES3_mPiPS6_N6thrust23THRUST_200600_302600_NS18transform_iteratorINSC_6detail9not_fun_tIN6dUtils10isMinusOneIiEEEES9_NSC_11use_defaultESK_EENS0_5tupleIJS9_S6_EEENSM_IJSA_SA_EEES6_PlJS6_EEE10hipError_tPvRmT3_T4_T5_T6_T7_T9_mT8_P12ihipStream_tbDpT10_ENKUlT_T0_E_clISt17integral_constantIbLb1EES18_IbLb0EEEEDaS14_S15_EUlS14_E_NS1_11comp_targetILNS1_3genE10ELNS1_11target_archE1200ELNS1_3gpuE4ELNS1_3repE0EEENS1_30default_config_static_selectorELNS0_4arch9wavefront6targetE1EEEvT1_
	.globl	_ZN7rocprim17ROCPRIM_400000_NS6detail17trampoline_kernelINS0_14default_configENS1_25partition_config_selectorILNS1_17partition_subalgoE5EiNS0_10empty_typeEbEEZZNS1_14partition_implILS5_5ELb0ES3_mPiPS6_N6thrust23THRUST_200600_302600_NS18transform_iteratorINSC_6detail9not_fun_tIN6dUtils10isMinusOneIiEEEES9_NSC_11use_defaultESK_EENS0_5tupleIJS9_S6_EEENSM_IJSA_SA_EEES6_PlJS6_EEE10hipError_tPvRmT3_T4_T5_T6_T7_T9_mT8_P12ihipStream_tbDpT10_ENKUlT_T0_E_clISt17integral_constantIbLb1EES18_IbLb0EEEEDaS14_S15_EUlS14_E_NS1_11comp_targetILNS1_3genE10ELNS1_11target_archE1200ELNS1_3gpuE4ELNS1_3repE0EEENS1_30default_config_static_selectorELNS0_4arch9wavefront6targetE1EEEvT1_
	.p2align	8
	.type	_ZN7rocprim17ROCPRIM_400000_NS6detail17trampoline_kernelINS0_14default_configENS1_25partition_config_selectorILNS1_17partition_subalgoE5EiNS0_10empty_typeEbEEZZNS1_14partition_implILS5_5ELb0ES3_mPiPS6_N6thrust23THRUST_200600_302600_NS18transform_iteratorINSC_6detail9not_fun_tIN6dUtils10isMinusOneIiEEEES9_NSC_11use_defaultESK_EENS0_5tupleIJS9_S6_EEENSM_IJSA_SA_EEES6_PlJS6_EEE10hipError_tPvRmT3_T4_T5_T6_T7_T9_mT8_P12ihipStream_tbDpT10_ENKUlT_T0_E_clISt17integral_constantIbLb1EES18_IbLb0EEEEDaS14_S15_EUlS14_E_NS1_11comp_targetILNS1_3genE10ELNS1_11target_archE1200ELNS1_3gpuE4ELNS1_3repE0EEENS1_30default_config_static_selectorELNS0_4arch9wavefront6targetE1EEEvT1_,@function
_ZN7rocprim17ROCPRIM_400000_NS6detail17trampoline_kernelINS0_14default_configENS1_25partition_config_selectorILNS1_17partition_subalgoE5EiNS0_10empty_typeEbEEZZNS1_14partition_implILS5_5ELb0ES3_mPiPS6_N6thrust23THRUST_200600_302600_NS18transform_iteratorINSC_6detail9not_fun_tIN6dUtils10isMinusOneIiEEEES9_NSC_11use_defaultESK_EENS0_5tupleIJS9_S6_EEENSM_IJSA_SA_EEES6_PlJS6_EEE10hipError_tPvRmT3_T4_T5_T6_T7_T9_mT8_P12ihipStream_tbDpT10_ENKUlT_T0_E_clISt17integral_constantIbLb1EES18_IbLb0EEEEDaS14_S15_EUlS14_E_NS1_11comp_targetILNS1_3genE10ELNS1_11target_archE1200ELNS1_3gpuE4ELNS1_3repE0EEENS1_30default_config_static_selectorELNS0_4arch9wavefront6targetE1EEEvT1_: ; @_ZN7rocprim17ROCPRIM_400000_NS6detail17trampoline_kernelINS0_14default_configENS1_25partition_config_selectorILNS1_17partition_subalgoE5EiNS0_10empty_typeEbEEZZNS1_14partition_implILS5_5ELb0ES3_mPiPS6_N6thrust23THRUST_200600_302600_NS18transform_iteratorINSC_6detail9not_fun_tIN6dUtils10isMinusOneIiEEEES9_NSC_11use_defaultESK_EENS0_5tupleIJS9_S6_EEENSM_IJSA_SA_EEES6_PlJS6_EEE10hipError_tPvRmT3_T4_T5_T6_T7_T9_mT8_P12ihipStream_tbDpT10_ENKUlT_T0_E_clISt17integral_constantIbLb1EES18_IbLb0EEEEDaS14_S15_EUlS14_E_NS1_11comp_targetILNS1_3genE10ELNS1_11target_archE1200ELNS1_3gpuE4ELNS1_3repE0EEENS1_30default_config_static_selectorELNS0_4arch9wavefront6targetE1EEEvT1_
; %bb.0:
	.section	.rodata,"a",@progbits
	.p2align	6, 0x0
	.amdhsa_kernel _ZN7rocprim17ROCPRIM_400000_NS6detail17trampoline_kernelINS0_14default_configENS1_25partition_config_selectorILNS1_17partition_subalgoE5EiNS0_10empty_typeEbEEZZNS1_14partition_implILS5_5ELb0ES3_mPiPS6_N6thrust23THRUST_200600_302600_NS18transform_iteratorINSC_6detail9not_fun_tIN6dUtils10isMinusOneIiEEEES9_NSC_11use_defaultESK_EENS0_5tupleIJS9_S6_EEENSM_IJSA_SA_EEES6_PlJS6_EEE10hipError_tPvRmT3_T4_T5_T6_T7_T9_mT8_P12ihipStream_tbDpT10_ENKUlT_T0_E_clISt17integral_constantIbLb1EES18_IbLb0EEEEDaS14_S15_EUlS14_E_NS1_11comp_targetILNS1_3genE10ELNS1_11target_archE1200ELNS1_3gpuE4ELNS1_3repE0EEENS1_30default_config_static_selectorELNS0_4arch9wavefront6targetE1EEEvT1_
		.amdhsa_group_segment_fixed_size 0
		.amdhsa_private_segment_fixed_size 0
		.amdhsa_kernarg_size 120
		.amdhsa_user_sgpr_count 6
		.amdhsa_user_sgpr_private_segment_buffer 1
		.amdhsa_user_sgpr_dispatch_ptr 0
		.amdhsa_user_sgpr_queue_ptr 0
		.amdhsa_user_sgpr_kernarg_segment_ptr 1
		.amdhsa_user_sgpr_dispatch_id 0
		.amdhsa_user_sgpr_flat_scratch_init 0
		.amdhsa_user_sgpr_kernarg_preload_length 0
		.amdhsa_user_sgpr_kernarg_preload_offset 0
		.amdhsa_user_sgpr_private_segment_size 0
		.amdhsa_uses_dynamic_stack 0
		.amdhsa_system_sgpr_private_segment_wavefront_offset 0
		.amdhsa_system_sgpr_workgroup_id_x 1
		.amdhsa_system_sgpr_workgroup_id_y 0
		.amdhsa_system_sgpr_workgroup_id_z 0
		.amdhsa_system_sgpr_workgroup_info 0
		.amdhsa_system_vgpr_workitem_id 0
		.amdhsa_next_free_vgpr 1
		.amdhsa_next_free_sgpr 0
		.amdhsa_accum_offset 4
		.amdhsa_reserve_vcc 0
		.amdhsa_reserve_flat_scratch 0
		.amdhsa_float_round_mode_32 0
		.amdhsa_float_round_mode_16_64 0
		.amdhsa_float_denorm_mode_32 3
		.amdhsa_float_denorm_mode_16_64 3
		.amdhsa_dx10_clamp 1
		.amdhsa_ieee_mode 1
		.amdhsa_fp16_overflow 0
		.amdhsa_tg_split 0
		.amdhsa_exception_fp_ieee_invalid_op 0
		.amdhsa_exception_fp_denorm_src 0
		.amdhsa_exception_fp_ieee_div_zero 0
		.amdhsa_exception_fp_ieee_overflow 0
		.amdhsa_exception_fp_ieee_underflow 0
		.amdhsa_exception_fp_ieee_inexact 0
		.amdhsa_exception_int_div_zero 0
	.end_amdhsa_kernel
	.section	.text._ZN7rocprim17ROCPRIM_400000_NS6detail17trampoline_kernelINS0_14default_configENS1_25partition_config_selectorILNS1_17partition_subalgoE5EiNS0_10empty_typeEbEEZZNS1_14partition_implILS5_5ELb0ES3_mPiPS6_N6thrust23THRUST_200600_302600_NS18transform_iteratorINSC_6detail9not_fun_tIN6dUtils10isMinusOneIiEEEES9_NSC_11use_defaultESK_EENS0_5tupleIJS9_S6_EEENSM_IJSA_SA_EEES6_PlJS6_EEE10hipError_tPvRmT3_T4_T5_T6_T7_T9_mT8_P12ihipStream_tbDpT10_ENKUlT_T0_E_clISt17integral_constantIbLb1EES18_IbLb0EEEEDaS14_S15_EUlS14_E_NS1_11comp_targetILNS1_3genE10ELNS1_11target_archE1200ELNS1_3gpuE4ELNS1_3repE0EEENS1_30default_config_static_selectorELNS0_4arch9wavefront6targetE1EEEvT1_,"axG",@progbits,_ZN7rocprim17ROCPRIM_400000_NS6detail17trampoline_kernelINS0_14default_configENS1_25partition_config_selectorILNS1_17partition_subalgoE5EiNS0_10empty_typeEbEEZZNS1_14partition_implILS5_5ELb0ES3_mPiPS6_N6thrust23THRUST_200600_302600_NS18transform_iteratorINSC_6detail9not_fun_tIN6dUtils10isMinusOneIiEEEES9_NSC_11use_defaultESK_EENS0_5tupleIJS9_S6_EEENSM_IJSA_SA_EEES6_PlJS6_EEE10hipError_tPvRmT3_T4_T5_T6_T7_T9_mT8_P12ihipStream_tbDpT10_ENKUlT_T0_E_clISt17integral_constantIbLb1EES18_IbLb0EEEEDaS14_S15_EUlS14_E_NS1_11comp_targetILNS1_3genE10ELNS1_11target_archE1200ELNS1_3gpuE4ELNS1_3repE0EEENS1_30default_config_static_selectorELNS0_4arch9wavefront6targetE1EEEvT1_,comdat
.Lfunc_end240:
	.size	_ZN7rocprim17ROCPRIM_400000_NS6detail17trampoline_kernelINS0_14default_configENS1_25partition_config_selectorILNS1_17partition_subalgoE5EiNS0_10empty_typeEbEEZZNS1_14partition_implILS5_5ELb0ES3_mPiPS6_N6thrust23THRUST_200600_302600_NS18transform_iteratorINSC_6detail9not_fun_tIN6dUtils10isMinusOneIiEEEES9_NSC_11use_defaultESK_EENS0_5tupleIJS9_S6_EEENSM_IJSA_SA_EEES6_PlJS6_EEE10hipError_tPvRmT3_T4_T5_T6_T7_T9_mT8_P12ihipStream_tbDpT10_ENKUlT_T0_E_clISt17integral_constantIbLb1EES18_IbLb0EEEEDaS14_S15_EUlS14_E_NS1_11comp_targetILNS1_3genE10ELNS1_11target_archE1200ELNS1_3gpuE4ELNS1_3repE0EEENS1_30default_config_static_selectorELNS0_4arch9wavefront6targetE1EEEvT1_, .Lfunc_end240-_ZN7rocprim17ROCPRIM_400000_NS6detail17trampoline_kernelINS0_14default_configENS1_25partition_config_selectorILNS1_17partition_subalgoE5EiNS0_10empty_typeEbEEZZNS1_14partition_implILS5_5ELb0ES3_mPiPS6_N6thrust23THRUST_200600_302600_NS18transform_iteratorINSC_6detail9not_fun_tIN6dUtils10isMinusOneIiEEEES9_NSC_11use_defaultESK_EENS0_5tupleIJS9_S6_EEENSM_IJSA_SA_EEES6_PlJS6_EEE10hipError_tPvRmT3_T4_T5_T6_T7_T9_mT8_P12ihipStream_tbDpT10_ENKUlT_T0_E_clISt17integral_constantIbLb1EES18_IbLb0EEEEDaS14_S15_EUlS14_E_NS1_11comp_targetILNS1_3genE10ELNS1_11target_archE1200ELNS1_3gpuE4ELNS1_3repE0EEENS1_30default_config_static_selectorELNS0_4arch9wavefront6targetE1EEEvT1_
                                        ; -- End function
	.section	.AMDGPU.csdata,"",@progbits
; Kernel info:
; codeLenInByte = 0
; NumSgprs: 4
; NumVgprs: 0
; NumAgprs: 0
; TotalNumVgprs: 0
; ScratchSize: 0
; MemoryBound: 0
; FloatMode: 240
; IeeeMode: 1
; LDSByteSize: 0 bytes/workgroup (compile time only)
; SGPRBlocks: 0
; VGPRBlocks: 0
; NumSGPRsForWavesPerEU: 4
; NumVGPRsForWavesPerEU: 1
; AccumOffset: 4
; Occupancy: 8
; WaveLimiterHint : 0
; COMPUTE_PGM_RSRC2:SCRATCH_EN: 0
; COMPUTE_PGM_RSRC2:USER_SGPR: 6
; COMPUTE_PGM_RSRC2:TRAP_HANDLER: 0
; COMPUTE_PGM_RSRC2:TGID_X_EN: 1
; COMPUTE_PGM_RSRC2:TGID_Y_EN: 0
; COMPUTE_PGM_RSRC2:TGID_Z_EN: 0
; COMPUTE_PGM_RSRC2:TIDIG_COMP_CNT: 0
; COMPUTE_PGM_RSRC3_GFX90A:ACCUM_OFFSET: 0
; COMPUTE_PGM_RSRC3_GFX90A:TG_SPLIT: 0
	.section	.text._ZN7rocprim17ROCPRIM_400000_NS6detail17trampoline_kernelINS0_14default_configENS1_25partition_config_selectorILNS1_17partition_subalgoE5EiNS0_10empty_typeEbEEZZNS1_14partition_implILS5_5ELb0ES3_mPiPS6_N6thrust23THRUST_200600_302600_NS18transform_iteratorINSC_6detail9not_fun_tIN6dUtils10isMinusOneIiEEEES9_NSC_11use_defaultESK_EENS0_5tupleIJS9_S6_EEENSM_IJSA_SA_EEES6_PlJS6_EEE10hipError_tPvRmT3_T4_T5_T6_T7_T9_mT8_P12ihipStream_tbDpT10_ENKUlT_T0_E_clISt17integral_constantIbLb1EES18_IbLb0EEEEDaS14_S15_EUlS14_E_NS1_11comp_targetILNS1_3genE9ELNS1_11target_archE1100ELNS1_3gpuE3ELNS1_3repE0EEENS1_30default_config_static_selectorELNS0_4arch9wavefront6targetE1EEEvT1_,"axG",@progbits,_ZN7rocprim17ROCPRIM_400000_NS6detail17trampoline_kernelINS0_14default_configENS1_25partition_config_selectorILNS1_17partition_subalgoE5EiNS0_10empty_typeEbEEZZNS1_14partition_implILS5_5ELb0ES3_mPiPS6_N6thrust23THRUST_200600_302600_NS18transform_iteratorINSC_6detail9not_fun_tIN6dUtils10isMinusOneIiEEEES9_NSC_11use_defaultESK_EENS0_5tupleIJS9_S6_EEENSM_IJSA_SA_EEES6_PlJS6_EEE10hipError_tPvRmT3_T4_T5_T6_T7_T9_mT8_P12ihipStream_tbDpT10_ENKUlT_T0_E_clISt17integral_constantIbLb1EES18_IbLb0EEEEDaS14_S15_EUlS14_E_NS1_11comp_targetILNS1_3genE9ELNS1_11target_archE1100ELNS1_3gpuE3ELNS1_3repE0EEENS1_30default_config_static_selectorELNS0_4arch9wavefront6targetE1EEEvT1_,comdat
	.protected	_ZN7rocprim17ROCPRIM_400000_NS6detail17trampoline_kernelINS0_14default_configENS1_25partition_config_selectorILNS1_17partition_subalgoE5EiNS0_10empty_typeEbEEZZNS1_14partition_implILS5_5ELb0ES3_mPiPS6_N6thrust23THRUST_200600_302600_NS18transform_iteratorINSC_6detail9not_fun_tIN6dUtils10isMinusOneIiEEEES9_NSC_11use_defaultESK_EENS0_5tupleIJS9_S6_EEENSM_IJSA_SA_EEES6_PlJS6_EEE10hipError_tPvRmT3_T4_T5_T6_T7_T9_mT8_P12ihipStream_tbDpT10_ENKUlT_T0_E_clISt17integral_constantIbLb1EES18_IbLb0EEEEDaS14_S15_EUlS14_E_NS1_11comp_targetILNS1_3genE9ELNS1_11target_archE1100ELNS1_3gpuE3ELNS1_3repE0EEENS1_30default_config_static_selectorELNS0_4arch9wavefront6targetE1EEEvT1_ ; -- Begin function _ZN7rocprim17ROCPRIM_400000_NS6detail17trampoline_kernelINS0_14default_configENS1_25partition_config_selectorILNS1_17partition_subalgoE5EiNS0_10empty_typeEbEEZZNS1_14partition_implILS5_5ELb0ES3_mPiPS6_N6thrust23THRUST_200600_302600_NS18transform_iteratorINSC_6detail9not_fun_tIN6dUtils10isMinusOneIiEEEES9_NSC_11use_defaultESK_EENS0_5tupleIJS9_S6_EEENSM_IJSA_SA_EEES6_PlJS6_EEE10hipError_tPvRmT3_T4_T5_T6_T7_T9_mT8_P12ihipStream_tbDpT10_ENKUlT_T0_E_clISt17integral_constantIbLb1EES18_IbLb0EEEEDaS14_S15_EUlS14_E_NS1_11comp_targetILNS1_3genE9ELNS1_11target_archE1100ELNS1_3gpuE3ELNS1_3repE0EEENS1_30default_config_static_selectorELNS0_4arch9wavefront6targetE1EEEvT1_
	.globl	_ZN7rocprim17ROCPRIM_400000_NS6detail17trampoline_kernelINS0_14default_configENS1_25partition_config_selectorILNS1_17partition_subalgoE5EiNS0_10empty_typeEbEEZZNS1_14partition_implILS5_5ELb0ES3_mPiPS6_N6thrust23THRUST_200600_302600_NS18transform_iteratorINSC_6detail9not_fun_tIN6dUtils10isMinusOneIiEEEES9_NSC_11use_defaultESK_EENS0_5tupleIJS9_S6_EEENSM_IJSA_SA_EEES6_PlJS6_EEE10hipError_tPvRmT3_T4_T5_T6_T7_T9_mT8_P12ihipStream_tbDpT10_ENKUlT_T0_E_clISt17integral_constantIbLb1EES18_IbLb0EEEEDaS14_S15_EUlS14_E_NS1_11comp_targetILNS1_3genE9ELNS1_11target_archE1100ELNS1_3gpuE3ELNS1_3repE0EEENS1_30default_config_static_selectorELNS0_4arch9wavefront6targetE1EEEvT1_
	.p2align	8
	.type	_ZN7rocprim17ROCPRIM_400000_NS6detail17trampoline_kernelINS0_14default_configENS1_25partition_config_selectorILNS1_17partition_subalgoE5EiNS0_10empty_typeEbEEZZNS1_14partition_implILS5_5ELb0ES3_mPiPS6_N6thrust23THRUST_200600_302600_NS18transform_iteratorINSC_6detail9not_fun_tIN6dUtils10isMinusOneIiEEEES9_NSC_11use_defaultESK_EENS0_5tupleIJS9_S6_EEENSM_IJSA_SA_EEES6_PlJS6_EEE10hipError_tPvRmT3_T4_T5_T6_T7_T9_mT8_P12ihipStream_tbDpT10_ENKUlT_T0_E_clISt17integral_constantIbLb1EES18_IbLb0EEEEDaS14_S15_EUlS14_E_NS1_11comp_targetILNS1_3genE9ELNS1_11target_archE1100ELNS1_3gpuE3ELNS1_3repE0EEENS1_30default_config_static_selectorELNS0_4arch9wavefront6targetE1EEEvT1_,@function
_ZN7rocprim17ROCPRIM_400000_NS6detail17trampoline_kernelINS0_14default_configENS1_25partition_config_selectorILNS1_17partition_subalgoE5EiNS0_10empty_typeEbEEZZNS1_14partition_implILS5_5ELb0ES3_mPiPS6_N6thrust23THRUST_200600_302600_NS18transform_iteratorINSC_6detail9not_fun_tIN6dUtils10isMinusOneIiEEEES9_NSC_11use_defaultESK_EENS0_5tupleIJS9_S6_EEENSM_IJSA_SA_EEES6_PlJS6_EEE10hipError_tPvRmT3_T4_T5_T6_T7_T9_mT8_P12ihipStream_tbDpT10_ENKUlT_T0_E_clISt17integral_constantIbLb1EES18_IbLb0EEEEDaS14_S15_EUlS14_E_NS1_11comp_targetILNS1_3genE9ELNS1_11target_archE1100ELNS1_3gpuE3ELNS1_3repE0EEENS1_30default_config_static_selectorELNS0_4arch9wavefront6targetE1EEEvT1_: ; @_ZN7rocprim17ROCPRIM_400000_NS6detail17trampoline_kernelINS0_14default_configENS1_25partition_config_selectorILNS1_17partition_subalgoE5EiNS0_10empty_typeEbEEZZNS1_14partition_implILS5_5ELb0ES3_mPiPS6_N6thrust23THRUST_200600_302600_NS18transform_iteratorINSC_6detail9not_fun_tIN6dUtils10isMinusOneIiEEEES9_NSC_11use_defaultESK_EENS0_5tupleIJS9_S6_EEENSM_IJSA_SA_EEES6_PlJS6_EEE10hipError_tPvRmT3_T4_T5_T6_T7_T9_mT8_P12ihipStream_tbDpT10_ENKUlT_T0_E_clISt17integral_constantIbLb1EES18_IbLb0EEEEDaS14_S15_EUlS14_E_NS1_11comp_targetILNS1_3genE9ELNS1_11target_archE1100ELNS1_3gpuE3ELNS1_3repE0EEENS1_30default_config_static_selectorELNS0_4arch9wavefront6targetE1EEEvT1_
; %bb.0:
	.section	.rodata,"a",@progbits
	.p2align	6, 0x0
	.amdhsa_kernel _ZN7rocprim17ROCPRIM_400000_NS6detail17trampoline_kernelINS0_14default_configENS1_25partition_config_selectorILNS1_17partition_subalgoE5EiNS0_10empty_typeEbEEZZNS1_14partition_implILS5_5ELb0ES3_mPiPS6_N6thrust23THRUST_200600_302600_NS18transform_iteratorINSC_6detail9not_fun_tIN6dUtils10isMinusOneIiEEEES9_NSC_11use_defaultESK_EENS0_5tupleIJS9_S6_EEENSM_IJSA_SA_EEES6_PlJS6_EEE10hipError_tPvRmT3_T4_T5_T6_T7_T9_mT8_P12ihipStream_tbDpT10_ENKUlT_T0_E_clISt17integral_constantIbLb1EES18_IbLb0EEEEDaS14_S15_EUlS14_E_NS1_11comp_targetILNS1_3genE9ELNS1_11target_archE1100ELNS1_3gpuE3ELNS1_3repE0EEENS1_30default_config_static_selectorELNS0_4arch9wavefront6targetE1EEEvT1_
		.amdhsa_group_segment_fixed_size 0
		.amdhsa_private_segment_fixed_size 0
		.amdhsa_kernarg_size 120
		.amdhsa_user_sgpr_count 6
		.amdhsa_user_sgpr_private_segment_buffer 1
		.amdhsa_user_sgpr_dispatch_ptr 0
		.amdhsa_user_sgpr_queue_ptr 0
		.amdhsa_user_sgpr_kernarg_segment_ptr 1
		.amdhsa_user_sgpr_dispatch_id 0
		.amdhsa_user_sgpr_flat_scratch_init 0
		.amdhsa_user_sgpr_kernarg_preload_length 0
		.amdhsa_user_sgpr_kernarg_preload_offset 0
		.amdhsa_user_sgpr_private_segment_size 0
		.amdhsa_uses_dynamic_stack 0
		.amdhsa_system_sgpr_private_segment_wavefront_offset 0
		.amdhsa_system_sgpr_workgroup_id_x 1
		.amdhsa_system_sgpr_workgroup_id_y 0
		.amdhsa_system_sgpr_workgroup_id_z 0
		.amdhsa_system_sgpr_workgroup_info 0
		.amdhsa_system_vgpr_workitem_id 0
		.amdhsa_next_free_vgpr 1
		.amdhsa_next_free_sgpr 0
		.amdhsa_accum_offset 4
		.amdhsa_reserve_vcc 0
		.amdhsa_reserve_flat_scratch 0
		.amdhsa_float_round_mode_32 0
		.amdhsa_float_round_mode_16_64 0
		.amdhsa_float_denorm_mode_32 3
		.amdhsa_float_denorm_mode_16_64 3
		.amdhsa_dx10_clamp 1
		.amdhsa_ieee_mode 1
		.amdhsa_fp16_overflow 0
		.amdhsa_tg_split 0
		.amdhsa_exception_fp_ieee_invalid_op 0
		.amdhsa_exception_fp_denorm_src 0
		.amdhsa_exception_fp_ieee_div_zero 0
		.amdhsa_exception_fp_ieee_overflow 0
		.amdhsa_exception_fp_ieee_underflow 0
		.amdhsa_exception_fp_ieee_inexact 0
		.amdhsa_exception_int_div_zero 0
	.end_amdhsa_kernel
	.section	.text._ZN7rocprim17ROCPRIM_400000_NS6detail17trampoline_kernelINS0_14default_configENS1_25partition_config_selectorILNS1_17partition_subalgoE5EiNS0_10empty_typeEbEEZZNS1_14partition_implILS5_5ELb0ES3_mPiPS6_N6thrust23THRUST_200600_302600_NS18transform_iteratorINSC_6detail9not_fun_tIN6dUtils10isMinusOneIiEEEES9_NSC_11use_defaultESK_EENS0_5tupleIJS9_S6_EEENSM_IJSA_SA_EEES6_PlJS6_EEE10hipError_tPvRmT3_T4_T5_T6_T7_T9_mT8_P12ihipStream_tbDpT10_ENKUlT_T0_E_clISt17integral_constantIbLb1EES18_IbLb0EEEEDaS14_S15_EUlS14_E_NS1_11comp_targetILNS1_3genE9ELNS1_11target_archE1100ELNS1_3gpuE3ELNS1_3repE0EEENS1_30default_config_static_selectorELNS0_4arch9wavefront6targetE1EEEvT1_,"axG",@progbits,_ZN7rocprim17ROCPRIM_400000_NS6detail17trampoline_kernelINS0_14default_configENS1_25partition_config_selectorILNS1_17partition_subalgoE5EiNS0_10empty_typeEbEEZZNS1_14partition_implILS5_5ELb0ES3_mPiPS6_N6thrust23THRUST_200600_302600_NS18transform_iteratorINSC_6detail9not_fun_tIN6dUtils10isMinusOneIiEEEES9_NSC_11use_defaultESK_EENS0_5tupleIJS9_S6_EEENSM_IJSA_SA_EEES6_PlJS6_EEE10hipError_tPvRmT3_T4_T5_T6_T7_T9_mT8_P12ihipStream_tbDpT10_ENKUlT_T0_E_clISt17integral_constantIbLb1EES18_IbLb0EEEEDaS14_S15_EUlS14_E_NS1_11comp_targetILNS1_3genE9ELNS1_11target_archE1100ELNS1_3gpuE3ELNS1_3repE0EEENS1_30default_config_static_selectorELNS0_4arch9wavefront6targetE1EEEvT1_,comdat
.Lfunc_end241:
	.size	_ZN7rocprim17ROCPRIM_400000_NS6detail17trampoline_kernelINS0_14default_configENS1_25partition_config_selectorILNS1_17partition_subalgoE5EiNS0_10empty_typeEbEEZZNS1_14partition_implILS5_5ELb0ES3_mPiPS6_N6thrust23THRUST_200600_302600_NS18transform_iteratorINSC_6detail9not_fun_tIN6dUtils10isMinusOneIiEEEES9_NSC_11use_defaultESK_EENS0_5tupleIJS9_S6_EEENSM_IJSA_SA_EEES6_PlJS6_EEE10hipError_tPvRmT3_T4_T5_T6_T7_T9_mT8_P12ihipStream_tbDpT10_ENKUlT_T0_E_clISt17integral_constantIbLb1EES18_IbLb0EEEEDaS14_S15_EUlS14_E_NS1_11comp_targetILNS1_3genE9ELNS1_11target_archE1100ELNS1_3gpuE3ELNS1_3repE0EEENS1_30default_config_static_selectorELNS0_4arch9wavefront6targetE1EEEvT1_, .Lfunc_end241-_ZN7rocprim17ROCPRIM_400000_NS6detail17trampoline_kernelINS0_14default_configENS1_25partition_config_selectorILNS1_17partition_subalgoE5EiNS0_10empty_typeEbEEZZNS1_14partition_implILS5_5ELb0ES3_mPiPS6_N6thrust23THRUST_200600_302600_NS18transform_iteratorINSC_6detail9not_fun_tIN6dUtils10isMinusOneIiEEEES9_NSC_11use_defaultESK_EENS0_5tupleIJS9_S6_EEENSM_IJSA_SA_EEES6_PlJS6_EEE10hipError_tPvRmT3_T4_T5_T6_T7_T9_mT8_P12ihipStream_tbDpT10_ENKUlT_T0_E_clISt17integral_constantIbLb1EES18_IbLb0EEEEDaS14_S15_EUlS14_E_NS1_11comp_targetILNS1_3genE9ELNS1_11target_archE1100ELNS1_3gpuE3ELNS1_3repE0EEENS1_30default_config_static_selectorELNS0_4arch9wavefront6targetE1EEEvT1_
                                        ; -- End function
	.section	.AMDGPU.csdata,"",@progbits
; Kernel info:
; codeLenInByte = 0
; NumSgprs: 4
; NumVgprs: 0
; NumAgprs: 0
; TotalNumVgprs: 0
; ScratchSize: 0
; MemoryBound: 0
; FloatMode: 240
; IeeeMode: 1
; LDSByteSize: 0 bytes/workgroup (compile time only)
; SGPRBlocks: 0
; VGPRBlocks: 0
; NumSGPRsForWavesPerEU: 4
; NumVGPRsForWavesPerEU: 1
; AccumOffset: 4
; Occupancy: 8
; WaveLimiterHint : 0
; COMPUTE_PGM_RSRC2:SCRATCH_EN: 0
; COMPUTE_PGM_RSRC2:USER_SGPR: 6
; COMPUTE_PGM_RSRC2:TRAP_HANDLER: 0
; COMPUTE_PGM_RSRC2:TGID_X_EN: 1
; COMPUTE_PGM_RSRC2:TGID_Y_EN: 0
; COMPUTE_PGM_RSRC2:TGID_Z_EN: 0
; COMPUTE_PGM_RSRC2:TIDIG_COMP_CNT: 0
; COMPUTE_PGM_RSRC3_GFX90A:ACCUM_OFFSET: 0
; COMPUTE_PGM_RSRC3_GFX90A:TG_SPLIT: 0
	.section	.text._ZN7rocprim17ROCPRIM_400000_NS6detail17trampoline_kernelINS0_14default_configENS1_25partition_config_selectorILNS1_17partition_subalgoE5EiNS0_10empty_typeEbEEZZNS1_14partition_implILS5_5ELb0ES3_mPiPS6_N6thrust23THRUST_200600_302600_NS18transform_iteratorINSC_6detail9not_fun_tIN6dUtils10isMinusOneIiEEEES9_NSC_11use_defaultESK_EENS0_5tupleIJS9_S6_EEENSM_IJSA_SA_EEES6_PlJS6_EEE10hipError_tPvRmT3_T4_T5_T6_T7_T9_mT8_P12ihipStream_tbDpT10_ENKUlT_T0_E_clISt17integral_constantIbLb1EES18_IbLb0EEEEDaS14_S15_EUlS14_E_NS1_11comp_targetILNS1_3genE8ELNS1_11target_archE1030ELNS1_3gpuE2ELNS1_3repE0EEENS1_30default_config_static_selectorELNS0_4arch9wavefront6targetE1EEEvT1_,"axG",@progbits,_ZN7rocprim17ROCPRIM_400000_NS6detail17trampoline_kernelINS0_14default_configENS1_25partition_config_selectorILNS1_17partition_subalgoE5EiNS0_10empty_typeEbEEZZNS1_14partition_implILS5_5ELb0ES3_mPiPS6_N6thrust23THRUST_200600_302600_NS18transform_iteratorINSC_6detail9not_fun_tIN6dUtils10isMinusOneIiEEEES9_NSC_11use_defaultESK_EENS0_5tupleIJS9_S6_EEENSM_IJSA_SA_EEES6_PlJS6_EEE10hipError_tPvRmT3_T4_T5_T6_T7_T9_mT8_P12ihipStream_tbDpT10_ENKUlT_T0_E_clISt17integral_constantIbLb1EES18_IbLb0EEEEDaS14_S15_EUlS14_E_NS1_11comp_targetILNS1_3genE8ELNS1_11target_archE1030ELNS1_3gpuE2ELNS1_3repE0EEENS1_30default_config_static_selectorELNS0_4arch9wavefront6targetE1EEEvT1_,comdat
	.protected	_ZN7rocprim17ROCPRIM_400000_NS6detail17trampoline_kernelINS0_14default_configENS1_25partition_config_selectorILNS1_17partition_subalgoE5EiNS0_10empty_typeEbEEZZNS1_14partition_implILS5_5ELb0ES3_mPiPS6_N6thrust23THRUST_200600_302600_NS18transform_iteratorINSC_6detail9not_fun_tIN6dUtils10isMinusOneIiEEEES9_NSC_11use_defaultESK_EENS0_5tupleIJS9_S6_EEENSM_IJSA_SA_EEES6_PlJS6_EEE10hipError_tPvRmT3_T4_T5_T6_T7_T9_mT8_P12ihipStream_tbDpT10_ENKUlT_T0_E_clISt17integral_constantIbLb1EES18_IbLb0EEEEDaS14_S15_EUlS14_E_NS1_11comp_targetILNS1_3genE8ELNS1_11target_archE1030ELNS1_3gpuE2ELNS1_3repE0EEENS1_30default_config_static_selectorELNS0_4arch9wavefront6targetE1EEEvT1_ ; -- Begin function _ZN7rocprim17ROCPRIM_400000_NS6detail17trampoline_kernelINS0_14default_configENS1_25partition_config_selectorILNS1_17partition_subalgoE5EiNS0_10empty_typeEbEEZZNS1_14partition_implILS5_5ELb0ES3_mPiPS6_N6thrust23THRUST_200600_302600_NS18transform_iteratorINSC_6detail9not_fun_tIN6dUtils10isMinusOneIiEEEES9_NSC_11use_defaultESK_EENS0_5tupleIJS9_S6_EEENSM_IJSA_SA_EEES6_PlJS6_EEE10hipError_tPvRmT3_T4_T5_T6_T7_T9_mT8_P12ihipStream_tbDpT10_ENKUlT_T0_E_clISt17integral_constantIbLb1EES18_IbLb0EEEEDaS14_S15_EUlS14_E_NS1_11comp_targetILNS1_3genE8ELNS1_11target_archE1030ELNS1_3gpuE2ELNS1_3repE0EEENS1_30default_config_static_selectorELNS0_4arch9wavefront6targetE1EEEvT1_
	.globl	_ZN7rocprim17ROCPRIM_400000_NS6detail17trampoline_kernelINS0_14default_configENS1_25partition_config_selectorILNS1_17partition_subalgoE5EiNS0_10empty_typeEbEEZZNS1_14partition_implILS5_5ELb0ES3_mPiPS6_N6thrust23THRUST_200600_302600_NS18transform_iteratorINSC_6detail9not_fun_tIN6dUtils10isMinusOneIiEEEES9_NSC_11use_defaultESK_EENS0_5tupleIJS9_S6_EEENSM_IJSA_SA_EEES6_PlJS6_EEE10hipError_tPvRmT3_T4_T5_T6_T7_T9_mT8_P12ihipStream_tbDpT10_ENKUlT_T0_E_clISt17integral_constantIbLb1EES18_IbLb0EEEEDaS14_S15_EUlS14_E_NS1_11comp_targetILNS1_3genE8ELNS1_11target_archE1030ELNS1_3gpuE2ELNS1_3repE0EEENS1_30default_config_static_selectorELNS0_4arch9wavefront6targetE1EEEvT1_
	.p2align	8
	.type	_ZN7rocprim17ROCPRIM_400000_NS6detail17trampoline_kernelINS0_14default_configENS1_25partition_config_selectorILNS1_17partition_subalgoE5EiNS0_10empty_typeEbEEZZNS1_14partition_implILS5_5ELb0ES3_mPiPS6_N6thrust23THRUST_200600_302600_NS18transform_iteratorINSC_6detail9not_fun_tIN6dUtils10isMinusOneIiEEEES9_NSC_11use_defaultESK_EENS0_5tupleIJS9_S6_EEENSM_IJSA_SA_EEES6_PlJS6_EEE10hipError_tPvRmT3_T4_T5_T6_T7_T9_mT8_P12ihipStream_tbDpT10_ENKUlT_T0_E_clISt17integral_constantIbLb1EES18_IbLb0EEEEDaS14_S15_EUlS14_E_NS1_11comp_targetILNS1_3genE8ELNS1_11target_archE1030ELNS1_3gpuE2ELNS1_3repE0EEENS1_30default_config_static_selectorELNS0_4arch9wavefront6targetE1EEEvT1_,@function
_ZN7rocprim17ROCPRIM_400000_NS6detail17trampoline_kernelINS0_14default_configENS1_25partition_config_selectorILNS1_17partition_subalgoE5EiNS0_10empty_typeEbEEZZNS1_14partition_implILS5_5ELb0ES3_mPiPS6_N6thrust23THRUST_200600_302600_NS18transform_iteratorINSC_6detail9not_fun_tIN6dUtils10isMinusOneIiEEEES9_NSC_11use_defaultESK_EENS0_5tupleIJS9_S6_EEENSM_IJSA_SA_EEES6_PlJS6_EEE10hipError_tPvRmT3_T4_T5_T6_T7_T9_mT8_P12ihipStream_tbDpT10_ENKUlT_T0_E_clISt17integral_constantIbLb1EES18_IbLb0EEEEDaS14_S15_EUlS14_E_NS1_11comp_targetILNS1_3genE8ELNS1_11target_archE1030ELNS1_3gpuE2ELNS1_3repE0EEENS1_30default_config_static_selectorELNS0_4arch9wavefront6targetE1EEEvT1_: ; @_ZN7rocprim17ROCPRIM_400000_NS6detail17trampoline_kernelINS0_14default_configENS1_25partition_config_selectorILNS1_17partition_subalgoE5EiNS0_10empty_typeEbEEZZNS1_14partition_implILS5_5ELb0ES3_mPiPS6_N6thrust23THRUST_200600_302600_NS18transform_iteratorINSC_6detail9not_fun_tIN6dUtils10isMinusOneIiEEEES9_NSC_11use_defaultESK_EENS0_5tupleIJS9_S6_EEENSM_IJSA_SA_EEES6_PlJS6_EEE10hipError_tPvRmT3_T4_T5_T6_T7_T9_mT8_P12ihipStream_tbDpT10_ENKUlT_T0_E_clISt17integral_constantIbLb1EES18_IbLb0EEEEDaS14_S15_EUlS14_E_NS1_11comp_targetILNS1_3genE8ELNS1_11target_archE1030ELNS1_3gpuE2ELNS1_3repE0EEENS1_30default_config_static_selectorELNS0_4arch9wavefront6targetE1EEEvT1_
; %bb.0:
	.section	.rodata,"a",@progbits
	.p2align	6, 0x0
	.amdhsa_kernel _ZN7rocprim17ROCPRIM_400000_NS6detail17trampoline_kernelINS0_14default_configENS1_25partition_config_selectorILNS1_17partition_subalgoE5EiNS0_10empty_typeEbEEZZNS1_14partition_implILS5_5ELb0ES3_mPiPS6_N6thrust23THRUST_200600_302600_NS18transform_iteratorINSC_6detail9not_fun_tIN6dUtils10isMinusOneIiEEEES9_NSC_11use_defaultESK_EENS0_5tupleIJS9_S6_EEENSM_IJSA_SA_EEES6_PlJS6_EEE10hipError_tPvRmT3_T4_T5_T6_T7_T9_mT8_P12ihipStream_tbDpT10_ENKUlT_T0_E_clISt17integral_constantIbLb1EES18_IbLb0EEEEDaS14_S15_EUlS14_E_NS1_11comp_targetILNS1_3genE8ELNS1_11target_archE1030ELNS1_3gpuE2ELNS1_3repE0EEENS1_30default_config_static_selectorELNS0_4arch9wavefront6targetE1EEEvT1_
		.amdhsa_group_segment_fixed_size 0
		.amdhsa_private_segment_fixed_size 0
		.amdhsa_kernarg_size 120
		.amdhsa_user_sgpr_count 6
		.amdhsa_user_sgpr_private_segment_buffer 1
		.amdhsa_user_sgpr_dispatch_ptr 0
		.amdhsa_user_sgpr_queue_ptr 0
		.amdhsa_user_sgpr_kernarg_segment_ptr 1
		.amdhsa_user_sgpr_dispatch_id 0
		.amdhsa_user_sgpr_flat_scratch_init 0
		.amdhsa_user_sgpr_kernarg_preload_length 0
		.amdhsa_user_sgpr_kernarg_preload_offset 0
		.amdhsa_user_sgpr_private_segment_size 0
		.amdhsa_uses_dynamic_stack 0
		.amdhsa_system_sgpr_private_segment_wavefront_offset 0
		.amdhsa_system_sgpr_workgroup_id_x 1
		.amdhsa_system_sgpr_workgroup_id_y 0
		.amdhsa_system_sgpr_workgroup_id_z 0
		.amdhsa_system_sgpr_workgroup_info 0
		.amdhsa_system_vgpr_workitem_id 0
		.amdhsa_next_free_vgpr 1
		.amdhsa_next_free_sgpr 0
		.amdhsa_accum_offset 4
		.amdhsa_reserve_vcc 0
		.amdhsa_reserve_flat_scratch 0
		.amdhsa_float_round_mode_32 0
		.amdhsa_float_round_mode_16_64 0
		.amdhsa_float_denorm_mode_32 3
		.amdhsa_float_denorm_mode_16_64 3
		.amdhsa_dx10_clamp 1
		.amdhsa_ieee_mode 1
		.amdhsa_fp16_overflow 0
		.amdhsa_tg_split 0
		.amdhsa_exception_fp_ieee_invalid_op 0
		.amdhsa_exception_fp_denorm_src 0
		.amdhsa_exception_fp_ieee_div_zero 0
		.amdhsa_exception_fp_ieee_overflow 0
		.amdhsa_exception_fp_ieee_underflow 0
		.amdhsa_exception_fp_ieee_inexact 0
		.amdhsa_exception_int_div_zero 0
	.end_amdhsa_kernel
	.section	.text._ZN7rocprim17ROCPRIM_400000_NS6detail17trampoline_kernelINS0_14default_configENS1_25partition_config_selectorILNS1_17partition_subalgoE5EiNS0_10empty_typeEbEEZZNS1_14partition_implILS5_5ELb0ES3_mPiPS6_N6thrust23THRUST_200600_302600_NS18transform_iteratorINSC_6detail9not_fun_tIN6dUtils10isMinusOneIiEEEES9_NSC_11use_defaultESK_EENS0_5tupleIJS9_S6_EEENSM_IJSA_SA_EEES6_PlJS6_EEE10hipError_tPvRmT3_T4_T5_T6_T7_T9_mT8_P12ihipStream_tbDpT10_ENKUlT_T0_E_clISt17integral_constantIbLb1EES18_IbLb0EEEEDaS14_S15_EUlS14_E_NS1_11comp_targetILNS1_3genE8ELNS1_11target_archE1030ELNS1_3gpuE2ELNS1_3repE0EEENS1_30default_config_static_selectorELNS0_4arch9wavefront6targetE1EEEvT1_,"axG",@progbits,_ZN7rocprim17ROCPRIM_400000_NS6detail17trampoline_kernelINS0_14default_configENS1_25partition_config_selectorILNS1_17partition_subalgoE5EiNS0_10empty_typeEbEEZZNS1_14partition_implILS5_5ELb0ES3_mPiPS6_N6thrust23THRUST_200600_302600_NS18transform_iteratorINSC_6detail9not_fun_tIN6dUtils10isMinusOneIiEEEES9_NSC_11use_defaultESK_EENS0_5tupleIJS9_S6_EEENSM_IJSA_SA_EEES6_PlJS6_EEE10hipError_tPvRmT3_T4_T5_T6_T7_T9_mT8_P12ihipStream_tbDpT10_ENKUlT_T0_E_clISt17integral_constantIbLb1EES18_IbLb0EEEEDaS14_S15_EUlS14_E_NS1_11comp_targetILNS1_3genE8ELNS1_11target_archE1030ELNS1_3gpuE2ELNS1_3repE0EEENS1_30default_config_static_selectorELNS0_4arch9wavefront6targetE1EEEvT1_,comdat
.Lfunc_end242:
	.size	_ZN7rocprim17ROCPRIM_400000_NS6detail17trampoline_kernelINS0_14default_configENS1_25partition_config_selectorILNS1_17partition_subalgoE5EiNS0_10empty_typeEbEEZZNS1_14partition_implILS5_5ELb0ES3_mPiPS6_N6thrust23THRUST_200600_302600_NS18transform_iteratorINSC_6detail9not_fun_tIN6dUtils10isMinusOneIiEEEES9_NSC_11use_defaultESK_EENS0_5tupleIJS9_S6_EEENSM_IJSA_SA_EEES6_PlJS6_EEE10hipError_tPvRmT3_T4_T5_T6_T7_T9_mT8_P12ihipStream_tbDpT10_ENKUlT_T0_E_clISt17integral_constantIbLb1EES18_IbLb0EEEEDaS14_S15_EUlS14_E_NS1_11comp_targetILNS1_3genE8ELNS1_11target_archE1030ELNS1_3gpuE2ELNS1_3repE0EEENS1_30default_config_static_selectorELNS0_4arch9wavefront6targetE1EEEvT1_, .Lfunc_end242-_ZN7rocprim17ROCPRIM_400000_NS6detail17trampoline_kernelINS0_14default_configENS1_25partition_config_selectorILNS1_17partition_subalgoE5EiNS0_10empty_typeEbEEZZNS1_14partition_implILS5_5ELb0ES3_mPiPS6_N6thrust23THRUST_200600_302600_NS18transform_iteratorINSC_6detail9not_fun_tIN6dUtils10isMinusOneIiEEEES9_NSC_11use_defaultESK_EENS0_5tupleIJS9_S6_EEENSM_IJSA_SA_EEES6_PlJS6_EEE10hipError_tPvRmT3_T4_T5_T6_T7_T9_mT8_P12ihipStream_tbDpT10_ENKUlT_T0_E_clISt17integral_constantIbLb1EES18_IbLb0EEEEDaS14_S15_EUlS14_E_NS1_11comp_targetILNS1_3genE8ELNS1_11target_archE1030ELNS1_3gpuE2ELNS1_3repE0EEENS1_30default_config_static_selectorELNS0_4arch9wavefront6targetE1EEEvT1_
                                        ; -- End function
	.section	.AMDGPU.csdata,"",@progbits
; Kernel info:
; codeLenInByte = 0
; NumSgprs: 4
; NumVgprs: 0
; NumAgprs: 0
; TotalNumVgprs: 0
; ScratchSize: 0
; MemoryBound: 0
; FloatMode: 240
; IeeeMode: 1
; LDSByteSize: 0 bytes/workgroup (compile time only)
; SGPRBlocks: 0
; VGPRBlocks: 0
; NumSGPRsForWavesPerEU: 4
; NumVGPRsForWavesPerEU: 1
; AccumOffset: 4
; Occupancy: 8
; WaveLimiterHint : 0
; COMPUTE_PGM_RSRC2:SCRATCH_EN: 0
; COMPUTE_PGM_RSRC2:USER_SGPR: 6
; COMPUTE_PGM_RSRC2:TRAP_HANDLER: 0
; COMPUTE_PGM_RSRC2:TGID_X_EN: 1
; COMPUTE_PGM_RSRC2:TGID_Y_EN: 0
; COMPUTE_PGM_RSRC2:TGID_Z_EN: 0
; COMPUTE_PGM_RSRC2:TIDIG_COMP_CNT: 0
; COMPUTE_PGM_RSRC3_GFX90A:ACCUM_OFFSET: 0
; COMPUTE_PGM_RSRC3_GFX90A:TG_SPLIT: 0
	.section	.text._ZN7rocprim17ROCPRIM_400000_NS6detail17trampoline_kernelINS0_14default_configENS1_25partition_config_selectorILNS1_17partition_subalgoE5EiNS0_10empty_typeEbEEZZNS1_14partition_implILS5_5ELb0ES3_mPiPS6_N6thrust23THRUST_200600_302600_NS18transform_iteratorINSC_6detail9not_fun_tIN6dUtils10isMinusOneIiEEEES9_NSC_11use_defaultESK_EENS0_5tupleIJS9_S6_EEENSM_IJSA_SA_EEES6_PlJS6_EEE10hipError_tPvRmT3_T4_T5_T6_T7_T9_mT8_P12ihipStream_tbDpT10_ENKUlT_T0_E_clISt17integral_constantIbLb0EES18_IbLb1EEEEDaS14_S15_EUlS14_E_NS1_11comp_targetILNS1_3genE0ELNS1_11target_archE4294967295ELNS1_3gpuE0ELNS1_3repE0EEENS1_30default_config_static_selectorELNS0_4arch9wavefront6targetE1EEEvT1_,"axG",@progbits,_ZN7rocprim17ROCPRIM_400000_NS6detail17trampoline_kernelINS0_14default_configENS1_25partition_config_selectorILNS1_17partition_subalgoE5EiNS0_10empty_typeEbEEZZNS1_14partition_implILS5_5ELb0ES3_mPiPS6_N6thrust23THRUST_200600_302600_NS18transform_iteratorINSC_6detail9not_fun_tIN6dUtils10isMinusOneIiEEEES9_NSC_11use_defaultESK_EENS0_5tupleIJS9_S6_EEENSM_IJSA_SA_EEES6_PlJS6_EEE10hipError_tPvRmT3_T4_T5_T6_T7_T9_mT8_P12ihipStream_tbDpT10_ENKUlT_T0_E_clISt17integral_constantIbLb0EES18_IbLb1EEEEDaS14_S15_EUlS14_E_NS1_11comp_targetILNS1_3genE0ELNS1_11target_archE4294967295ELNS1_3gpuE0ELNS1_3repE0EEENS1_30default_config_static_selectorELNS0_4arch9wavefront6targetE1EEEvT1_,comdat
	.protected	_ZN7rocprim17ROCPRIM_400000_NS6detail17trampoline_kernelINS0_14default_configENS1_25partition_config_selectorILNS1_17partition_subalgoE5EiNS0_10empty_typeEbEEZZNS1_14partition_implILS5_5ELb0ES3_mPiPS6_N6thrust23THRUST_200600_302600_NS18transform_iteratorINSC_6detail9not_fun_tIN6dUtils10isMinusOneIiEEEES9_NSC_11use_defaultESK_EENS0_5tupleIJS9_S6_EEENSM_IJSA_SA_EEES6_PlJS6_EEE10hipError_tPvRmT3_T4_T5_T6_T7_T9_mT8_P12ihipStream_tbDpT10_ENKUlT_T0_E_clISt17integral_constantIbLb0EES18_IbLb1EEEEDaS14_S15_EUlS14_E_NS1_11comp_targetILNS1_3genE0ELNS1_11target_archE4294967295ELNS1_3gpuE0ELNS1_3repE0EEENS1_30default_config_static_selectorELNS0_4arch9wavefront6targetE1EEEvT1_ ; -- Begin function _ZN7rocprim17ROCPRIM_400000_NS6detail17trampoline_kernelINS0_14default_configENS1_25partition_config_selectorILNS1_17partition_subalgoE5EiNS0_10empty_typeEbEEZZNS1_14partition_implILS5_5ELb0ES3_mPiPS6_N6thrust23THRUST_200600_302600_NS18transform_iteratorINSC_6detail9not_fun_tIN6dUtils10isMinusOneIiEEEES9_NSC_11use_defaultESK_EENS0_5tupleIJS9_S6_EEENSM_IJSA_SA_EEES6_PlJS6_EEE10hipError_tPvRmT3_T4_T5_T6_T7_T9_mT8_P12ihipStream_tbDpT10_ENKUlT_T0_E_clISt17integral_constantIbLb0EES18_IbLb1EEEEDaS14_S15_EUlS14_E_NS1_11comp_targetILNS1_3genE0ELNS1_11target_archE4294967295ELNS1_3gpuE0ELNS1_3repE0EEENS1_30default_config_static_selectorELNS0_4arch9wavefront6targetE1EEEvT1_
	.globl	_ZN7rocprim17ROCPRIM_400000_NS6detail17trampoline_kernelINS0_14default_configENS1_25partition_config_selectorILNS1_17partition_subalgoE5EiNS0_10empty_typeEbEEZZNS1_14partition_implILS5_5ELb0ES3_mPiPS6_N6thrust23THRUST_200600_302600_NS18transform_iteratorINSC_6detail9not_fun_tIN6dUtils10isMinusOneIiEEEES9_NSC_11use_defaultESK_EENS0_5tupleIJS9_S6_EEENSM_IJSA_SA_EEES6_PlJS6_EEE10hipError_tPvRmT3_T4_T5_T6_T7_T9_mT8_P12ihipStream_tbDpT10_ENKUlT_T0_E_clISt17integral_constantIbLb0EES18_IbLb1EEEEDaS14_S15_EUlS14_E_NS1_11comp_targetILNS1_3genE0ELNS1_11target_archE4294967295ELNS1_3gpuE0ELNS1_3repE0EEENS1_30default_config_static_selectorELNS0_4arch9wavefront6targetE1EEEvT1_
	.p2align	8
	.type	_ZN7rocprim17ROCPRIM_400000_NS6detail17trampoline_kernelINS0_14default_configENS1_25partition_config_selectorILNS1_17partition_subalgoE5EiNS0_10empty_typeEbEEZZNS1_14partition_implILS5_5ELb0ES3_mPiPS6_N6thrust23THRUST_200600_302600_NS18transform_iteratorINSC_6detail9not_fun_tIN6dUtils10isMinusOneIiEEEES9_NSC_11use_defaultESK_EENS0_5tupleIJS9_S6_EEENSM_IJSA_SA_EEES6_PlJS6_EEE10hipError_tPvRmT3_T4_T5_T6_T7_T9_mT8_P12ihipStream_tbDpT10_ENKUlT_T0_E_clISt17integral_constantIbLb0EES18_IbLb1EEEEDaS14_S15_EUlS14_E_NS1_11comp_targetILNS1_3genE0ELNS1_11target_archE4294967295ELNS1_3gpuE0ELNS1_3repE0EEENS1_30default_config_static_selectorELNS0_4arch9wavefront6targetE1EEEvT1_,@function
_ZN7rocprim17ROCPRIM_400000_NS6detail17trampoline_kernelINS0_14default_configENS1_25partition_config_selectorILNS1_17partition_subalgoE5EiNS0_10empty_typeEbEEZZNS1_14partition_implILS5_5ELb0ES3_mPiPS6_N6thrust23THRUST_200600_302600_NS18transform_iteratorINSC_6detail9not_fun_tIN6dUtils10isMinusOneIiEEEES9_NSC_11use_defaultESK_EENS0_5tupleIJS9_S6_EEENSM_IJSA_SA_EEES6_PlJS6_EEE10hipError_tPvRmT3_T4_T5_T6_T7_T9_mT8_P12ihipStream_tbDpT10_ENKUlT_T0_E_clISt17integral_constantIbLb0EES18_IbLb1EEEEDaS14_S15_EUlS14_E_NS1_11comp_targetILNS1_3genE0ELNS1_11target_archE4294967295ELNS1_3gpuE0ELNS1_3repE0EEENS1_30default_config_static_selectorELNS0_4arch9wavefront6targetE1EEEvT1_: ; @_ZN7rocprim17ROCPRIM_400000_NS6detail17trampoline_kernelINS0_14default_configENS1_25partition_config_selectorILNS1_17partition_subalgoE5EiNS0_10empty_typeEbEEZZNS1_14partition_implILS5_5ELb0ES3_mPiPS6_N6thrust23THRUST_200600_302600_NS18transform_iteratorINSC_6detail9not_fun_tIN6dUtils10isMinusOneIiEEEES9_NSC_11use_defaultESK_EENS0_5tupleIJS9_S6_EEENSM_IJSA_SA_EEES6_PlJS6_EEE10hipError_tPvRmT3_T4_T5_T6_T7_T9_mT8_P12ihipStream_tbDpT10_ENKUlT_T0_E_clISt17integral_constantIbLb0EES18_IbLb1EEEEDaS14_S15_EUlS14_E_NS1_11comp_targetILNS1_3genE0ELNS1_11target_archE4294967295ELNS1_3gpuE0ELNS1_3repE0EEENS1_30default_config_static_selectorELNS0_4arch9wavefront6targetE1EEEvT1_
; %bb.0:
	.section	.rodata,"a",@progbits
	.p2align	6, 0x0
	.amdhsa_kernel _ZN7rocprim17ROCPRIM_400000_NS6detail17trampoline_kernelINS0_14default_configENS1_25partition_config_selectorILNS1_17partition_subalgoE5EiNS0_10empty_typeEbEEZZNS1_14partition_implILS5_5ELb0ES3_mPiPS6_N6thrust23THRUST_200600_302600_NS18transform_iteratorINSC_6detail9not_fun_tIN6dUtils10isMinusOneIiEEEES9_NSC_11use_defaultESK_EENS0_5tupleIJS9_S6_EEENSM_IJSA_SA_EEES6_PlJS6_EEE10hipError_tPvRmT3_T4_T5_T6_T7_T9_mT8_P12ihipStream_tbDpT10_ENKUlT_T0_E_clISt17integral_constantIbLb0EES18_IbLb1EEEEDaS14_S15_EUlS14_E_NS1_11comp_targetILNS1_3genE0ELNS1_11target_archE4294967295ELNS1_3gpuE0ELNS1_3repE0EEENS1_30default_config_static_selectorELNS0_4arch9wavefront6targetE1EEEvT1_
		.amdhsa_group_segment_fixed_size 0
		.amdhsa_private_segment_fixed_size 0
		.amdhsa_kernarg_size 136
		.amdhsa_user_sgpr_count 6
		.amdhsa_user_sgpr_private_segment_buffer 1
		.amdhsa_user_sgpr_dispatch_ptr 0
		.amdhsa_user_sgpr_queue_ptr 0
		.amdhsa_user_sgpr_kernarg_segment_ptr 1
		.amdhsa_user_sgpr_dispatch_id 0
		.amdhsa_user_sgpr_flat_scratch_init 0
		.amdhsa_user_sgpr_kernarg_preload_length 0
		.amdhsa_user_sgpr_kernarg_preload_offset 0
		.amdhsa_user_sgpr_private_segment_size 0
		.amdhsa_uses_dynamic_stack 0
		.amdhsa_system_sgpr_private_segment_wavefront_offset 0
		.amdhsa_system_sgpr_workgroup_id_x 1
		.amdhsa_system_sgpr_workgroup_id_y 0
		.amdhsa_system_sgpr_workgroup_id_z 0
		.amdhsa_system_sgpr_workgroup_info 0
		.amdhsa_system_vgpr_workitem_id 0
		.amdhsa_next_free_vgpr 1
		.amdhsa_next_free_sgpr 0
		.amdhsa_accum_offset 4
		.amdhsa_reserve_vcc 0
		.amdhsa_reserve_flat_scratch 0
		.amdhsa_float_round_mode_32 0
		.amdhsa_float_round_mode_16_64 0
		.amdhsa_float_denorm_mode_32 3
		.amdhsa_float_denorm_mode_16_64 3
		.amdhsa_dx10_clamp 1
		.amdhsa_ieee_mode 1
		.amdhsa_fp16_overflow 0
		.amdhsa_tg_split 0
		.amdhsa_exception_fp_ieee_invalid_op 0
		.amdhsa_exception_fp_denorm_src 0
		.amdhsa_exception_fp_ieee_div_zero 0
		.amdhsa_exception_fp_ieee_overflow 0
		.amdhsa_exception_fp_ieee_underflow 0
		.amdhsa_exception_fp_ieee_inexact 0
		.amdhsa_exception_int_div_zero 0
	.end_amdhsa_kernel
	.section	.text._ZN7rocprim17ROCPRIM_400000_NS6detail17trampoline_kernelINS0_14default_configENS1_25partition_config_selectorILNS1_17partition_subalgoE5EiNS0_10empty_typeEbEEZZNS1_14partition_implILS5_5ELb0ES3_mPiPS6_N6thrust23THRUST_200600_302600_NS18transform_iteratorINSC_6detail9not_fun_tIN6dUtils10isMinusOneIiEEEES9_NSC_11use_defaultESK_EENS0_5tupleIJS9_S6_EEENSM_IJSA_SA_EEES6_PlJS6_EEE10hipError_tPvRmT3_T4_T5_T6_T7_T9_mT8_P12ihipStream_tbDpT10_ENKUlT_T0_E_clISt17integral_constantIbLb0EES18_IbLb1EEEEDaS14_S15_EUlS14_E_NS1_11comp_targetILNS1_3genE0ELNS1_11target_archE4294967295ELNS1_3gpuE0ELNS1_3repE0EEENS1_30default_config_static_selectorELNS0_4arch9wavefront6targetE1EEEvT1_,"axG",@progbits,_ZN7rocprim17ROCPRIM_400000_NS6detail17trampoline_kernelINS0_14default_configENS1_25partition_config_selectorILNS1_17partition_subalgoE5EiNS0_10empty_typeEbEEZZNS1_14partition_implILS5_5ELb0ES3_mPiPS6_N6thrust23THRUST_200600_302600_NS18transform_iteratorINSC_6detail9not_fun_tIN6dUtils10isMinusOneIiEEEES9_NSC_11use_defaultESK_EENS0_5tupleIJS9_S6_EEENSM_IJSA_SA_EEES6_PlJS6_EEE10hipError_tPvRmT3_T4_T5_T6_T7_T9_mT8_P12ihipStream_tbDpT10_ENKUlT_T0_E_clISt17integral_constantIbLb0EES18_IbLb1EEEEDaS14_S15_EUlS14_E_NS1_11comp_targetILNS1_3genE0ELNS1_11target_archE4294967295ELNS1_3gpuE0ELNS1_3repE0EEENS1_30default_config_static_selectorELNS0_4arch9wavefront6targetE1EEEvT1_,comdat
.Lfunc_end243:
	.size	_ZN7rocprim17ROCPRIM_400000_NS6detail17trampoline_kernelINS0_14default_configENS1_25partition_config_selectorILNS1_17partition_subalgoE5EiNS0_10empty_typeEbEEZZNS1_14partition_implILS5_5ELb0ES3_mPiPS6_N6thrust23THRUST_200600_302600_NS18transform_iteratorINSC_6detail9not_fun_tIN6dUtils10isMinusOneIiEEEES9_NSC_11use_defaultESK_EENS0_5tupleIJS9_S6_EEENSM_IJSA_SA_EEES6_PlJS6_EEE10hipError_tPvRmT3_T4_T5_T6_T7_T9_mT8_P12ihipStream_tbDpT10_ENKUlT_T0_E_clISt17integral_constantIbLb0EES18_IbLb1EEEEDaS14_S15_EUlS14_E_NS1_11comp_targetILNS1_3genE0ELNS1_11target_archE4294967295ELNS1_3gpuE0ELNS1_3repE0EEENS1_30default_config_static_selectorELNS0_4arch9wavefront6targetE1EEEvT1_, .Lfunc_end243-_ZN7rocprim17ROCPRIM_400000_NS6detail17trampoline_kernelINS0_14default_configENS1_25partition_config_selectorILNS1_17partition_subalgoE5EiNS0_10empty_typeEbEEZZNS1_14partition_implILS5_5ELb0ES3_mPiPS6_N6thrust23THRUST_200600_302600_NS18transform_iteratorINSC_6detail9not_fun_tIN6dUtils10isMinusOneIiEEEES9_NSC_11use_defaultESK_EENS0_5tupleIJS9_S6_EEENSM_IJSA_SA_EEES6_PlJS6_EEE10hipError_tPvRmT3_T4_T5_T6_T7_T9_mT8_P12ihipStream_tbDpT10_ENKUlT_T0_E_clISt17integral_constantIbLb0EES18_IbLb1EEEEDaS14_S15_EUlS14_E_NS1_11comp_targetILNS1_3genE0ELNS1_11target_archE4294967295ELNS1_3gpuE0ELNS1_3repE0EEENS1_30default_config_static_selectorELNS0_4arch9wavefront6targetE1EEEvT1_
                                        ; -- End function
	.section	.AMDGPU.csdata,"",@progbits
; Kernel info:
; codeLenInByte = 0
; NumSgprs: 4
; NumVgprs: 0
; NumAgprs: 0
; TotalNumVgprs: 0
; ScratchSize: 0
; MemoryBound: 0
; FloatMode: 240
; IeeeMode: 1
; LDSByteSize: 0 bytes/workgroup (compile time only)
; SGPRBlocks: 0
; VGPRBlocks: 0
; NumSGPRsForWavesPerEU: 4
; NumVGPRsForWavesPerEU: 1
; AccumOffset: 4
; Occupancy: 8
; WaveLimiterHint : 0
; COMPUTE_PGM_RSRC2:SCRATCH_EN: 0
; COMPUTE_PGM_RSRC2:USER_SGPR: 6
; COMPUTE_PGM_RSRC2:TRAP_HANDLER: 0
; COMPUTE_PGM_RSRC2:TGID_X_EN: 1
; COMPUTE_PGM_RSRC2:TGID_Y_EN: 0
; COMPUTE_PGM_RSRC2:TGID_Z_EN: 0
; COMPUTE_PGM_RSRC2:TIDIG_COMP_CNT: 0
; COMPUTE_PGM_RSRC3_GFX90A:ACCUM_OFFSET: 0
; COMPUTE_PGM_RSRC3_GFX90A:TG_SPLIT: 0
	.section	.text._ZN7rocprim17ROCPRIM_400000_NS6detail17trampoline_kernelINS0_14default_configENS1_25partition_config_selectorILNS1_17partition_subalgoE5EiNS0_10empty_typeEbEEZZNS1_14partition_implILS5_5ELb0ES3_mPiPS6_N6thrust23THRUST_200600_302600_NS18transform_iteratorINSC_6detail9not_fun_tIN6dUtils10isMinusOneIiEEEES9_NSC_11use_defaultESK_EENS0_5tupleIJS9_S6_EEENSM_IJSA_SA_EEES6_PlJS6_EEE10hipError_tPvRmT3_T4_T5_T6_T7_T9_mT8_P12ihipStream_tbDpT10_ENKUlT_T0_E_clISt17integral_constantIbLb0EES18_IbLb1EEEEDaS14_S15_EUlS14_E_NS1_11comp_targetILNS1_3genE5ELNS1_11target_archE942ELNS1_3gpuE9ELNS1_3repE0EEENS1_30default_config_static_selectorELNS0_4arch9wavefront6targetE1EEEvT1_,"axG",@progbits,_ZN7rocprim17ROCPRIM_400000_NS6detail17trampoline_kernelINS0_14default_configENS1_25partition_config_selectorILNS1_17partition_subalgoE5EiNS0_10empty_typeEbEEZZNS1_14partition_implILS5_5ELb0ES3_mPiPS6_N6thrust23THRUST_200600_302600_NS18transform_iteratorINSC_6detail9not_fun_tIN6dUtils10isMinusOneIiEEEES9_NSC_11use_defaultESK_EENS0_5tupleIJS9_S6_EEENSM_IJSA_SA_EEES6_PlJS6_EEE10hipError_tPvRmT3_T4_T5_T6_T7_T9_mT8_P12ihipStream_tbDpT10_ENKUlT_T0_E_clISt17integral_constantIbLb0EES18_IbLb1EEEEDaS14_S15_EUlS14_E_NS1_11comp_targetILNS1_3genE5ELNS1_11target_archE942ELNS1_3gpuE9ELNS1_3repE0EEENS1_30default_config_static_selectorELNS0_4arch9wavefront6targetE1EEEvT1_,comdat
	.protected	_ZN7rocprim17ROCPRIM_400000_NS6detail17trampoline_kernelINS0_14default_configENS1_25partition_config_selectorILNS1_17partition_subalgoE5EiNS0_10empty_typeEbEEZZNS1_14partition_implILS5_5ELb0ES3_mPiPS6_N6thrust23THRUST_200600_302600_NS18transform_iteratorINSC_6detail9not_fun_tIN6dUtils10isMinusOneIiEEEES9_NSC_11use_defaultESK_EENS0_5tupleIJS9_S6_EEENSM_IJSA_SA_EEES6_PlJS6_EEE10hipError_tPvRmT3_T4_T5_T6_T7_T9_mT8_P12ihipStream_tbDpT10_ENKUlT_T0_E_clISt17integral_constantIbLb0EES18_IbLb1EEEEDaS14_S15_EUlS14_E_NS1_11comp_targetILNS1_3genE5ELNS1_11target_archE942ELNS1_3gpuE9ELNS1_3repE0EEENS1_30default_config_static_selectorELNS0_4arch9wavefront6targetE1EEEvT1_ ; -- Begin function _ZN7rocprim17ROCPRIM_400000_NS6detail17trampoline_kernelINS0_14default_configENS1_25partition_config_selectorILNS1_17partition_subalgoE5EiNS0_10empty_typeEbEEZZNS1_14partition_implILS5_5ELb0ES3_mPiPS6_N6thrust23THRUST_200600_302600_NS18transform_iteratorINSC_6detail9not_fun_tIN6dUtils10isMinusOneIiEEEES9_NSC_11use_defaultESK_EENS0_5tupleIJS9_S6_EEENSM_IJSA_SA_EEES6_PlJS6_EEE10hipError_tPvRmT3_T4_T5_T6_T7_T9_mT8_P12ihipStream_tbDpT10_ENKUlT_T0_E_clISt17integral_constantIbLb0EES18_IbLb1EEEEDaS14_S15_EUlS14_E_NS1_11comp_targetILNS1_3genE5ELNS1_11target_archE942ELNS1_3gpuE9ELNS1_3repE0EEENS1_30default_config_static_selectorELNS0_4arch9wavefront6targetE1EEEvT1_
	.globl	_ZN7rocprim17ROCPRIM_400000_NS6detail17trampoline_kernelINS0_14default_configENS1_25partition_config_selectorILNS1_17partition_subalgoE5EiNS0_10empty_typeEbEEZZNS1_14partition_implILS5_5ELb0ES3_mPiPS6_N6thrust23THRUST_200600_302600_NS18transform_iteratorINSC_6detail9not_fun_tIN6dUtils10isMinusOneIiEEEES9_NSC_11use_defaultESK_EENS0_5tupleIJS9_S6_EEENSM_IJSA_SA_EEES6_PlJS6_EEE10hipError_tPvRmT3_T4_T5_T6_T7_T9_mT8_P12ihipStream_tbDpT10_ENKUlT_T0_E_clISt17integral_constantIbLb0EES18_IbLb1EEEEDaS14_S15_EUlS14_E_NS1_11comp_targetILNS1_3genE5ELNS1_11target_archE942ELNS1_3gpuE9ELNS1_3repE0EEENS1_30default_config_static_selectorELNS0_4arch9wavefront6targetE1EEEvT1_
	.p2align	8
	.type	_ZN7rocprim17ROCPRIM_400000_NS6detail17trampoline_kernelINS0_14default_configENS1_25partition_config_selectorILNS1_17partition_subalgoE5EiNS0_10empty_typeEbEEZZNS1_14partition_implILS5_5ELb0ES3_mPiPS6_N6thrust23THRUST_200600_302600_NS18transform_iteratorINSC_6detail9not_fun_tIN6dUtils10isMinusOneIiEEEES9_NSC_11use_defaultESK_EENS0_5tupleIJS9_S6_EEENSM_IJSA_SA_EEES6_PlJS6_EEE10hipError_tPvRmT3_T4_T5_T6_T7_T9_mT8_P12ihipStream_tbDpT10_ENKUlT_T0_E_clISt17integral_constantIbLb0EES18_IbLb1EEEEDaS14_S15_EUlS14_E_NS1_11comp_targetILNS1_3genE5ELNS1_11target_archE942ELNS1_3gpuE9ELNS1_3repE0EEENS1_30default_config_static_selectorELNS0_4arch9wavefront6targetE1EEEvT1_,@function
_ZN7rocprim17ROCPRIM_400000_NS6detail17trampoline_kernelINS0_14default_configENS1_25partition_config_selectorILNS1_17partition_subalgoE5EiNS0_10empty_typeEbEEZZNS1_14partition_implILS5_5ELb0ES3_mPiPS6_N6thrust23THRUST_200600_302600_NS18transform_iteratorINSC_6detail9not_fun_tIN6dUtils10isMinusOneIiEEEES9_NSC_11use_defaultESK_EENS0_5tupleIJS9_S6_EEENSM_IJSA_SA_EEES6_PlJS6_EEE10hipError_tPvRmT3_T4_T5_T6_T7_T9_mT8_P12ihipStream_tbDpT10_ENKUlT_T0_E_clISt17integral_constantIbLb0EES18_IbLb1EEEEDaS14_S15_EUlS14_E_NS1_11comp_targetILNS1_3genE5ELNS1_11target_archE942ELNS1_3gpuE9ELNS1_3repE0EEENS1_30default_config_static_selectorELNS0_4arch9wavefront6targetE1EEEvT1_: ; @_ZN7rocprim17ROCPRIM_400000_NS6detail17trampoline_kernelINS0_14default_configENS1_25partition_config_selectorILNS1_17partition_subalgoE5EiNS0_10empty_typeEbEEZZNS1_14partition_implILS5_5ELb0ES3_mPiPS6_N6thrust23THRUST_200600_302600_NS18transform_iteratorINSC_6detail9not_fun_tIN6dUtils10isMinusOneIiEEEES9_NSC_11use_defaultESK_EENS0_5tupleIJS9_S6_EEENSM_IJSA_SA_EEES6_PlJS6_EEE10hipError_tPvRmT3_T4_T5_T6_T7_T9_mT8_P12ihipStream_tbDpT10_ENKUlT_T0_E_clISt17integral_constantIbLb0EES18_IbLb1EEEEDaS14_S15_EUlS14_E_NS1_11comp_targetILNS1_3genE5ELNS1_11target_archE942ELNS1_3gpuE9ELNS1_3repE0EEENS1_30default_config_static_selectorELNS0_4arch9wavefront6targetE1EEEvT1_
; %bb.0:
	.section	.rodata,"a",@progbits
	.p2align	6, 0x0
	.amdhsa_kernel _ZN7rocprim17ROCPRIM_400000_NS6detail17trampoline_kernelINS0_14default_configENS1_25partition_config_selectorILNS1_17partition_subalgoE5EiNS0_10empty_typeEbEEZZNS1_14partition_implILS5_5ELb0ES3_mPiPS6_N6thrust23THRUST_200600_302600_NS18transform_iteratorINSC_6detail9not_fun_tIN6dUtils10isMinusOneIiEEEES9_NSC_11use_defaultESK_EENS0_5tupleIJS9_S6_EEENSM_IJSA_SA_EEES6_PlJS6_EEE10hipError_tPvRmT3_T4_T5_T6_T7_T9_mT8_P12ihipStream_tbDpT10_ENKUlT_T0_E_clISt17integral_constantIbLb0EES18_IbLb1EEEEDaS14_S15_EUlS14_E_NS1_11comp_targetILNS1_3genE5ELNS1_11target_archE942ELNS1_3gpuE9ELNS1_3repE0EEENS1_30default_config_static_selectorELNS0_4arch9wavefront6targetE1EEEvT1_
		.amdhsa_group_segment_fixed_size 0
		.amdhsa_private_segment_fixed_size 0
		.amdhsa_kernarg_size 136
		.amdhsa_user_sgpr_count 6
		.amdhsa_user_sgpr_private_segment_buffer 1
		.amdhsa_user_sgpr_dispatch_ptr 0
		.amdhsa_user_sgpr_queue_ptr 0
		.amdhsa_user_sgpr_kernarg_segment_ptr 1
		.amdhsa_user_sgpr_dispatch_id 0
		.amdhsa_user_sgpr_flat_scratch_init 0
		.amdhsa_user_sgpr_kernarg_preload_length 0
		.amdhsa_user_sgpr_kernarg_preload_offset 0
		.amdhsa_user_sgpr_private_segment_size 0
		.amdhsa_uses_dynamic_stack 0
		.amdhsa_system_sgpr_private_segment_wavefront_offset 0
		.amdhsa_system_sgpr_workgroup_id_x 1
		.amdhsa_system_sgpr_workgroup_id_y 0
		.amdhsa_system_sgpr_workgroup_id_z 0
		.amdhsa_system_sgpr_workgroup_info 0
		.amdhsa_system_vgpr_workitem_id 0
		.amdhsa_next_free_vgpr 1
		.amdhsa_next_free_sgpr 0
		.amdhsa_accum_offset 4
		.amdhsa_reserve_vcc 0
		.amdhsa_reserve_flat_scratch 0
		.amdhsa_float_round_mode_32 0
		.amdhsa_float_round_mode_16_64 0
		.amdhsa_float_denorm_mode_32 3
		.amdhsa_float_denorm_mode_16_64 3
		.amdhsa_dx10_clamp 1
		.amdhsa_ieee_mode 1
		.amdhsa_fp16_overflow 0
		.amdhsa_tg_split 0
		.amdhsa_exception_fp_ieee_invalid_op 0
		.amdhsa_exception_fp_denorm_src 0
		.amdhsa_exception_fp_ieee_div_zero 0
		.amdhsa_exception_fp_ieee_overflow 0
		.amdhsa_exception_fp_ieee_underflow 0
		.amdhsa_exception_fp_ieee_inexact 0
		.amdhsa_exception_int_div_zero 0
	.end_amdhsa_kernel
	.section	.text._ZN7rocprim17ROCPRIM_400000_NS6detail17trampoline_kernelINS0_14default_configENS1_25partition_config_selectorILNS1_17partition_subalgoE5EiNS0_10empty_typeEbEEZZNS1_14partition_implILS5_5ELb0ES3_mPiPS6_N6thrust23THRUST_200600_302600_NS18transform_iteratorINSC_6detail9not_fun_tIN6dUtils10isMinusOneIiEEEES9_NSC_11use_defaultESK_EENS0_5tupleIJS9_S6_EEENSM_IJSA_SA_EEES6_PlJS6_EEE10hipError_tPvRmT3_T4_T5_T6_T7_T9_mT8_P12ihipStream_tbDpT10_ENKUlT_T0_E_clISt17integral_constantIbLb0EES18_IbLb1EEEEDaS14_S15_EUlS14_E_NS1_11comp_targetILNS1_3genE5ELNS1_11target_archE942ELNS1_3gpuE9ELNS1_3repE0EEENS1_30default_config_static_selectorELNS0_4arch9wavefront6targetE1EEEvT1_,"axG",@progbits,_ZN7rocprim17ROCPRIM_400000_NS6detail17trampoline_kernelINS0_14default_configENS1_25partition_config_selectorILNS1_17partition_subalgoE5EiNS0_10empty_typeEbEEZZNS1_14partition_implILS5_5ELb0ES3_mPiPS6_N6thrust23THRUST_200600_302600_NS18transform_iteratorINSC_6detail9not_fun_tIN6dUtils10isMinusOneIiEEEES9_NSC_11use_defaultESK_EENS0_5tupleIJS9_S6_EEENSM_IJSA_SA_EEES6_PlJS6_EEE10hipError_tPvRmT3_T4_T5_T6_T7_T9_mT8_P12ihipStream_tbDpT10_ENKUlT_T0_E_clISt17integral_constantIbLb0EES18_IbLb1EEEEDaS14_S15_EUlS14_E_NS1_11comp_targetILNS1_3genE5ELNS1_11target_archE942ELNS1_3gpuE9ELNS1_3repE0EEENS1_30default_config_static_selectorELNS0_4arch9wavefront6targetE1EEEvT1_,comdat
.Lfunc_end244:
	.size	_ZN7rocprim17ROCPRIM_400000_NS6detail17trampoline_kernelINS0_14default_configENS1_25partition_config_selectorILNS1_17partition_subalgoE5EiNS0_10empty_typeEbEEZZNS1_14partition_implILS5_5ELb0ES3_mPiPS6_N6thrust23THRUST_200600_302600_NS18transform_iteratorINSC_6detail9not_fun_tIN6dUtils10isMinusOneIiEEEES9_NSC_11use_defaultESK_EENS0_5tupleIJS9_S6_EEENSM_IJSA_SA_EEES6_PlJS6_EEE10hipError_tPvRmT3_T4_T5_T6_T7_T9_mT8_P12ihipStream_tbDpT10_ENKUlT_T0_E_clISt17integral_constantIbLb0EES18_IbLb1EEEEDaS14_S15_EUlS14_E_NS1_11comp_targetILNS1_3genE5ELNS1_11target_archE942ELNS1_3gpuE9ELNS1_3repE0EEENS1_30default_config_static_selectorELNS0_4arch9wavefront6targetE1EEEvT1_, .Lfunc_end244-_ZN7rocprim17ROCPRIM_400000_NS6detail17trampoline_kernelINS0_14default_configENS1_25partition_config_selectorILNS1_17partition_subalgoE5EiNS0_10empty_typeEbEEZZNS1_14partition_implILS5_5ELb0ES3_mPiPS6_N6thrust23THRUST_200600_302600_NS18transform_iteratorINSC_6detail9not_fun_tIN6dUtils10isMinusOneIiEEEES9_NSC_11use_defaultESK_EENS0_5tupleIJS9_S6_EEENSM_IJSA_SA_EEES6_PlJS6_EEE10hipError_tPvRmT3_T4_T5_T6_T7_T9_mT8_P12ihipStream_tbDpT10_ENKUlT_T0_E_clISt17integral_constantIbLb0EES18_IbLb1EEEEDaS14_S15_EUlS14_E_NS1_11comp_targetILNS1_3genE5ELNS1_11target_archE942ELNS1_3gpuE9ELNS1_3repE0EEENS1_30default_config_static_selectorELNS0_4arch9wavefront6targetE1EEEvT1_
                                        ; -- End function
	.section	.AMDGPU.csdata,"",@progbits
; Kernel info:
; codeLenInByte = 0
; NumSgprs: 4
; NumVgprs: 0
; NumAgprs: 0
; TotalNumVgprs: 0
; ScratchSize: 0
; MemoryBound: 0
; FloatMode: 240
; IeeeMode: 1
; LDSByteSize: 0 bytes/workgroup (compile time only)
; SGPRBlocks: 0
; VGPRBlocks: 0
; NumSGPRsForWavesPerEU: 4
; NumVGPRsForWavesPerEU: 1
; AccumOffset: 4
; Occupancy: 8
; WaveLimiterHint : 0
; COMPUTE_PGM_RSRC2:SCRATCH_EN: 0
; COMPUTE_PGM_RSRC2:USER_SGPR: 6
; COMPUTE_PGM_RSRC2:TRAP_HANDLER: 0
; COMPUTE_PGM_RSRC2:TGID_X_EN: 1
; COMPUTE_PGM_RSRC2:TGID_Y_EN: 0
; COMPUTE_PGM_RSRC2:TGID_Z_EN: 0
; COMPUTE_PGM_RSRC2:TIDIG_COMP_CNT: 0
; COMPUTE_PGM_RSRC3_GFX90A:ACCUM_OFFSET: 0
; COMPUTE_PGM_RSRC3_GFX90A:TG_SPLIT: 0
	.section	.text._ZN7rocprim17ROCPRIM_400000_NS6detail17trampoline_kernelINS0_14default_configENS1_25partition_config_selectorILNS1_17partition_subalgoE5EiNS0_10empty_typeEbEEZZNS1_14partition_implILS5_5ELb0ES3_mPiPS6_N6thrust23THRUST_200600_302600_NS18transform_iteratorINSC_6detail9not_fun_tIN6dUtils10isMinusOneIiEEEES9_NSC_11use_defaultESK_EENS0_5tupleIJS9_S6_EEENSM_IJSA_SA_EEES6_PlJS6_EEE10hipError_tPvRmT3_T4_T5_T6_T7_T9_mT8_P12ihipStream_tbDpT10_ENKUlT_T0_E_clISt17integral_constantIbLb0EES18_IbLb1EEEEDaS14_S15_EUlS14_E_NS1_11comp_targetILNS1_3genE4ELNS1_11target_archE910ELNS1_3gpuE8ELNS1_3repE0EEENS1_30default_config_static_selectorELNS0_4arch9wavefront6targetE1EEEvT1_,"axG",@progbits,_ZN7rocprim17ROCPRIM_400000_NS6detail17trampoline_kernelINS0_14default_configENS1_25partition_config_selectorILNS1_17partition_subalgoE5EiNS0_10empty_typeEbEEZZNS1_14partition_implILS5_5ELb0ES3_mPiPS6_N6thrust23THRUST_200600_302600_NS18transform_iteratorINSC_6detail9not_fun_tIN6dUtils10isMinusOneIiEEEES9_NSC_11use_defaultESK_EENS0_5tupleIJS9_S6_EEENSM_IJSA_SA_EEES6_PlJS6_EEE10hipError_tPvRmT3_T4_T5_T6_T7_T9_mT8_P12ihipStream_tbDpT10_ENKUlT_T0_E_clISt17integral_constantIbLb0EES18_IbLb1EEEEDaS14_S15_EUlS14_E_NS1_11comp_targetILNS1_3genE4ELNS1_11target_archE910ELNS1_3gpuE8ELNS1_3repE0EEENS1_30default_config_static_selectorELNS0_4arch9wavefront6targetE1EEEvT1_,comdat
	.protected	_ZN7rocprim17ROCPRIM_400000_NS6detail17trampoline_kernelINS0_14default_configENS1_25partition_config_selectorILNS1_17partition_subalgoE5EiNS0_10empty_typeEbEEZZNS1_14partition_implILS5_5ELb0ES3_mPiPS6_N6thrust23THRUST_200600_302600_NS18transform_iteratorINSC_6detail9not_fun_tIN6dUtils10isMinusOneIiEEEES9_NSC_11use_defaultESK_EENS0_5tupleIJS9_S6_EEENSM_IJSA_SA_EEES6_PlJS6_EEE10hipError_tPvRmT3_T4_T5_T6_T7_T9_mT8_P12ihipStream_tbDpT10_ENKUlT_T0_E_clISt17integral_constantIbLb0EES18_IbLb1EEEEDaS14_S15_EUlS14_E_NS1_11comp_targetILNS1_3genE4ELNS1_11target_archE910ELNS1_3gpuE8ELNS1_3repE0EEENS1_30default_config_static_selectorELNS0_4arch9wavefront6targetE1EEEvT1_ ; -- Begin function _ZN7rocprim17ROCPRIM_400000_NS6detail17trampoline_kernelINS0_14default_configENS1_25partition_config_selectorILNS1_17partition_subalgoE5EiNS0_10empty_typeEbEEZZNS1_14partition_implILS5_5ELb0ES3_mPiPS6_N6thrust23THRUST_200600_302600_NS18transform_iteratorINSC_6detail9not_fun_tIN6dUtils10isMinusOneIiEEEES9_NSC_11use_defaultESK_EENS0_5tupleIJS9_S6_EEENSM_IJSA_SA_EEES6_PlJS6_EEE10hipError_tPvRmT3_T4_T5_T6_T7_T9_mT8_P12ihipStream_tbDpT10_ENKUlT_T0_E_clISt17integral_constantIbLb0EES18_IbLb1EEEEDaS14_S15_EUlS14_E_NS1_11comp_targetILNS1_3genE4ELNS1_11target_archE910ELNS1_3gpuE8ELNS1_3repE0EEENS1_30default_config_static_selectorELNS0_4arch9wavefront6targetE1EEEvT1_
	.globl	_ZN7rocprim17ROCPRIM_400000_NS6detail17trampoline_kernelINS0_14default_configENS1_25partition_config_selectorILNS1_17partition_subalgoE5EiNS0_10empty_typeEbEEZZNS1_14partition_implILS5_5ELb0ES3_mPiPS6_N6thrust23THRUST_200600_302600_NS18transform_iteratorINSC_6detail9not_fun_tIN6dUtils10isMinusOneIiEEEES9_NSC_11use_defaultESK_EENS0_5tupleIJS9_S6_EEENSM_IJSA_SA_EEES6_PlJS6_EEE10hipError_tPvRmT3_T4_T5_T6_T7_T9_mT8_P12ihipStream_tbDpT10_ENKUlT_T0_E_clISt17integral_constantIbLb0EES18_IbLb1EEEEDaS14_S15_EUlS14_E_NS1_11comp_targetILNS1_3genE4ELNS1_11target_archE910ELNS1_3gpuE8ELNS1_3repE0EEENS1_30default_config_static_selectorELNS0_4arch9wavefront6targetE1EEEvT1_
	.p2align	8
	.type	_ZN7rocprim17ROCPRIM_400000_NS6detail17trampoline_kernelINS0_14default_configENS1_25partition_config_selectorILNS1_17partition_subalgoE5EiNS0_10empty_typeEbEEZZNS1_14partition_implILS5_5ELb0ES3_mPiPS6_N6thrust23THRUST_200600_302600_NS18transform_iteratorINSC_6detail9not_fun_tIN6dUtils10isMinusOneIiEEEES9_NSC_11use_defaultESK_EENS0_5tupleIJS9_S6_EEENSM_IJSA_SA_EEES6_PlJS6_EEE10hipError_tPvRmT3_T4_T5_T6_T7_T9_mT8_P12ihipStream_tbDpT10_ENKUlT_T0_E_clISt17integral_constantIbLb0EES18_IbLb1EEEEDaS14_S15_EUlS14_E_NS1_11comp_targetILNS1_3genE4ELNS1_11target_archE910ELNS1_3gpuE8ELNS1_3repE0EEENS1_30default_config_static_selectorELNS0_4arch9wavefront6targetE1EEEvT1_,@function
_ZN7rocprim17ROCPRIM_400000_NS6detail17trampoline_kernelINS0_14default_configENS1_25partition_config_selectorILNS1_17partition_subalgoE5EiNS0_10empty_typeEbEEZZNS1_14partition_implILS5_5ELb0ES3_mPiPS6_N6thrust23THRUST_200600_302600_NS18transform_iteratorINSC_6detail9not_fun_tIN6dUtils10isMinusOneIiEEEES9_NSC_11use_defaultESK_EENS0_5tupleIJS9_S6_EEENSM_IJSA_SA_EEES6_PlJS6_EEE10hipError_tPvRmT3_T4_T5_T6_T7_T9_mT8_P12ihipStream_tbDpT10_ENKUlT_T0_E_clISt17integral_constantIbLb0EES18_IbLb1EEEEDaS14_S15_EUlS14_E_NS1_11comp_targetILNS1_3genE4ELNS1_11target_archE910ELNS1_3gpuE8ELNS1_3repE0EEENS1_30default_config_static_selectorELNS0_4arch9wavefront6targetE1EEEvT1_: ; @_ZN7rocprim17ROCPRIM_400000_NS6detail17trampoline_kernelINS0_14default_configENS1_25partition_config_selectorILNS1_17partition_subalgoE5EiNS0_10empty_typeEbEEZZNS1_14partition_implILS5_5ELb0ES3_mPiPS6_N6thrust23THRUST_200600_302600_NS18transform_iteratorINSC_6detail9not_fun_tIN6dUtils10isMinusOneIiEEEES9_NSC_11use_defaultESK_EENS0_5tupleIJS9_S6_EEENSM_IJSA_SA_EEES6_PlJS6_EEE10hipError_tPvRmT3_T4_T5_T6_T7_T9_mT8_P12ihipStream_tbDpT10_ENKUlT_T0_E_clISt17integral_constantIbLb0EES18_IbLb1EEEEDaS14_S15_EUlS14_E_NS1_11comp_targetILNS1_3genE4ELNS1_11target_archE910ELNS1_3gpuE8ELNS1_3repE0EEENS1_30default_config_static_selectorELNS0_4arch9wavefront6targetE1EEEvT1_
; %bb.0:
	s_load_dwordx2 s[6:7], s[4:5], 0x20
	s_load_dwordx2 s[14:15], s[4:5], 0x30
	;; [unrolled: 1-line block ×3, first 2 shown]
	s_load_dwordx4 s[16:19], s[4:5], 0x48
	s_load_dwordx2 s[22:23], s[4:5], 0x68
	v_cmp_eq_u32_e64 s[0:1], 0, v0
	s_and_saveexec_b64 s[8:9], s[0:1]
	s_cbranch_execz .LBB245_4
; %bb.1:
	s_mov_b64 s[12:13], exec
	v_mbcnt_lo_u32_b32 v1, s12, 0
	v_mbcnt_hi_u32_b32 v1, s13, v1
	v_cmp_eq_u32_e32 vcc, 0, v1
                                        ; implicit-def: $vgpr2
	s_and_saveexec_b64 s[10:11], vcc
	s_cbranch_execz .LBB245_3
; %bb.2:
	s_load_dwordx2 s[20:21], s[4:5], 0x78
	s_bcnt1_i32_b64 s12, s[12:13]
	v_mov_b32_e32 v2, 0
	v_mov_b32_e32 v3, s12
	s_waitcnt lgkmcnt(0)
	global_atomic_add v2, v2, v3, s[20:21] glc
.LBB245_3:
	s_or_b64 exec, exec, s[10:11]
	s_waitcnt vmcnt(0)
	v_readfirstlane_b32 s10, v2
	v_add_u32_e32 v1, s10, v1
	v_mov_b32_e32 v2, 0
	ds_write_b32 v2, v1
.LBB245_4:
	s_or_b64 exec, exec, s[8:9]
	v_mov_b32_e32 v1, 0
	s_load_dwordx4 s[8:11], s[4:5], 0x8
	s_load_dword s12, s[4:5], 0x70
	s_waitcnt lgkmcnt(0)
	s_barrier
	ds_read_b32 v4, v1
	s_waitcnt lgkmcnt(0)
	s_barrier
	global_load_dwordx2 v[12:13], v1, s[18:19]
	s_lshl_b64 s[4:5], s[10:11], 2
	v_mov_b32_e32 v3, s3
	s_add_u32 s13, s8, s4
	s_mul_i32 s3, s12, 0x700
	s_addc_u32 s26, s9, s5
	s_add_i32 s9, s3, s10
	s_sub_i32 s25, s2, s9
	s_add_i32 s18, s12, -1
	s_addk_i32 s25, 0x700
	v_mov_b32_e32 v2, s2
	s_add_u32 s2, s10, s3
	v_readfirstlane_b32 s24, v4
	s_addc_u32 s3, s11, 0
	s_cmp_eq_u32 s24, s18
	v_cmp_ge_u64_e32 vcc, s[2:3], v[2:3]
	s_cselect_b64 s[18:19], -1, 0
	s_mul_i32 s8, s24, 0x700
	s_mov_b32 s9, 0
	s_and_b64 s[10:11], vcc, s[18:19]
	s_xor_b64 s[20:21], s[10:11], -1
	s_lshl_b64 s[8:9], s[8:9], 2
	s_add_u32 s10, s13, s8
	s_mov_b64 s[2:3], -1
	s_addc_u32 s11, s26, s9
	s_and_b64 vcc, exec, s[20:21]
	v_lshlrev_b32_e32 v1, 2, v0
	s_cbranch_vccz .LBB245_6
; %bb.5:
	v_mov_b32_e32 v2, s11
	v_add_co_u32_e32 v3, vcc, s10, v1
	v_addc_co_u32_e32 v4, vcc, 0, v2, vcc
	v_add_co_u32_e32 v2, vcc, 0x1000, v3
	v_addc_co_u32_e32 v3, vcc, 0, v4, vcc
	global_load_dword v5, v1, s[10:11]
	global_load_dword v6, v1, s[10:11] offset:1024
	global_load_dword v7, v1, s[10:11] offset:2048
	;; [unrolled: 1-line block ×3, first 2 shown]
	global_load_dword v4, v[2:3], off
	global_load_dword v9, v[2:3], off offset:1024
	global_load_dword v10, v[2:3], off offset:2048
	s_mov_b64 s[2:3], 0
	s_waitcnt vmcnt(5)
	ds_write2st64_b32 v1, v5, v6 offset1:4
	s_waitcnt vmcnt(3)
	ds_write2st64_b32 v1, v7, v8 offset0:8 offset1:12
	s_waitcnt vmcnt(1)
	ds_write2st64_b32 v1, v4, v9 offset0:16 offset1:20
	s_waitcnt vmcnt(0)
	ds_write_b32 v1, v10 offset:6144
	s_waitcnt lgkmcnt(0)
	s_barrier
.LBB245_6:
	s_andn2_b64 vcc, exec, s[2:3]
	v_cmp_gt_u32_e64 s[2:3], s25, v0
	s_cbranch_vccnz .LBB245_22
; %bb.7:
                                        ; implicit-def: $vgpr2_vgpr3_vgpr4_vgpr5_vgpr6_vgpr7_vgpr8
	s_and_saveexec_b64 s[12:13], s[2:3]
	s_cbranch_execz .LBB245_9
; %bb.8:
	global_load_dword v2, v1, s[10:11]
.LBB245_9:
	s_or_b64 exec, exec, s[12:13]
	v_or_b32_e32 v9, 0x100, v0
	v_cmp_gt_u32_e32 vcc, s25, v9
	s_and_saveexec_b64 s[2:3], vcc
	s_cbranch_execz .LBB245_11
; %bb.10:
	global_load_dword v3, v1, s[10:11] offset:1024
.LBB245_11:
	s_or_b64 exec, exec, s[2:3]
	v_or_b32_e32 v9, 0x200, v0
	v_cmp_gt_u32_e32 vcc, s25, v9
	s_and_saveexec_b64 s[2:3], vcc
	s_cbranch_execz .LBB245_13
; %bb.12:
	global_load_dword v4, v1, s[10:11] offset:2048
.LBB245_13:
	;; [unrolled: 8-line block ×3, first 2 shown]
	s_or_b64 exec, exec, s[2:3]
	v_or_b32_e32 v9, 0x400, v0
	v_cmp_gt_u32_e32 vcc, s25, v9
	s_and_saveexec_b64 s[2:3], vcc
	s_cbranch_execz .LBB245_17
; %bb.16:
	v_lshlrev_b32_e32 v6, 2, v9
	global_load_dword v6, v6, s[10:11]
.LBB245_17:
	s_or_b64 exec, exec, s[2:3]
	v_or_b32_e32 v9, 0x500, v0
	v_cmp_gt_u32_e32 vcc, s25, v9
	s_and_saveexec_b64 s[2:3], vcc
	s_cbranch_execz .LBB245_19
; %bb.18:
	v_lshlrev_b32_e32 v7, 2, v9
	global_load_dword v7, v7, s[10:11]
.LBB245_19:
	;; [unrolled: 9-line block ×3, first 2 shown]
	s_or_b64 exec, exec, s[2:3]
	s_waitcnt vmcnt(0)
	ds_write2st64_b32 v1, v2, v3 offset1:4
	ds_write2st64_b32 v1, v4, v5 offset0:8 offset1:12
	ds_write2st64_b32 v1, v6, v7 offset0:16 offset1:20
	ds_write_b32 v1, v8 offset:6144
	s_waitcnt lgkmcnt(0)
	s_barrier
.LBB245_22:
	v_mul_u32_u24_e32 v2, 7, v0
	v_lshlrev_b32_e32 v2, 2, v2
	ds_read2_b32 v[16:17], v2 offset1:1
	ds_read2_b32 v[14:15], v2 offset0:2 offset1:3
	ds_read2_b32 v[10:11], v2 offset0:4 offset1:5
	ds_read_b32 v19, v2 offset:24
	s_add_u32 s2, s6, s4
	s_addc_u32 s3, s7, s5
	s_add_u32 s2, s2, s8
	s_addc_u32 s3, s3, s9
	s_mov_b64 s[4:5], -1
	s_and_b64 vcc, exec, s[20:21]
	s_waitcnt lgkmcnt(0)
	s_barrier
	s_cbranch_vccz .LBB245_24
; %bb.23:
	global_load_dword v6, v1, s[2:3]
	global_load_dword v7, v1, s[2:3] offset:1024
	v_mov_b32_e32 v3, s3
	v_add_co_u32_e32 v4, vcc, s2, v1
	v_addc_co_u32_e32 v3, vcc, 0, v3, vcc
	global_load_dword v8, v1, s[2:3] offset:2048
	global_load_dword v9, v1, s[2:3] offset:3072
	s_movk_i32 s4, 0x1000
	v_add_co_u32_e32 v4, vcc, s4, v4
	v_addc_co_u32_e32 v5, vcc, 0, v3, vcc
	global_load_dword v3, v[4:5], off
	global_load_dword v18, v[4:5], off offset:1024
	global_load_dword v20, v[4:5], off offset:2048
	s_mov_b64 s[4:5], 0
	s_waitcnt vmcnt(6)
	v_cmp_ne_u32_e32 vcc, -1, v6
	v_cndmask_b32_e64 v4, 0, 1, vcc
	s_waitcnt vmcnt(5)
	v_cmp_ne_u32_e32 vcc, -1, v7
	v_cndmask_b32_e64 v5, 0, 1, vcc
	;; [unrolled: 3-line block ×4, first 2 shown]
	ds_write_b8 v0, v4
	ds_write_b8 v0, v5 offset:256
	ds_write_b8 v0, v6 offset:512
	;; [unrolled: 1-line block ×3, first 2 shown]
	s_waitcnt vmcnt(2)
	v_cmp_ne_u32_e32 vcc, -1, v3
	v_cndmask_b32_e64 v3, 0, 1, vcc
	s_waitcnt vmcnt(1)
	v_cmp_ne_u32_e32 vcc, -1, v18
	v_cndmask_b32_e64 v4, 0, 1, vcc
	;; [unrolled: 3-line block ×3, first 2 shown]
	ds_write_b8 v0, v3 offset:1024
	ds_write_b8 v0, v4 offset:1280
	;; [unrolled: 1-line block ×3, first 2 shown]
	s_waitcnt lgkmcnt(0)
	s_barrier
.LBB245_24:
	s_andn2_b64 vcc, exec, s[4:5]
	s_cbranch_vccnz .LBB245_40
; %bb.25:
	v_cmp_gt_u32_e32 vcc, s25, v0
	v_mov_b32_e32 v3, 0
	v_mov_b32_e32 v4, 0
	s_and_saveexec_b64 s[4:5], vcc
	s_cbranch_execz .LBB245_27
; %bb.26:
	global_load_dword v4, v1, s[2:3]
	s_waitcnt vmcnt(0)
	v_cmp_ne_u32_e32 vcc, -1, v4
	v_cndmask_b32_e64 v4, 0, 1, vcc
.LBB245_27:
	s_or_b64 exec, exec, s[4:5]
	v_or_b32_e32 v5, 0x100, v0
	v_cmp_gt_u32_e32 vcc, s25, v5
	s_and_saveexec_b64 s[4:5], vcc
	s_cbranch_execz .LBB245_29
; %bb.28:
	global_load_dword v3, v1, s[2:3] offset:1024
	s_waitcnt vmcnt(0)
	v_cmp_ne_u32_e32 vcc, -1, v3
	v_cndmask_b32_e64 v3, 0, 1, vcc
.LBB245_29:
	s_or_b64 exec, exec, s[4:5]
	v_or_b32_e32 v5, 0x200, v0
	v_cmp_gt_u32_e32 vcc, s25, v5
	v_mov_b32_e32 v5, 0
	v_mov_b32_e32 v6, 0
	s_and_saveexec_b64 s[4:5], vcc
	s_cbranch_execz .LBB245_31
; %bb.30:
	global_load_dword v6, v1, s[2:3] offset:2048
	s_waitcnt vmcnt(0)
	v_cmp_ne_u32_e32 vcc, -1, v6
	v_cndmask_b32_e64 v6, 0, 1, vcc
.LBB245_31:
	s_or_b64 exec, exec, s[4:5]
	v_or_b32_e32 v7, 0x300, v0
	v_cmp_gt_u32_e32 vcc, s25, v7
	s_and_saveexec_b64 s[4:5], vcc
	s_cbranch_execz .LBB245_33
; %bb.32:
	global_load_dword v1, v1, s[2:3] offset:3072
	s_waitcnt vmcnt(0)
	v_cmp_ne_u32_e32 vcc, -1, v1
	v_cndmask_b32_e64 v5, 0, 1, vcc
.LBB245_33:
	s_or_b64 exec, exec, s[4:5]
	v_or_b32_e32 v8, 0x400, v0
	v_cmp_gt_u32_e32 vcc, s25, v8
	v_mov_b32_e32 v1, 0
	v_mov_b32_e32 v7, 0
	s_and_saveexec_b64 s[4:5], vcc
	s_cbranch_execz .LBB245_35
; %bb.34:
	v_lshlrev_b32_e32 v7, 2, v8
	global_load_dword v7, v7, s[2:3]
	s_waitcnt vmcnt(0)
	v_cmp_ne_u32_e32 vcc, -1, v7
	v_cndmask_b32_e64 v7, 0, 1, vcc
.LBB245_35:
	s_or_b64 exec, exec, s[4:5]
	v_or_b32_e32 v8, 0x500, v0
	v_cmp_gt_u32_e32 vcc, s25, v8
	s_and_saveexec_b64 s[4:5], vcc
	s_cbranch_execz .LBB245_37
; %bb.36:
	v_lshlrev_b32_e32 v1, 2, v8
	global_load_dword v1, v1, s[2:3]
	s_waitcnt vmcnt(0)
	v_cmp_ne_u32_e32 vcc, -1, v1
	v_cndmask_b32_e64 v1, 0, 1, vcc
.LBB245_37:
	s_or_b64 exec, exec, s[4:5]
	v_or_b32_e32 v9, 0x600, v0
	v_cmp_gt_u32_e32 vcc, s25, v9
	v_mov_b32_e32 v8, 0
	s_and_saveexec_b64 s[4:5], vcc
	s_cbranch_execz .LBB245_39
; %bb.38:
	v_lshlrev_b32_e32 v8, 2, v9
	global_load_dword v8, v8, s[2:3]
	s_waitcnt vmcnt(0)
	v_cmp_ne_u32_e32 vcc, -1, v8
	v_cndmask_b32_e64 v8, 0, 1, vcc
.LBB245_39:
	s_or_b64 exec, exec, s[4:5]
	ds_write_b8 v0, v4
	ds_write_b8 v0, v3 offset:256
	ds_write_b8 v0, v6 offset:512
	ds_write_b8 v0, v5 offset:768
	ds_write_b8 v0, v7 offset:1024
	ds_write_b8 v0, v1 offset:1280
	ds_write_b8 v0, v8 offset:1536
	s_waitcnt lgkmcnt(0)
	s_barrier
.LBB245_40:
	s_movk_i32 s2, 0xffeb
	v_mad_i32_i24 v25, v0, s2, v2
	ds_read_u8 v1, v25
	ds_read_u8 v2, v25 offset:1
	ds_read_u8 v3, v25 offset:2
	;; [unrolled: 1-line block ×6, first 2 shown]
	s_waitcnt lgkmcnt(6)
	v_and_b32_e32 v28, 1, v1
	s_waitcnt lgkmcnt(5)
	v_and_b32_e32 v26, 1, v2
	;; [unrolled: 2-line block ×3, first 2 shown]
	v_add_co_u32_e32 v2, vcc, v26, v28
	v_addc_co_u32_e64 v3, s[2:3], 0, 0, vcc
	v_add_co_u32_e32 v2, vcc, v2, v24
	s_waitcnt lgkmcnt(3)
	v_and_b32_e32 v22, 1, v4
	v_addc_co_u32_e32 v3, vcc, 0, v3, vcc
	v_add_co_u32_e32 v2, vcc, v2, v22
	s_waitcnt lgkmcnt(2)
	v_and_b32_e32 v20, 1, v5
	v_addc_co_u32_e32 v3, vcc, 0, v3, vcc
	;; [unrolled: 4-line block ×4, first 2 shown]
	v_add_co_u32_e32 v30, vcc, v2, v21
	v_mbcnt_lo_u32_b32 v2, -1, 0
	v_mbcnt_hi_u32_b32 v23, -1, v2
	v_addc_co_u32_e32 v31, vcc, 0, v3, vcc
	v_and_b32_e32 v29, 15, v23
	s_cmp_lg_u32 s24, 0
	v_mov_b32_e32 v1, 0
	v_cmp_eq_u32_e64 s[4:5], 0, v29
	v_cmp_lt_u32_e64 s[2:3], 1, v29
	v_cmp_lt_u32_e64 s[10:11], 3, v29
	;; [unrolled: 1-line block ×3, first 2 shown]
	v_and_b32_e32 v27, 16, v23
	v_cmp_eq_u32_e64 s[6:7], 0, v23
	v_cmp_ne_u32_e32 vcc, 0, v23
	s_barrier
	s_cbranch_scc0 .LBB245_69
; %bb.41:
	v_mov_b32_dpp v2, v30 row_shr:1 row_mask:0xf bank_mask:0xf
	v_add_co_u32_e64 v2, s[12:13], v30, v2
	v_addc_co_u32_e64 v3, s[12:13], 0, v31, s[12:13]
	v_mov_b32_dpp v1, v1 row_shr:1 row_mask:0xf bank_mask:0xf
	v_add_co_u32_e64 v4, s[12:13], 0, v2
	v_addc_co_u32_e64 v1, s[12:13], v1, v3, s[12:13]
	v_cndmask_b32_e64 v2, v2, v30, s[4:5]
	v_cndmask_b32_e64 v3, v1, 0, s[4:5]
	v_cndmask_b32_e64 v4, v4, v30, s[4:5]
	v_mov_b32_dpp v5, v2 row_shr:2 row_mask:0xf bank_mask:0xf
	v_cndmask_b32_e64 v1, v1, v31, s[4:5]
	v_mov_b32_dpp v6, v3 row_shr:2 row_mask:0xf bank_mask:0xf
	v_add_co_u32_e64 v5, s[12:13], v5, v4
	v_addc_co_u32_e64 v6, s[12:13], v6, v1, s[12:13]
	v_cndmask_b32_e64 v2, v2, v5, s[2:3]
	v_cndmask_b32_e64 v3, v3, v6, s[2:3]
	v_cndmask_b32_e64 v4, v4, v5, s[2:3]
	v_mov_b32_dpp v5, v2 row_shr:4 row_mask:0xf bank_mask:0xf
	v_cndmask_b32_e64 v1, v1, v6, s[2:3]
	;; [unrolled: 8-line block ×3, first 2 shown]
	v_mov_b32_dpp v6, v3 row_shr:8 row_mask:0xf bank_mask:0xf
	v_add_co_u32_e64 v5, s[10:11], v5, v4
	v_addc_co_u32_e64 v6, s[10:11], v6, v1, s[10:11]
	v_cndmask_b32_e64 v2, v2, v5, s[8:9]
	v_cndmask_b32_e64 v3, v3, v6, s[8:9]
	;; [unrolled: 1-line block ×3, first 2 shown]
	v_mov_b32_dpp v5, v2 row_bcast:15 row_mask:0xf bank_mask:0xf
	v_cndmask_b32_e64 v1, v1, v6, s[8:9]
	v_mov_b32_dpp v6, v3 row_bcast:15 row_mask:0xf bank_mask:0xf
	v_add_co_u32_e64 v5, s[8:9], v5, v4
	v_addc_co_u32_e64 v7, s[8:9], v6, v1, s[8:9]
	v_cmp_eq_u32_e64 s[8:9], 0, v27
	v_cndmask_b32_e64 v3, v7, v3, s[8:9]
	v_cndmask_b32_e64 v2, v5, v2, s[8:9]
	s_nop 0
	v_mov_b32_dpp v8, v3 row_bcast:31 row_mask:0xf bank_mask:0xf
	v_mov_b32_dpp v6, v2 row_bcast:31 row_mask:0xf bank_mask:0xf
	v_pk_mov_b32 v[2:3], v[30:31], v[30:31] op_sel:[0,1]
	s_and_saveexec_b64 s[10:11], vcc
; %bb.42:
	v_cmp_lt_u32_e32 vcc, 31, v23
	v_cndmask_b32_e64 v2, v5, v4, s[8:9]
	v_cndmask_b32_e32 v4, 0, v6, vcc
	v_cndmask_b32_e64 v1, v7, v1, s[8:9]
	v_cndmask_b32_e32 v3, 0, v8, vcc
	v_add_co_u32_e32 v2, vcc, v4, v2
	v_addc_co_u32_e32 v3, vcc, v3, v1, vcc
; %bb.43:
	s_or_b64 exec, exec, s[10:11]
	v_or_b32_e32 v4, 63, v0
	v_lshrrev_b32_e32 v1, 6, v0
	v_cmp_eq_u32_e32 vcc, v4, v0
	s_and_saveexec_b64 s[8:9], vcc
	s_cbranch_execz .LBB245_45
; %bb.44:
	v_lshlrev_b32_e32 v4, 3, v1
	ds_write_b64 v4, v[2:3]
.LBB245_45:
	s_or_b64 exec, exec, s[8:9]
	v_cmp_gt_u32_e32 vcc, 4, v0
	s_waitcnt lgkmcnt(0)
	s_barrier
	s_and_saveexec_b64 s[10:11], vcc
	s_cbranch_execz .LBB245_47
; %bb.46:
	v_lshlrev_b32_e32 v6, 3, v0
	ds_read_b64 v[4:5], v6
	v_and_b32_e32 v7, 3, v23
	v_cmp_ne_u32_e64 s[8:9], 1, v7
	s_waitcnt lgkmcnt(0)
	v_mov_b32_dpp v8, v4 row_shr:1 row_mask:0xf bank_mask:0xf
	v_add_co_u32_e32 v8, vcc, v4, v8
	v_addc_co_u32_e32 v32, vcc, 0, v5, vcc
	v_mov_b32_dpp v9, v5 row_shr:1 row_mask:0xf bank_mask:0xf
	v_add_co_u32_e32 v33, vcc, 0, v8
	v_addc_co_u32_e32 v9, vcc, v9, v32, vcc
	v_cmp_eq_u32_e32 vcc, 0, v7
	v_cndmask_b32_e32 v8, v8, v4, vcc
	v_cndmask_b32_e32 v32, v9, v5, vcc
	s_nop 0
	v_mov_b32_dpp v8, v8 row_shr:2 row_mask:0xf bank_mask:0xf
	v_mov_b32_dpp v32, v32 row_shr:2 row_mask:0xf bank_mask:0xf
	v_cndmask_b32_e64 v7, 0, v8, s[8:9]
	v_cndmask_b32_e64 v8, 0, v32, s[8:9]
	v_add_co_u32_e64 v7, s[8:9], v7, v33
	v_addc_co_u32_e64 v8, s[8:9], v8, v9, s[8:9]
	v_cndmask_b32_e32 v5, v8, v5, vcc
	v_cndmask_b32_e32 v4, v7, v4, vcc
	ds_write_b64 v6, v[4:5]
.LBB245_47:
	s_or_b64 exec, exec, s[10:11]
	v_cmp_gt_u32_e32 vcc, 64, v0
	v_cmp_lt_u32_e64 s[8:9], 63, v0
	s_waitcnt lgkmcnt(0)
	s_barrier
	s_waitcnt lgkmcnt(0)
                                        ; implicit-def: $vgpr32_vgpr33
	s_and_saveexec_b64 s[10:11], s[8:9]
	s_cbranch_execz .LBB245_49
; %bb.48:
	v_lshl_add_u32 v1, v1, 3, -8
	ds_read_b64 v[32:33], v1
	s_waitcnt lgkmcnt(0)
	v_add_co_u32_e64 v2, s[8:9], v32, v2
	v_addc_co_u32_e64 v3, s[8:9], v33, v3, s[8:9]
.LBB245_49:
	s_or_b64 exec, exec, s[10:11]
	v_add_u32_e32 v1, -1, v23
	v_and_b32_e32 v4, 64, v23
	v_cmp_lt_i32_e64 s[8:9], v1, v4
	v_cndmask_b32_e64 v1, v1, v23, s[8:9]
	v_lshlrev_b32_e32 v1, 2, v1
	ds_bpermute_b32 v40, v1, v2
	ds_bpermute_b32 v1, v1, v3
	s_and_saveexec_b64 s[12:13], vcc
	s_cbranch_execz .LBB245_68
; %bb.50:
	v_mov_b32_e32 v5, 0
	ds_read_b64 v[2:3], v5 offset:24
	s_and_saveexec_b64 s[8:9], s[6:7]
	s_cbranch_execz .LBB245_52
; %bb.51:
	s_add_i32 s10, s24, 64
	s_mov_b32 s11, 0
	s_lshl_b64 s[10:11], s[10:11], 4
	s_add_u32 s10, s22, s10
	s_addc_u32 s11, s23, s11
	v_mov_b32_e32 v4, 1
	v_pk_mov_b32 v[6:7], s[10:11], s[10:11] op_sel:[0,1]
	s_waitcnt lgkmcnt(0)
	;;#ASMSTART
	global_store_dwordx4 v[6:7], v[2:5] off	
s_waitcnt vmcnt(0)
	;;#ASMEND
.LBB245_52:
	s_or_b64 exec, exec, s[8:9]
	v_xad_u32 v34, v23, -1, s24
	v_add_u32_e32 v4, 64, v34
	v_lshlrev_b64 v[6:7], 4, v[4:5]
	v_mov_b32_e32 v4, s23
	v_add_co_u32_e32 v36, vcc, s22, v6
	v_addc_co_u32_e32 v37, vcc, v4, v7, vcc
	;;#ASMSTART
	global_load_dwordx4 v[6:9], v[36:37] off glc	
s_waitcnt vmcnt(0)
	;;#ASMEND
	v_and_b32_e32 v4, 0xff, v7
	v_and_b32_e32 v9, 0xff00, v7
	v_or3_b32 v4, 0, v4, v9
	v_or3_b32 v6, v6, 0, 0
	v_and_b32_e32 v9, 0xff000000, v7
	v_and_b32_e32 v7, 0xff0000, v7
	v_or3_b32 v7, v4, v7, v9
	v_or3_b32 v6, v6, 0, 0
	v_cmp_eq_u16_sdwa s[10:11], v8, v5 src0_sel:BYTE_0 src1_sel:DWORD
	s_and_saveexec_b64 s[8:9], s[10:11]
	s_cbranch_execz .LBB245_56
; %bb.53:
	s_mov_b64 s[10:11], 0
	v_mov_b32_e32 v4, 0
.LBB245_54:                             ; =>This Inner Loop Header: Depth=1
	;;#ASMSTART
	global_load_dwordx4 v[6:9], v[36:37] off glc	
s_waitcnt vmcnt(0)
	;;#ASMEND
	v_cmp_ne_u16_sdwa s[26:27], v8, v4 src0_sel:BYTE_0 src1_sel:DWORD
	s_or_b64 s[10:11], s[26:27], s[10:11]
	s_andn2_b64 exec, exec, s[10:11]
	s_cbranch_execnz .LBB245_54
; %bb.55:
	s_or_b64 exec, exec, s[10:11]
.LBB245_56:
	s_or_b64 exec, exec, s[8:9]
	v_and_b32_e32 v42, 63, v23
	v_mov_b32_e32 v41, 2
	v_cmp_ne_u32_e32 vcc, 63, v42
	v_cmp_eq_u16_sdwa s[8:9], v8, v41 src0_sel:BYTE_0 src1_sel:DWORD
	v_lshlrev_b64 v[36:37], v23, -1
	v_addc_co_u32_e32 v9, vcc, 0, v23, vcc
	v_and_b32_e32 v4, s9, v37
	v_lshlrev_b32_e32 v43, 2, v9
	v_or_b32_e32 v4, 0x80000000, v4
	ds_bpermute_b32 v9, v43, v6
	v_and_b32_e32 v5, s8, v36
	v_ffbl_b32_e32 v4, v4
	v_add_u32_e32 v4, 32, v4
	v_ffbl_b32_e32 v5, v5
	v_min_u32_e32 v4, v5, v4
	ds_bpermute_b32 v5, v43, v7
	s_waitcnt lgkmcnt(1)
	v_add_co_u32_e32 v9, vcc, v6, v9
	v_addc_co_u32_e32 v38, vcc, 0, v7, vcc
	v_add_co_u32_e32 v39, vcc, 0, v9
	v_cmp_gt_u32_e64 s[8:9], 62, v42
	s_waitcnt lgkmcnt(0)
	v_addc_co_u32_e32 v5, vcc, v5, v38, vcc
	v_cndmask_b32_e64 v38, 0, 1, s[8:9]
	v_cmp_lt_u32_e32 vcc, v42, v4
	v_lshlrev_b32_e32 v38, 1, v38
	v_cndmask_b32_e32 v9, v6, v9, vcc
	v_add_lshl_u32 v44, v38, v23, 2
	v_cndmask_b32_e32 v5, v7, v5, vcc
	ds_bpermute_b32 v38, v44, v9
	ds_bpermute_b32 v46, v44, v5
	v_cndmask_b32_e32 v39, v6, v39, vcc
	v_add_u32_e32 v45, 2, v42
	v_cmp_gt_u32_e64 s[10:11], 60, v42
	s_waitcnt lgkmcnt(1)
	v_add_co_u32_e64 v38, s[8:9], v38, v39
	s_waitcnt lgkmcnt(0)
	v_addc_co_u32_e64 v46, s[8:9], v46, v5, s[8:9]
	v_cmp_gt_u32_e64 s[8:9], v45, v4
	v_cndmask_b32_e64 v5, v46, v5, s[8:9]
	v_cndmask_b32_e64 v46, 0, 1, s[10:11]
	v_lshlrev_b32_e32 v46, 2, v46
	v_cndmask_b32_e64 v9, v38, v9, s[8:9]
	v_add_lshl_u32 v46, v46, v23, 2
	ds_bpermute_b32 v48, v46, v9
	v_cndmask_b32_e64 v38, v38, v39, s[8:9]
	ds_bpermute_b32 v39, v46, v5
	v_add_u32_e32 v47, 4, v42
	v_cmp_gt_u32_e64 s[10:11], 56, v42
	s_waitcnt lgkmcnt(1)
	v_add_co_u32_e64 v49, s[8:9], v48, v38
	s_waitcnt lgkmcnt(0)
	v_addc_co_u32_e64 v39, s[8:9], v39, v5, s[8:9]
	v_cmp_gt_u32_e64 s[8:9], v47, v4
	v_cndmask_b32_e64 v5, v39, v5, s[8:9]
	v_cndmask_b32_e64 v39, 0, 1, s[10:11]
	v_lshlrev_b32_e32 v39, 3, v39
	v_cndmask_b32_e64 v9, v49, v9, s[8:9]
	v_add_lshl_u32 v48, v39, v23, 2
	ds_bpermute_b32 v39, v48, v9
	ds_bpermute_b32 v50, v48, v5
	v_cndmask_b32_e64 v38, v49, v38, s[8:9]
	v_add_u32_e32 v49, 8, v42
	v_cmp_gt_u32_e64 s[10:11], 48, v42
	s_waitcnt lgkmcnt(1)
	v_add_co_u32_e64 v39, s[8:9], v39, v38
	s_waitcnt lgkmcnt(0)
	v_addc_co_u32_e64 v50, s[8:9], v50, v5, s[8:9]
	v_cmp_gt_u32_e64 s[8:9], v49, v4
	v_cndmask_b32_e64 v5, v50, v5, s[8:9]
	v_cndmask_b32_e64 v50, 0, 1, s[10:11]
	v_lshlrev_b32_e32 v50, 4, v50
	v_cndmask_b32_e64 v9, v39, v9, s[8:9]
	v_add_lshl_u32 v50, v50, v23, 2
	ds_bpermute_b32 v52, v50, v9
	v_cndmask_b32_e64 v38, v39, v38, s[8:9]
	ds_bpermute_b32 v39, v50, v5
	v_cmp_gt_u32_e64 s[10:11], 32, v42
	v_add_u32_e32 v51, 16, v42
	s_waitcnt lgkmcnt(1)
	v_add_co_u32_e64 v54, s[8:9], v52, v38
	s_waitcnt lgkmcnt(0)
	v_addc_co_u32_e64 v39, s[8:9], v39, v5, s[8:9]
	v_cndmask_b32_e64 v52, 0, 1, s[10:11]
	v_cmp_gt_u32_e64 s[8:9], v51, v4
	v_lshlrev_b32_e32 v52, 5, v52
	v_cndmask_b32_e64 v9, v54, v9, s[8:9]
	v_add_lshl_u32 v52, v52, v23, 2
	v_cndmask_b32_e64 v5, v39, v5, s[8:9]
	ds_bpermute_b32 v9, v52, v9
	ds_bpermute_b32 v39, v52, v5
	v_add_u32_e32 v53, 32, v42
	v_cndmask_b32_e64 v38, v54, v38, s[8:9]
	v_cmp_le_u32_e64 s[8:9], v53, v4
	s_waitcnt lgkmcnt(1)
	v_cndmask_b32_e64 v9, 0, v9, s[8:9]
	s_waitcnt lgkmcnt(0)
	v_cndmask_b32_e64 v4, 0, v39, s[8:9]
	v_add_co_u32_e64 v9, s[8:9], v9, v38
	v_addc_co_u32_e64 v4, s[8:9], v4, v5, s[8:9]
	v_mov_b32_e32 v35, 0
	v_cndmask_b32_e32 v7, v7, v4, vcc
	v_cndmask_b32_e32 v6, v6, v9, vcc
	s_branch .LBB245_58
.LBB245_57:                             ;   in Loop: Header=BB245_58 Depth=1
	s_or_b64 exec, exec, s[8:9]
	v_cmp_eq_u16_sdwa s[8:9], v8, v41 src0_sel:BYTE_0 src1_sel:DWORD
	v_and_b32_e32 v9, s9, v37
	v_or_b32_e32 v9, 0x80000000, v9
	ds_bpermute_b32 v39, v43, v6
	v_and_b32_e32 v38, s8, v36
	v_ffbl_b32_e32 v9, v9
	v_add_u32_e32 v9, 32, v9
	v_ffbl_b32_e32 v38, v38
	v_min_u32_e32 v9, v38, v9
	ds_bpermute_b32 v38, v43, v7
	s_waitcnt lgkmcnt(1)
	v_add_co_u32_e32 v39, vcc, v6, v39
	v_addc_co_u32_e32 v54, vcc, 0, v7, vcc
	v_add_co_u32_e32 v55, vcc, 0, v39
	s_waitcnt lgkmcnt(0)
	v_addc_co_u32_e32 v38, vcc, v38, v54, vcc
	v_cmp_lt_u32_e32 vcc, v42, v9
	v_cndmask_b32_e32 v39, v6, v39, vcc
	ds_bpermute_b32 v54, v44, v39
	v_cndmask_b32_e32 v38, v7, v38, vcc
	ds_bpermute_b32 v56, v44, v38
	v_cndmask_b32_e32 v55, v6, v55, vcc
	v_subrev_u32_e32 v34, 64, v34
	s_waitcnt lgkmcnt(1)
	v_add_co_u32_e64 v54, s[8:9], v54, v55
	s_waitcnt lgkmcnt(0)
	v_addc_co_u32_e64 v56, s[8:9], v56, v38, s[8:9]
	v_cmp_gt_u32_e64 s[8:9], v45, v9
	v_cndmask_b32_e64 v39, v54, v39, s[8:9]
	ds_bpermute_b32 v57, v46, v39
	v_cndmask_b32_e64 v38, v56, v38, s[8:9]
	ds_bpermute_b32 v56, v46, v38
	v_cndmask_b32_e64 v54, v54, v55, s[8:9]
	s_waitcnt lgkmcnt(1)
	v_add_co_u32_e64 v55, s[8:9], v57, v54
	s_waitcnt lgkmcnt(0)
	v_addc_co_u32_e64 v56, s[8:9], v56, v38, s[8:9]
	v_cmp_gt_u32_e64 s[8:9], v47, v9
	v_cndmask_b32_e64 v39, v55, v39, s[8:9]
	ds_bpermute_b32 v57, v48, v39
	v_cndmask_b32_e64 v38, v56, v38, s[8:9]
	ds_bpermute_b32 v56, v48, v38
	v_cndmask_b32_e64 v54, v55, v54, s[8:9]
	;; [unrolled: 10-line block ×3, first 2 shown]
	s_waitcnt lgkmcnt(1)
	v_add_co_u32_e64 v55, s[8:9], v57, v54
	s_waitcnt lgkmcnt(0)
	v_addc_co_u32_e64 v56, s[8:9], v56, v38, s[8:9]
	v_cmp_gt_u32_e64 s[8:9], v51, v9
	v_cndmask_b32_e64 v39, v55, v39, s[8:9]
	v_cndmask_b32_e64 v38, v56, v38, s[8:9]
	ds_bpermute_b32 v39, v52, v39
	ds_bpermute_b32 v56, v52, v38
	v_cndmask_b32_e64 v54, v55, v54, s[8:9]
	v_cmp_le_u32_e64 s[8:9], v53, v9
	s_waitcnt lgkmcnt(1)
	v_cndmask_b32_e64 v39, 0, v39, s[8:9]
	s_waitcnt lgkmcnt(0)
	v_cndmask_b32_e64 v9, 0, v56, s[8:9]
	v_add_co_u32_e64 v39, s[8:9], v39, v54
	v_addc_co_u32_e64 v9, s[8:9], v9, v38, s[8:9]
	v_cndmask_b32_e32 v6, v6, v39, vcc
	v_cndmask_b32_e32 v7, v7, v9, vcc
	v_add_co_u32_e32 v6, vcc, v6, v4
	v_addc_co_u32_e32 v7, vcc, v7, v5, vcc
.LBB245_58:                             ; =>This Loop Header: Depth=1
                                        ;     Child Loop BB245_61 Depth 2
	v_cmp_ne_u16_sdwa s[8:9], v8, v41 src0_sel:BYTE_0 src1_sel:DWORD
	v_cndmask_b32_e64 v4, 0, 1, s[8:9]
	;;#ASMSTART
	;;#ASMEND
	v_cmp_ne_u32_e32 vcc, 0, v4
	s_cmp_lg_u64 vcc, exec
	v_pk_mov_b32 v[4:5], v[6:7], v[6:7] op_sel:[0,1]
	s_cbranch_scc1 .LBB245_63
; %bb.59:                               ;   in Loop: Header=BB245_58 Depth=1
	v_lshlrev_b64 v[6:7], 4, v[34:35]
	v_mov_b32_e32 v8, s23
	v_add_co_u32_e32 v38, vcc, s22, v6
	v_addc_co_u32_e32 v39, vcc, v8, v7, vcc
	;;#ASMSTART
	global_load_dwordx4 v[6:9], v[38:39] off glc	
s_waitcnt vmcnt(0)
	;;#ASMEND
	v_and_b32_e32 v9, 0xff, v7
	v_and_b32_e32 v54, 0xff00, v7
	v_or3_b32 v9, 0, v9, v54
	v_or3_b32 v6, v6, 0, 0
	v_and_b32_e32 v54, 0xff000000, v7
	v_and_b32_e32 v7, 0xff0000, v7
	v_or3_b32 v7, v9, v7, v54
	v_or3_b32 v6, v6, 0, 0
	v_cmp_eq_u16_sdwa s[10:11], v8, v35 src0_sel:BYTE_0 src1_sel:DWORD
	s_and_saveexec_b64 s[8:9], s[10:11]
	s_cbranch_execz .LBB245_57
; %bb.60:                               ;   in Loop: Header=BB245_58 Depth=1
	s_mov_b64 s[10:11], 0
.LBB245_61:                             ;   Parent Loop BB245_58 Depth=1
                                        ; =>  This Inner Loop Header: Depth=2
	;;#ASMSTART
	global_load_dwordx4 v[6:9], v[38:39] off glc	
s_waitcnt vmcnt(0)
	;;#ASMEND
	v_cmp_ne_u16_sdwa s[26:27], v8, v35 src0_sel:BYTE_0 src1_sel:DWORD
	s_or_b64 s[10:11], s[26:27], s[10:11]
	s_andn2_b64 exec, exec, s[10:11]
	s_cbranch_execnz .LBB245_61
; %bb.62:                               ;   in Loop: Header=BB245_58 Depth=1
	s_or_b64 exec, exec, s[10:11]
	s_branch .LBB245_57
.LBB245_63:                             ;   in Loop: Header=BB245_58 Depth=1
                                        ; implicit-def: $vgpr6_vgpr7
                                        ; implicit-def: $vgpr8
	s_cbranch_execz .LBB245_58
; %bb.64:
	s_and_saveexec_b64 s[8:9], s[6:7]
	s_cbranch_execz .LBB245_66
; %bb.65:
	s_add_i32 s10, s24, 64
	s_mov_b32 s11, 0
	s_lshl_b64 s[10:11], s[10:11], 4
	s_add_u32 s10, s22, s10
	v_add_co_u32_e32 v6, vcc, v4, v2
	s_addc_u32 s11, s23, s11
	v_addc_co_u32_e32 v7, vcc, v5, v3, vcc
	v_mov_b32_e32 v8, 2
	v_mov_b32_e32 v9, 0
	v_pk_mov_b32 v[34:35], s[10:11], s[10:11] op_sel:[0,1]
	;;#ASMSTART
	global_store_dwordx4 v[34:35], v[6:9] off	
s_waitcnt vmcnt(0)
	;;#ASMEND
	ds_write_b128 v9, v[2:5] offset:7168
.LBB245_66:
	s_or_b64 exec, exec, s[8:9]
	s_and_b64 exec, exec, s[0:1]
	s_cbranch_execz .LBB245_68
; %bb.67:
	v_mov_b32_e32 v2, 0
	ds_write_b64 v2, v[4:5] offset:24
.LBB245_68:
	s_or_b64 exec, exec, s[12:13]
	v_mov_b32_e32 v5, 0
	s_waitcnt lgkmcnt(0)
	s_barrier
	ds_read_b64 v[2:3], v5 offset:24
	v_cndmask_b32_e64 v4, v40, v32, s[6:7]
	v_cndmask_b32_e64 v1, v1, v33, s[6:7]
	;; [unrolled: 1-line block ×4, first 2 shown]
	s_waitcnt lgkmcnt(0)
	v_add_co_u32_e32 v40, vcc, v2, v4
	v_addc_co_u32_e32 v41, vcc, v3, v1, vcc
	v_add_co_u32_e32 v38, vcc, v40, v28
	v_addc_co_u32_e32 v39, vcc, 0, v41, vcc
	;; [unrolled: 2-line block ×5, first 2 shown]
	s_barrier
	ds_read_b128 v[4:7], v5 offset:7168
	v_add_co_u32_e32 v2, vcc, v32, v20
	v_addc_co_u32_e32 v3, vcc, 0, v33, vcc
	v_add_co_u32_e32 v8, vcc, v2, v18
	v_addc_co_u32_e32 v9, vcc, 0, v3, vcc
	s_branch .LBB245_81
.LBB245_69:
                                        ; implicit-def: $vgpr6_vgpr7
                                        ; implicit-def: $vgpr8_vgpr9
                                        ; implicit-def: $vgpr2_vgpr3
                                        ; implicit-def: $vgpr32_vgpr33
                                        ; implicit-def: $vgpr34_vgpr35
                                        ; implicit-def: $vgpr36_vgpr37
                                        ; implicit-def: $vgpr38_vgpr39
                                        ; implicit-def: $vgpr40_vgpr41
	s_cbranch_execz .LBB245_81
; %bb.70:
	v_mov_b32_dpp v1, v30 row_shr:1 row_mask:0xf bank_mask:0xf
	v_add_co_u32_e32 v1, vcc, v30, v1
	v_mov_b32_e32 v2, 0
	v_addc_co_u32_e32 v3, vcc, 0, v31, vcc
	s_nop 0
	v_mov_b32_dpp v2, v2 row_shr:1 row_mask:0xf bank_mask:0xf
	s_waitcnt lgkmcnt(0)
	v_add_co_u32_e32 v4, vcc, 0, v1
	v_addc_co_u32_e32 v2, vcc, v2, v3, vcc
	v_cndmask_b32_e64 v1, v1, v30, s[4:5]
	v_cndmask_b32_e64 v3, v2, 0, s[4:5]
	v_cndmask_b32_e64 v4, v4, v30, s[4:5]
	v_mov_b32_dpp v5, v1 row_shr:2 row_mask:0xf bank_mask:0xf
	v_cndmask_b32_e64 v2, v2, v31, s[4:5]
	v_mov_b32_dpp v6, v3 row_shr:2 row_mask:0xf bank_mask:0xf
	v_add_co_u32_e32 v5, vcc, v5, v4
	v_addc_co_u32_e32 v6, vcc, v6, v2, vcc
	v_cndmask_b32_e64 v1, v1, v5, s[2:3]
	v_cndmask_b32_e64 v3, v3, v6, s[2:3]
	;; [unrolled: 1-line block ×3, first 2 shown]
	v_mov_b32_dpp v5, v1 row_shr:4 row_mask:0xf bank_mask:0xf
	v_cndmask_b32_e64 v2, v2, v6, s[2:3]
	v_mov_b32_dpp v6, v3 row_shr:4 row_mask:0xf bank_mask:0xf
	v_add_co_u32_e32 v5, vcc, v5, v4
	v_addc_co_u32_e32 v6, vcc, v6, v2, vcc
	v_cmp_lt_u32_e32 vcc, 3, v29
	v_cndmask_b32_e32 v1, v1, v5, vcc
	v_cndmask_b32_e32 v3, v3, v6, vcc
	;; [unrolled: 1-line block ×3, first 2 shown]
	v_mov_b32_dpp v5, v1 row_shr:8 row_mask:0xf bank_mask:0xf
	v_cndmask_b32_e32 v2, v2, v6, vcc
	v_mov_b32_dpp v6, v3 row_shr:8 row_mask:0xf bank_mask:0xf
	v_add_co_u32_e32 v5, vcc, v5, v4
	v_addc_co_u32_e32 v6, vcc, v6, v2, vcc
	v_cmp_lt_u32_e32 vcc, 7, v29
	v_cndmask_b32_e32 v8, v1, v5, vcc
	v_cndmask_b32_e32 v7, v3, v6, vcc
	;; [unrolled: 1-line block ×4, first 2 shown]
	v_mov_b32_dpp v3, v8 row_bcast:15 row_mask:0xf bank_mask:0xf
	v_mov_b32_dpp v4, v7 row_bcast:15 row_mask:0xf bank_mask:0xf
	v_add_co_u32_e32 v3, vcc, v3, v2
	v_addc_co_u32_e32 v5, vcc, v4, v1, vcc
	v_cmp_eq_u32_e64 s[2:3], 0, v27
	v_cndmask_b32_e64 v6, v5, v7, s[2:3]
	v_cndmask_b32_e64 v4, v3, v8, s[2:3]
	v_cmp_eq_u32_e32 vcc, 0, v23
	v_mov_b32_dpp v6, v6 row_bcast:31 row_mask:0xf bank_mask:0xf
	v_mov_b32_dpp v4, v4 row_bcast:31 row_mask:0xf bank_mask:0xf
	v_cmp_ne_u32_e64 s[4:5], 0, v23
	s_and_saveexec_b64 s[6:7], s[4:5]
; %bb.71:
	v_cndmask_b32_e64 v1, v5, v1, s[2:3]
	v_cndmask_b32_e64 v2, v3, v2, s[2:3]
	v_cmp_lt_u32_e64 s[2:3], 31, v23
	v_cndmask_b32_e64 v4, 0, v4, s[2:3]
	v_cndmask_b32_e64 v3, 0, v6, s[2:3]
	v_add_co_u32_e64 v30, s[2:3], v4, v2
	v_addc_co_u32_e64 v31, s[2:3], v3, v1, s[2:3]
; %bb.72:
	s_or_b64 exec, exec, s[6:7]
	v_or_b32_e32 v2, 63, v0
	v_lshrrev_b32_e32 v1, 6, v0
	v_cmp_eq_u32_e64 s[2:3], v2, v0
	s_and_saveexec_b64 s[4:5], s[2:3]
	s_cbranch_execz .LBB245_74
; %bb.73:
	v_lshlrev_b32_e32 v2, 3, v1
	ds_write_b64 v2, v[30:31]
.LBB245_74:
	s_or_b64 exec, exec, s[4:5]
	v_cmp_gt_u32_e64 s[2:3], 4, v0
	s_waitcnt lgkmcnt(0)
	s_barrier
	s_and_saveexec_b64 s[6:7], s[2:3]
	s_cbranch_execz .LBB245_76
; %bb.75:
	v_add_u32_e32 v4, v25, v0
	ds_read_b64 v[2:3], v4
	v_and_b32_e32 v5, 3, v23
	v_cmp_ne_u32_e64 s[4:5], 1, v5
	s_waitcnt lgkmcnt(0)
	v_mov_b32_dpp v6, v2 row_shr:1 row_mask:0xf bank_mask:0xf
	v_add_co_u32_e64 v6, s[2:3], v2, v6
	v_addc_co_u32_e64 v8, s[2:3], 0, v3, s[2:3]
	v_mov_b32_dpp v7, v3 row_shr:1 row_mask:0xf bank_mask:0xf
	v_add_co_u32_e64 v9, s[2:3], 0, v6
	v_addc_co_u32_e64 v7, s[2:3], v7, v8, s[2:3]
	v_cmp_eq_u32_e64 s[2:3], 0, v5
	v_cndmask_b32_e64 v6, v6, v2, s[2:3]
	v_cndmask_b32_e64 v8, v7, v3, s[2:3]
	s_nop 0
	v_mov_b32_dpp v6, v6 row_shr:2 row_mask:0xf bank_mask:0xf
	v_mov_b32_dpp v8, v8 row_shr:2 row_mask:0xf bank_mask:0xf
	v_cndmask_b32_e64 v5, 0, v6, s[4:5]
	v_cndmask_b32_e64 v6, 0, v8, s[4:5]
	v_add_co_u32_e64 v5, s[4:5], v5, v9
	v_addc_co_u32_e64 v6, s[4:5], v6, v7, s[4:5]
	v_cndmask_b32_e64 v3, v6, v3, s[2:3]
	v_cndmask_b32_e64 v2, v5, v2, s[2:3]
	ds_write_b64 v4, v[2:3]
.LBB245_76:
	s_or_b64 exec, exec, s[6:7]
	v_cmp_lt_u32_e64 s[2:3], 63, v0
	v_pk_mov_b32 v[2:3], 0, 0
	s_waitcnt lgkmcnt(0)
	s_barrier
	s_and_saveexec_b64 s[4:5], s[2:3]
	s_cbranch_execz .LBB245_78
; %bb.77:
	v_lshl_add_u32 v1, v1, 3, -8
	ds_read_b64 v[2:3], v1
.LBB245_78:
	s_or_b64 exec, exec, s[4:5]
	s_waitcnt lgkmcnt(0)
	v_add_co_u32_e64 v1, s[2:3], v2, v30
	v_addc_co_u32_e64 v4, s[2:3], v3, v31, s[2:3]
	v_add_u32_e32 v5, -1, v23
	v_and_b32_e32 v6, 64, v23
	v_cmp_lt_i32_e64 s[2:3], v5, v6
	v_cndmask_b32_e64 v5, v5, v23, s[2:3]
	v_lshlrev_b32_e32 v5, 2, v5
	v_mov_b32_e32 v7, 0
	ds_bpermute_b32 v1, v5, v1
	ds_bpermute_b32 v8, v5, v4
	ds_read_b64 v[4:5], v7 offset:24
	s_and_saveexec_b64 s[2:3], s[0:1]
	s_cbranch_execz .LBB245_80
; %bb.79:
	s_add_u32 s4, s22, 0x400
	s_addc_u32 s5, s23, 0
	v_mov_b32_e32 v6, 2
	v_pk_mov_b32 v[30:31], s[4:5], s[4:5] op_sel:[0,1]
	s_waitcnt lgkmcnt(0)
	;;#ASMSTART
	global_store_dwordx4 v[30:31], v[4:7] off	
s_waitcnt vmcnt(0)
	;;#ASMEND
.LBB245_80:
	s_or_b64 exec, exec, s[2:3]
	s_waitcnt lgkmcnt(2)
	v_cndmask_b32_e32 v1, v1, v2, vcc
	s_waitcnt lgkmcnt(1)
	v_cndmask_b32_e32 v2, v8, v3, vcc
	v_cndmask_b32_e64 v40, v1, 0, s[0:1]
	v_cndmask_b32_e64 v41, v2, 0, s[0:1]
	v_add_co_u32_e32 v38, vcc, v40, v28
	v_addc_co_u32_e32 v39, vcc, 0, v41, vcc
	v_add_co_u32_e32 v36, vcc, v38, v26
	v_addc_co_u32_e32 v37, vcc, 0, v39, vcc
	;; [unrolled: 2-line block ×6, first 2 shown]
	s_waitcnt lgkmcnt(0)
	s_barrier
	v_pk_mov_b32 v[6:7], 0, 0
.LBB245_81:
	s_mov_b64 s[2:3], 0x101
	s_waitcnt lgkmcnt(0)
	v_cmp_gt_u64_e32 vcc, s[2:3], v[4:5]
	s_mov_b64 s[2:3], -1
	s_cbranch_vccnz .LBB245_85
; %bb.82:
	s_and_b64 vcc, exec, s[2:3]
	s_cbranch_vccnz .LBB245_107
.LBB245_83:
	s_and_b64 s[0:1], s[0:1], s[18:19]
	s_and_saveexec_b64 s[2:3], s[0:1]
	s_cbranch_execnz .LBB245_126
.LBB245_84:
	s_endpgm
.LBB245_85:
	v_add_co_u32_e32 v30, vcc, v6, v4
	v_addc_co_u32_e32 v31, vcc, v7, v5, vcc
	s_waitcnt vmcnt(0)
	v_lshlrev_b64 v[42:43], 2, v[12:13]
	v_mov_b32_e32 v23, s15
	v_add_co_u32_e32 v1, vcc, s14, v42
	v_addc_co_u32_e32 v23, vcc, v23, v43, vcc
	v_cmp_lt_u64_e32 vcc, v[40:41], v[30:31]
	s_or_b64 s[4:5], s[20:21], vcc
	s_and_saveexec_b64 s[2:3], s[4:5]
	s_cbranch_execz .LBB245_88
; %bb.86:
	v_cmp_eq_u32_e32 vcc, 1, v28
	s_and_b64 exec, exec, vcc
	s_cbranch_execz .LBB245_88
; %bb.87:
	v_lshlrev_b64 v[42:43], 2, v[40:41]
	v_add_co_u32_e32 v42, vcc, v1, v42
	v_addc_co_u32_e32 v43, vcc, v23, v43, vcc
	global_store_dword v[42:43], v16, off
.LBB245_88:
	s_or_b64 exec, exec, s[2:3]
	v_cmp_lt_u64_e32 vcc, v[38:39], v[30:31]
	s_or_b64 s[4:5], s[20:21], vcc
	s_and_saveexec_b64 s[2:3], s[4:5]
	s_cbranch_execz .LBB245_91
; %bb.89:
	v_cmp_eq_u32_e32 vcc, 1, v26
	s_and_b64 exec, exec, vcc
	s_cbranch_execz .LBB245_91
; %bb.90:
	v_lshlrev_b64 v[42:43], 2, v[38:39]
	v_add_co_u32_e32 v42, vcc, v1, v42
	v_addc_co_u32_e32 v43, vcc, v23, v43, vcc
	global_store_dword v[42:43], v17, off
.LBB245_91:
	s_or_b64 exec, exec, s[2:3]
	;; [unrolled: 15-line block ×7, first 2 shown]
	s_branch .LBB245_83
.LBB245_107:
	v_cmp_eq_u32_e32 vcc, 1, v28
	s_and_saveexec_b64 s[2:3], vcc
	s_cbranch_execnz .LBB245_127
; %bb.108:
	s_or_b64 exec, exec, s[2:3]
	v_cmp_eq_u32_e32 vcc, 1, v26
	s_and_saveexec_b64 s[2:3], vcc
	s_cbranch_execnz .LBB245_128
.LBB245_109:
	s_or_b64 exec, exec, s[2:3]
	v_cmp_eq_u32_e32 vcc, 1, v24
	s_and_saveexec_b64 s[2:3], vcc
	s_cbranch_execnz .LBB245_129
.LBB245_110:
	s_or_b64 exec, exec, s[2:3]
	v_cmp_eq_u32_e32 vcc, 1, v22
	s_and_saveexec_b64 s[2:3], vcc
	s_cbranch_execnz .LBB245_130
.LBB245_111:
	s_or_b64 exec, exec, s[2:3]
	v_cmp_eq_u32_e32 vcc, 1, v20
	s_and_saveexec_b64 s[2:3], vcc
	s_cbranch_execnz .LBB245_131
.LBB245_112:
	s_or_b64 exec, exec, s[2:3]
	v_cmp_eq_u32_e32 vcc, 1, v18
	s_and_saveexec_b64 s[2:3], vcc
	s_cbranch_execnz .LBB245_132
.LBB245_113:
	s_or_b64 exec, exec, s[2:3]
	v_cmp_eq_u32_e32 vcc, 1, v21
	s_and_saveexec_b64 s[2:3], vcc
	s_cbranch_execz .LBB245_115
.LBB245_114:
	v_sub_u32_e32 v1, v8, v6
	v_lshlrev_b32_e32 v1, 2, v1
	ds_write_b32 v1, v19
.LBB245_115:
	s_or_b64 exec, exec, s[2:3]
	v_mov_b32_e32 v1, 0
	v_cmp_gt_u64_e32 vcc, v[4:5], v[0:1]
	s_waitcnt lgkmcnt(0)
	s_barrier
	s_and_saveexec_b64 s[8:9], vcc
	s_cbranch_execz .LBB245_125
; %bb.116:
	v_not_b32_e32 v3, v0
	v_not_b32_e32 v2, 0
	v_add_co_u32_e32 v8, vcc, v4, v3
	v_addc_co_u32_e32 v9, vcc, v5, v2, vcc
	s_mov_b64 s[2:3], 0x2f00
	s_mov_b64 s[4:5], 0x2eff
	v_cmp_gt_u64_e64 s[2:3], s[2:3], v[8:9]
	v_cmp_lt_u64_e32 vcc, s[4:5], v[8:9]
	v_pk_mov_b32 v[2:3], v[0:1], v[0:1] op_sel:[0,1]
	s_and_saveexec_b64 s[10:11], vcc
	s_cbranch_execz .LBB245_122
; %bb.117:
	v_alignbit_b32 v2, v9, v8, 8
	s_mov_b32 s4, 0xffffff
	s_mov_b32 s6, -1
	v_lshlrev_b32_e32 v3, 8, v2
	v_cmp_lt_u32_e32 vcc, s4, v2
	v_not_b32_e32 v2, v0
	s_movk_i32 s7, 0xff
	v_cmp_gt_u32_e64 s[4:5], v3, v2
	v_xor_b32_e32 v2, 0xfffffeff, v0
	v_cmp_lt_u64_e64 s[6:7], s[6:7], v[8:9]
	s_or_b64 s[12:13], s[4:5], vcc
	v_cmp_lt_u32_e64 s[4:5], v2, v3
	s_or_b64 s[6:7], vcc, s[6:7]
	s_or_b64 s[4:5], s[6:7], s[4:5]
	s_or_b64 s[6:7], s[12:13], s[4:5]
	s_mov_b64 s[4:5], -1
	s_xor_b64 s[12:13], s[6:7], -1
	v_pk_mov_b32 v[2:3], v[0:1], v[0:1] op_sel:[0,1]
	s_and_saveexec_b64 s[6:7], s[12:13]
	s_cbranch_execz .LBB245_121
; %bb.118:
	v_lshrrev_b64 v[2:3], 8, v[8:9]
	v_add_co_u32_e32 v14, vcc, 1, v2
	v_addc_co_u32_e32 v15, vcc, 0, v3, vcc
	v_lshlrev_b64 v[8:9], 2, v[6:7]
	s_waitcnt vmcnt(0)
	v_lshlrev_b64 v[10:11], 2, v[12:13]
	v_add_co_u32_e32 v8, vcc, v8, v10
	v_addc_co_u32_e32 v9, vcc, v9, v11, vcc
	v_mov_b32_e32 v11, s15
	v_add_co_u32_e32 v8, vcc, s14, v8
	v_lshlrev_b32_e32 v10, 2, v0
	v_addc_co_u32_e32 v9, vcc, v11, v9, vcc
	v_add_co_u32_e32 v8, vcc, v8, v10
	v_addc_co_u32_e32 v9, vcc, 0, v9, vcc
	s_movk_i32 s4, 0x400
	v_or_b32_e32 v2, 0x100, v0
	v_mov_b32_e32 v3, v1
	v_add_co_u32_e32 v18, vcc, s4, v8
	v_and_b32_e32 v16, -2, v14
	v_mov_b32_e32 v17, v15
	v_addc_co_u32_e32 v19, vcc, 0, v9, vcc
	v_pk_mov_b32 v[10:11], v[2:3], v[2:3] op_sel:[0,1]
	s_mov_b64 s[12:13], 0
	v_pk_mov_b32 v[20:21], v[16:17], v[16:17] op_sel:[0,1]
	v_pk_mov_b32 v[8:9], v[0:1], v[0:1] op_sel:[0,1]
.LBB245_119:                            ; =>This Inner Loop Header: Depth=1
	v_lshlrev_b32_e32 v1, 2, v8
	v_lshlrev_b32_e32 v2, 2, v10
	ds_read_b32 v1, v1
	ds_read_b32 v2, v2
	v_add_co_u32_e32 v10, vcc, 0x200, v10
	v_addc_co_u32_e32 v11, vcc, 0, v11, vcc
	v_add_co_u32_e64 v20, s[4:5], -2, v20
	v_add_co_u32_e32 v8, vcc, 0x200, v8
	v_addc_co_u32_e64 v21, s[4:5], -1, v21, s[4:5]
	v_addc_co_u32_e32 v9, vcc, 0, v9, vcc
	v_cmp_eq_u64_e64 s[4:5], 0, v[20:21]
	s_waitcnt lgkmcnt(1)
	global_store_dword v[18:19], v1, off offset:-1024
	s_waitcnt lgkmcnt(0)
	global_store_dword v[18:19], v2, off
	v_add_co_u32_e32 v18, vcc, 0x800, v18
	s_or_b64 s[12:13], s[4:5], s[12:13]
	v_addc_co_u32_e32 v19, vcc, 0, v19, vcc
	s_andn2_b64 exec, exec, s[12:13]
	s_cbranch_execnz .LBB245_119
; %bb.120:
	s_or_b64 exec, exec, s[12:13]
	v_lshlrev_b64 v[2:3], 8, v[16:17]
	v_cmp_ne_u64_e32 vcc, v[14:15], v[16:17]
	v_or_b32_e32 v3, 0, v3
	v_or_b32_e32 v2, v2, v0
	v_lshl_or_b32 v0, v16, 8, v0
	s_orn2_b64 s[4:5], vcc, exec
.LBB245_121:
	s_or_b64 exec, exec, s[6:7]
	s_andn2_b64 s[2:3], s[2:3], exec
	s_and_b64 s[4:5], s[4:5], exec
	s_or_b64 s[2:3], s[2:3], s[4:5]
.LBB245_122:
	s_or_b64 exec, exec, s[10:11]
	s_and_b64 exec, exec, s[2:3]
	s_cbranch_execz .LBB245_125
; %bb.123:
	v_lshlrev_b64 v[8:9], 2, v[6:7]
	v_mov_b32_e32 v1, s15
	v_add_co_u32_e32 v10, vcc, s14, v8
	v_addc_co_u32_e32 v1, vcc, v1, v9, vcc
	s_waitcnt vmcnt(0)
	v_lshlrev_b64 v[8:9], 2, v[12:13]
	v_add_co_u32_e32 v8, vcc, v10, v8
	v_addc_co_u32_e32 v9, vcc, v1, v9, vcc
	v_add_u32_e32 v0, 0x100, v0
	s_mov_b64 s[4:5], 0
	v_mov_b32_e32 v1, 0
.LBB245_124:                            ; =>This Inner Loop Header: Depth=1
	v_lshlrev_b32_e32 v14, 2, v2
	ds_read_b32 v14, v14
	v_lshlrev_b64 v[10:11], 2, v[2:3]
	v_cmp_le_u64_e32 vcc, v[4:5], v[0:1]
	v_add_co_u32_e64 v10, s[2:3], v8, v10
	v_pk_mov_b32 v[2:3], v[0:1], v[0:1] op_sel:[0,1]
	v_add_u32_e32 v0, 0x100, v0
	v_addc_co_u32_e64 v11, s[2:3], v9, v11, s[2:3]
	s_or_b64 s[4:5], vcc, s[4:5]
	s_waitcnt lgkmcnt(0)
	global_store_dword v[10:11], v14, off
	s_andn2_b64 exec, exec, s[4:5]
	s_cbranch_execnz .LBB245_124
.LBB245_125:
	s_or_b64 exec, exec, s[8:9]
	s_and_b64 s[0:1], s[0:1], s[18:19]
	s_and_saveexec_b64 s[2:3], s[0:1]
	s_cbranch_execz .LBB245_84
.LBB245_126:
	v_add_co_u32_e32 v0, vcc, v6, v4
	v_addc_co_u32_e32 v1, vcc, v7, v5, vcc
	s_waitcnt vmcnt(0)
	v_add_co_u32_e32 v0, vcc, v0, v12
	v_mov_b32_e32 v2, 0
	v_addc_co_u32_e32 v1, vcc, v1, v13, vcc
	global_store_dwordx2 v2, v[0:1], s[16:17]
	s_endpgm
.LBB245_127:
	v_sub_u32_e32 v1, v40, v6
	v_lshlrev_b32_e32 v1, 2, v1
	ds_write_b32 v1, v16
	s_or_b64 exec, exec, s[2:3]
	v_cmp_eq_u32_e32 vcc, 1, v26
	s_and_saveexec_b64 s[2:3], vcc
	s_cbranch_execz .LBB245_109
.LBB245_128:
	v_sub_u32_e32 v1, v38, v6
	v_lshlrev_b32_e32 v1, 2, v1
	ds_write_b32 v1, v17
	s_or_b64 exec, exec, s[2:3]
	v_cmp_eq_u32_e32 vcc, 1, v24
	s_and_saveexec_b64 s[2:3], vcc
	s_cbranch_execz .LBB245_110
.LBB245_129:
	v_sub_u32_e32 v1, v36, v6
	v_lshlrev_b32_e32 v1, 2, v1
	ds_write_b32 v1, v14
	s_or_b64 exec, exec, s[2:3]
	v_cmp_eq_u32_e32 vcc, 1, v22
	s_and_saveexec_b64 s[2:3], vcc
	s_cbranch_execz .LBB245_111
.LBB245_130:
	v_sub_u32_e32 v1, v34, v6
	v_lshlrev_b32_e32 v1, 2, v1
	ds_write_b32 v1, v15
	s_or_b64 exec, exec, s[2:3]
	v_cmp_eq_u32_e32 vcc, 1, v20
	s_and_saveexec_b64 s[2:3], vcc
	s_cbranch_execz .LBB245_112
.LBB245_131:
	v_sub_u32_e32 v1, v32, v6
	v_lshlrev_b32_e32 v1, 2, v1
	ds_write_b32 v1, v10
	s_or_b64 exec, exec, s[2:3]
	v_cmp_eq_u32_e32 vcc, 1, v18
	s_and_saveexec_b64 s[2:3], vcc
	s_cbranch_execz .LBB245_113
.LBB245_132:
	v_sub_u32_e32 v1, v2, v6
	v_lshlrev_b32_e32 v1, 2, v1
	ds_write_b32 v1, v11
	s_or_b64 exec, exec, s[2:3]
	v_cmp_eq_u32_e32 vcc, 1, v21
	s_and_saveexec_b64 s[2:3], vcc
	s_cbranch_execnz .LBB245_114
	s_branch .LBB245_115
	.section	.rodata,"a",@progbits
	.p2align	6, 0x0
	.amdhsa_kernel _ZN7rocprim17ROCPRIM_400000_NS6detail17trampoline_kernelINS0_14default_configENS1_25partition_config_selectorILNS1_17partition_subalgoE5EiNS0_10empty_typeEbEEZZNS1_14partition_implILS5_5ELb0ES3_mPiPS6_N6thrust23THRUST_200600_302600_NS18transform_iteratorINSC_6detail9not_fun_tIN6dUtils10isMinusOneIiEEEES9_NSC_11use_defaultESK_EENS0_5tupleIJS9_S6_EEENSM_IJSA_SA_EEES6_PlJS6_EEE10hipError_tPvRmT3_T4_T5_T6_T7_T9_mT8_P12ihipStream_tbDpT10_ENKUlT_T0_E_clISt17integral_constantIbLb0EES18_IbLb1EEEEDaS14_S15_EUlS14_E_NS1_11comp_targetILNS1_3genE4ELNS1_11target_archE910ELNS1_3gpuE8ELNS1_3repE0EEENS1_30default_config_static_selectorELNS0_4arch9wavefront6targetE1EEEvT1_
		.amdhsa_group_segment_fixed_size 7184
		.amdhsa_private_segment_fixed_size 0
		.amdhsa_kernarg_size 136
		.amdhsa_user_sgpr_count 6
		.amdhsa_user_sgpr_private_segment_buffer 1
		.amdhsa_user_sgpr_dispatch_ptr 0
		.amdhsa_user_sgpr_queue_ptr 0
		.amdhsa_user_sgpr_kernarg_segment_ptr 1
		.amdhsa_user_sgpr_dispatch_id 0
		.amdhsa_user_sgpr_flat_scratch_init 0
		.amdhsa_user_sgpr_kernarg_preload_length 0
		.amdhsa_user_sgpr_kernarg_preload_offset 0
		.amdhsa_user_sgpr_private_segment_size 0
		.amdhsa_uses_dynamic_stack 0
		.amdhsa_system_sgpr_private_segment_wavefront_offset 0
		.amdhsa_system_sgpr_workgroup_id_x 1
		.amdhsa_system_sgpr_workgroup_id_y 0
		.amdhsa_system_sgpr_workgroup_id_z 0
		.amdhsa_system_sgpr_workgroup_info 0
		.amdhsa_system_vgpr_workitem_id 0
		.amdhsa_next_free_vgpr 58
		.amdhsa_next_free_sgpr 28
		.amdhsa_accum_offset 60
		.amdhsa_reserve_vcc 1
		.amdhsa_reserve_flat_scratch 0
		.amdhsa_float_round_mode_32 0
		.amdhsa_float_round_mode_16_64 0
		.amdhsa_float_denorm_mode_32 3
		.amdhsa_float_denorm_mode_16_64 3
		.amdhsa_dx10_clamp 1
		.amdhsa_ieee_mode 1
		.amdhsa_fp16_overflow 0
		.amdhsa_tg_split 0
		.amdhsa_exception_fp_ieee_invalid_op 0
		.amdhsa_exception_fp_denorm_src 0
		.amdhsa_exception_fp_ieee_div_zero 0
		.amdhsa_exception_fp_ieee_overflow 0
		.amdhsa_exception_fp_ieee_underflow 0
		.amdhsa_exception_fp_ieee_inexact 0
		.amdhsa_exception_int_div_zero 0
	.end_amdhsa_kernel
	.section	.text._ZN7rocprim17ROCPRIM_400000_NS6detail17trampoline_kernelINS0_14default_configENS1_25partition_config_selectorILNS1_17partition_subalgoE5EiNS0_10empty_typeEbEEZZNS1_14partition_implILS5_5ELb0ES3_mPiPS6_N6thrust23THRUST_200600_302600_NS18transform_iteratorINSC_6detail9not_fun_tIN6dUtils10isMinusOneIiEEEES9_NSC_11use_defaultESK_EENS0_5tupleIJS9_S6_EEENSM_IJSA_SA_EEES6_PlJS6_EEE10hipError_tPvRmT3_T4_T5_T6_T7_T9_mT8_P12ihipStream_tbDpT10_ENKUlT_T0_E_clISt17integral_constantIbLb0EES18_IbLb1EEEEDaS14_S15_EUlS14_E_NS1_11comp_targetILNS1_3genE4ELNS1_11target_archE910ELNS1_3gpuE8ELNS1_3repE0EEENS1_30default_config_static_selectorELNS0_4arch9wavefront6targetE1EEEvT1_,"axG",@progbits,_ZN7rocprim17ROCPRIM_400000_NS6detail17trampoline_kernelINS0_14default_configENS1_25partition_config_selectorILNS1_17partition_subalgoE5EiNS0_10empty_typeEbEEZZNS1_14partition_implILS5_5ELb0ES3_mPiPS6_N6thrust23THRUST_200600_302600_NS18transform_iteratorINSC_6detail9not_fun_tIN6dUtils10isMinusOneIiEEEES9_NSC_11use_defaultESK_EENS0_5tupleIJS9_S6_EEENSM_IJSA_SA_EEES6_PlJS6_EEE10hipError_tPvRmT3_T4_T5_T6_T7_T9_mT8_P12ihipStream_tbDpT10_ENKUlT_T0_E_clISt17integral_constantIbLb0EES18_IbLb1EEEEDaS14_S15_EUlS14_E_NS1_11comp_targetILNS1_3genE4ELNS1_11target_archE910ELNS1_3gpuE8ELNS1_3repE0EEENS1_30default_config_static_selectorELNS0_4arch9wavefront6targetE1EEEvT1_,comdat
.Lfunc_end245:
	.size	_ZN7rocprim17ROCPRIM_400000_NS6detail17trampoline_kernelINS0_14default_configENS1_25partition_config_selectorILNS1_17partition_subalgoE5EiNS0_10empty_typeEbEEZZNS1_14partition_implILS5_5ELb0ES3_mPiPS6_N6thrust23THRUST_200600_302600_NS18transform_iteratorINSC_6detail9not_fun_tIN6dUtils10isMinusOneIiEEEES9_NSC_11use_defaultESK_EENS0_5tupleIJS9_S6_EEENSM_IJSA_SA_EEES6_PlJS6_EEE10hipError_tPvRmT3_T4_T5_T6_T7_T9_mT8_P12ihipStream_tbDpT10_ENKUlT_T0_E_clISt17integral_constantIbLb0EES18_IbLb1EEEEDaS14_S15_EUlS14_E_NS1_11comp_targetILNS1_3genE4ELNS1_11target_archE910ELNS1_3gpuE8ELNS1_3repE0EEENS1_30default_config_static_selectorELNS0_4arch9wavefront6targetE1EEEvT1_, .Lfunc_end245-_ZN7rocprim17ROCPRIM_400000_NS6detail17trampoline_kernelINS0_14default_configENS1_25partition_config_selectorILNS1_17partition_subalgoE5EiNS0_10empty_typeEbEEZZNS1_14partition_implILS5_5ELb0ES3_mPiPS6_N6thrust23THRUST_200600_302600_NS18transform_iteratorINSC_6detail9not_fun_tIN6dUtils10isMinusOneIiEEEES9_NSC_11use_defaultESK_EENS0_5tupleIJS9_S6_EEENSM_IJSA_SA_EEES6_PlJS6_EEE10hipError_tPvRmT3_T4_T5_T6_T7_T9_mT8_P12ihipStream_tbDpT10_ENKUlT_T0_E_clISt17integral_constantIbLb0EES18_IbLb1EEEEDaS14_S15_EUlS14_E_NS1_11comp_targetILNS1_3genE4ELNS1_11target_archE910ELNS1_3gpuE8ELNS1_3repE0EEENS1_30default_config_static_selectorELNS0_4arch9wavefront6targetE1EEEvT1_
                                        ; -- End function
	.section	.AMDGPU.csdata,"",@progbits
; Kernel info:
; codeLenInByte = 6700
; NumSgprs: 32
; NumVgprs: 58
; NumAgprs: 0
; TotalNumVgprs: 58
; ScratchSize: 0
; MemoryBound: 0
; FloatMode: 240
; IeeeMode: 1
; LDSByteSize: 7184 bytes/workgroup (compile time only)
; SGPRBlocks: 3
; VGPRBlocks: 7
; NumSGPRsForWavesPerEU: 32
; NumVGPRsForWavesPerEU: 58
; AccumOffset: 60
; Occupancy: 8
; WaveLimiterHint : 1
; COMPUTE_PGM_RSRC2:SCRATCH_EN: 0
; COMPUTE_PGM_RSRC2:USER_SGPR: 6
; COMPUTE_PGM_RSRC2:TRAP_HANDLER: 0
; COMPUTE_PGM_RSRC2:TGID_X_EN: 1
; COMPUTE_PGM_RSRC2:TGID_Y_EN: 0
; COMPUTE_PGM_RSRC2:TGID_Z_EN: 0
; COMPUTE_PGM_RSRC2:TIDIG_COMP_CNT: 0
; COMPUTE_PGM_RSRC3_GFX90A:ACCUM_OFFSET: 14
; COMPUTE_PGM_RSRC3_GFX90A:TG_SPLIT: 0
	.section	.text._ZN7rocprim17ROCPRIM_400000_NS6detail17trampoline_kernelINS0_14default_configENS1_25partition_config_selectorILNS1_17partition_subalgoE5EiNS0_10empty_typeEbEEZZNS1_14partition_implILS5_5ELb0ES3_mPiPS6_N6thrust23THRUST_200600_302600_NS18transform_iteratorINSC_6detail9not_fun_tIN6dUtils10isMinusOneIiEEEES9_NSC_11use_defaultESK_EENS0_5tupleIJS9_S6_EEENSM_IJSA_SA_EEES6_PlJS6_EEE10hipError_tPvRmT3_T4_T5_T6_T7_T9_mT8_P12ihipStream_tbDpT10_ENKUlT_T0_E_clISt17integral_constantIbLb0EES18_IbLb1EEEEDaS14_S15_EUlS14_E_NS1_11comp_targetILNS1_3genE3ELNS1_11target_archE908ELNS1_3gpuE7ELNS1_3repE0EEENS1_30default_config_static_selectorELNS0_4arch9wavefront6targetE1EEEvT1_,"axG",@progbits,_ZN7rocprim17ROCPRIM_400000_NS6detail17trampoline_kernelINS0_14default_configENS1_25partition_config_selectorILNS1_17partition_subalgoE5EiNS0_10empty_typeEbEEZZNS1_14partition_implILS5_5ELb0ES3_mPiPS6_N6thrust23THRUST_200600_302600_NS18transform_iteratorINSC_6detail9not_fun_tIN6dUtils10isMinusOneIiEEEES9_NSC_11use_defaultESK_EENS0_5tupleIJS9_S6_EEENSM_IJSA_SA_EEES6_PlJS6_EEE10hipError_tPvRmT3_T4_T5_T6_T7_T9_mT8_P12ihipStream_tbDpT10_ENKUlT_T0_E_clISt17integral_constantIbLb0EES18_IbLb1EEEEDaS14_S15_EUlS14_E_NS1_11comp_targetILNS1_3genE3ELNS1_11target_archE908ELNS1_3gpuE7ELNS1_3repE0EEENS1_30default_config_static_selectorELNS0_4arch9wavefront6targetE1EEEvT1_,comdat
	.protected	_ZN7rocprim17ROCPRIM_400000_NS6detail17trampoline_kernelINS0_14default_configENS1_25partition_config_selectorILNS1_17partition_subalgoE5EiNS0_10empty_typeEbEEZZNS1_14partition_implILS5_5ELb0ES3_mPiPS6_N6thrust23THRUST_200600_302600_NS18transform_iteratorINSC_6detail9not_fun_tIN6dUtils10isMinusOneIiEEEES9_NSC_11use_defaultESK_EENS0_5tupleIJS9_S6_EEENSM_IJSA_SA_EEES6_PlJS6_EEE10hipError_tPvRmT3_T4_T5_T6_T7_T9_mT8_P12ihipStream_tbDpT10_ENKUlT_T0_E_clISt17integral_constantIbLb0EES18_IbLb1EEEEDaS14_S15_EUlS14_E_NS1_11comp_targetILNS1_3genE3ELNS1_11target_archE908ELNS1_3gpuE7ELNS1_3repE0EEENS1_30default_config_static_selectorELNS0_4arch9wavefront6targetE1EEEvT1_ ; -- Begin function _ZN7rocprim17ROCPRIM_400000_NS6detail17trampoline_kernelINS0_14default_configENS1_25partition_config_selectorILNS1_17partition_subalgoE5EiNS0_10empty_typeEbEEZZNS1_14partition_implILS5_5ELb0ES3_mPiPS6_N6thrust23THRUST_200600_302600_NS18transform_iteratorINSC_6detail9not_fun_tIN6dUtils10isMinusOneIiEEEES9_NSC_11use_defaultESK_EENS0_5tupleIJS9_S6_EEENSM_IJSA_SA_EEES6_PlJS6_EEE10hipError_tPvRmT3_T4_T5_T6_T7_T9_mT8_P12ihipStream_tbDpT10_ENKUlT_T0_E_clISt17integral_constantIbLb0EES18_IbLb1EEEEDaS14_S15_EUlS14_E_NS1_11comp_targetILNS1_3genE3ELNS1_11target_archE908ELNS1_3gpuE7ELNS1_3repE0EEENS1_30default_config_static_selectorELNS0_4arch9wavefront6targetE1EEEvT1_
	.globl	_ZN7rocprim17ROCPRIM_400000_NS6detail17trampoline_kernelINS0_14default_configENS1_25partition_config_selectorILNS1_17partition_subalgoE5EiNS0_10empty_typeEbEEZZNS1_14partition_implILS5_5ELb0ES3_mPiPS6_N6thrust23THRUST_200600_302600_NS18transform_iteratorINSC_6detail9not_fun_tIN6dUtils10isMinusOneIiEEEES9_NSC_11use_defaultESK_EENS0_5tupleIJS9_S6_EEENSM_IJSA_SA_EEES6_PlJS6_EEE10hipError_tPvRmT3_T4_T5_T6_T7_T9_mT8_P12ihipStream_tbDpT10_ENKUlT_T0_E_clISt17integral_constantIbLb0EES18_IbLb1EEEEDaS14_S15_EUlS14_E_NS1_11comp_targetILNS1_3genE3ELNS1_11target_archE908ELNS1_3gpuE7ELNS1_3repE0EEENS1_30default_config_static_selectorELNS0_4arch9wavefront6targetE1EEEvT1_
	.p2align	8
	.type	_ZN7rocprim17ROCPRIM_400000_NS6detail17trampoline_kernelINS0_14default_configENS1_25partition_config_selectorILNS1_17partition_subalgoE5EiNS0_10empty_typeEbEEZZNS1_14partition_implILS5_5ELb0ES3_mPiPS6_N6thrust23THRUST_200600_302600_NS18transform_iteratorINSC_6detail9not_fun_tIN6dUtils10isMinusOneIiEEEES9_NSC_11use_defaultESK_EENS0_5tupleIJS9_S6_EEENSM_IJSA_SA_EEES6_PlJS6_EEE10hipError_tPvRmT3_T4_T5_T6_T7_T9_mT8_P12ihipStream_tbDpT10_ENKUlT_T0_E_clISt17integral_constantIbLb0EES18_IbLb1EEEEDaS14_S15_EUlS14_E_NS1_11comp_targetILNS1_3genE3ELNS1_11target_archE908ELNS1_3gpuE7ELNS1_3repE0EEENS1_30default_config_static_selectorELNS0_4arch9wavefront6targetE1EEEvT1_,@function
_ZN7rocprim17ROCPRIM_400000_NS6detail17trampoline_kernelINS0_14default_configENS1_25partition_config_selectorILNS1_17partition_subalgoE5EiNS0_10empty_typeEbEEZZNS1_14partition_implILS5_5ELb0ES3_mPiPS6_N6thrust23THRUST_200600_302600_NS18transform_iteratorINSC_6detail9not_fun_tIN6dUtils10isMinusOneIiEEEES9_NSC_11use_defaultESK_EENS0_5tupleIJS9_S6_EEENSM_IJSA_SA_EEES6_PlJS6_EEE10hipError_tPvRmT3_T4_T5_T6_T7_T9_mT8_P12ihipStream_tbDpT10_ENKUlT_T0_E_clISt17integral_constantIbLb0EES18_IbLb1EEEEDaS14_S15_EUlS14_E_NS1_11comp_targetILNS1_3genE3ELNS1_11target_archE908ELNS1_3gpuE7ELNS1_3repE0EEENS1_30default_config_static_selectorELNS0_4arch9wavefront6targetE1EEEvT1_: ; @_ZN7rocprim17ROCPRIM_400000_NS6detail17trampoline_kernelINS0_14default_configENS1_25partition_config_selectorILNS1_17partition_subalgoE5EiNS0_10empty_typeEbEEZZNS1_14partition_implILS5_5ELb0ES3_mPiPS6_N6thrust23THRUST_200600_302600_NS18transform_iteratorINSC_6detail9not_fun_tIN6dUtils10isMinusOneIiEEEES9_NSC_11use_defaultESK_EENS0_5tupleIJS9_S6_EEENSM_IJSA_SA_EEES6_PlJS6_EEE10hipError_tPvRmT3_T4_T5_T6_T7_T9_mT8_P12ihipStream_tbDpT10_ENKUlT_T0_E_clISt17integral_constantIbLb0EES18_IbLb1EEEEDaS14_S15_EUlS14_E_NS1_11comp_targetILNS1_3genE3ELNS1_11target_archE908ELNS1_3gpuE7ELNS1_3repE0EEENS1_30default_config_static_selectorELNS0_4arch9wavefront6targetE1EEEvT1_
; %bb.0:
	.section	.rodata,"a",@progbits
	.p2align	6, 0x0
	.amdhsa_kernel _ZN7rocprim17ROCPRIM_400000_NS6detail17trampoline_kernelINS0_14default_configENS1_25partition_config_selectorILNS1_17partition_subalgoE5EiNS0_10empty_typeEbEEZZNS1_14partition_implILS5_5ELb0ES3_mPiPS6_N6thrust23THRUST_200600_302600_NS18transform_iteratorINSC_6detail9not_fun_tIN6dUtils10isMinusOneIiEEEES9_NSC_11use_defaultESK_EENS0_5tupleIJS9_S6_EEENSM_IJSA_SA_EEES6_PlJS6_EEE10hipError_tPvRmT3_T4_T5_T6_T7_T9_mT8_P12ihipStream_tbDpT10_ENKUlT_T0_E_clISt17integral_constantIbLb0EES18_IbLb1EEEEDaS14_S15_EUlS14_E_NS1_11comp_targetILNS1_3genE3ELNS1_11target_archE908ELNS1_3gpuE7ELNS1_3repE0EEENS1_30default_config_static_selectorELNS0_4arch9wavefront6targetE1EEEvT1_
		.amdhsa_group_segment_fixed_size 0
		.amdhsa_private_segment_fixed_size 0
		.amdhsa_kernarg_size 136
		.amdhsa_user_sgpr_count 6
		.amdhsa_user_sgpr_private_segment_buffer 1
		.amdhsa_user_sgpr_dispatch_ptr 0
		.amdhsa_user_sgpr_queue_ptr 0
		.amdhsa_user_sgpr_kernarg_segment_ptr 1
		.amdhsa_user_sgpr_dispatch_id 0
		.amdhsa_user_sgpr_flat_scratch_init 0
		.amdhsa_user_sgpr_kernarg_preload_length 0
		.amdhsa_user_sgpr_kernarg_preload_offset 0
		.amdhsa_user_sgpr_private_segment_size 0
		.amdhsa_uses_dynamic_stack 0
		.amdhsa_system_sgpr_private_segment_wavefront_offset 0
		.amdhsa_system_sgpr_workgroup_id_x 1
		.amdhsa_system_sgpr_workgroup_id_y 0
		.amdhsa_system_sgpr_workgroup_id_z 0
		.amdhsa_system_sgpr_workgroup_info 0
		.amdhsa_system_vgpr_workitem_id 0
		.amdhsa_next_free_vgpr 1
		.amdhsa_next_free_sgpr 0
		.amdhsa_accum_offset 4
		.amdhsa_reserve_vcc 0
		.amdhsa_reserve_flat_scratch 0
		.amdhsa_float_round_mode_32 0
		.amdhsa_float_round_mode_16_64 0
		.amdhsa_float_denorm_mode_32 3
		.amdhsa_float_denorm_mode_16_64 3
		.amdhsa_dx10_clamp 1
		.amdhsa_ieee_mode 1
		.amdhsa_fp16_overflow 0
		.amdhsa_tg_split 0
		.amdhsa_exception_fp_ieee_invalid_op 0
		.amdhsa_exception_fp_denorm_src 0
		.amdhsa_exception_fp_ieee_div_zero 0
		.amdhsa_exception_fp_ieee_overflow 0
		.amdhsa_exception_fp_ieee_underflow 0
		.amdhsa_exception_fp_ieee_inexact 0
		.amdhsa_exception_int_div_zero 0
	.end_amdhsa_kernel
	.section	.text._ZN7rocprim17ROCPRIM_400000_NS6detail17trampoline_kernelINS0_14default_configENS1_25partition_config_selectorILNS1_17partition_subalgoE5EiNS0_10empty_typeEbEEZZNS1_14partition_implILS5_5ELb0ES3_mPiPS6_N6thrust23THRUST_200600_302600_NS18transform_iteratorINSC_6detail9not_fun_tIN6dUtils10isMinusOneIiEEEES9_NSC_11use_defaultESK_EENS0_5tupleIJS9_S6_EEENSM_IJSA_SA_EEES6_PlJS6_EEE10hipError_tPvRmT3_T4_T5_T6_T7_T9_mT8_P12ihipStream_tbDpT10_ENKUlT_T0_E_clISt17integral_constantIbLb0EES18_IbLb1EEEEDaS14_S15_EUlS14_E_NS1_11comp_targetILNS1_3genE3ELNS1_11target_archE908ELNS1_3gpuE7ELNS1_3repE0EEENS1_30default_config_static_selectorELNS0_4arch9wavefront6targetE1EEEvT1_,"axG",@progbits,_ZN7rocprim17ROCPRIM_400000_NS6detail17trampoline_kernelINS0_14default_configENS1_25partition_config_selectorILNS1_17partition_subalgoE5EiNS0_10empty_typeEbEEZZNS1_14partition_implILS5_5ELb0ES3_mPiPS6_N6thrust23THRUST_200600_302600_NS18transform_iteratorINSC_6detail9not_fun_tIN6dUtils10isMinusOneIiEEEES9_NSC_11use_defaultESK_EENS0_5tupleIJS9_S6_EEENSM_IJSA_SA_EEES6_PlJS6_EEE10hipError_tPvRmT3_T4_T5_T6_T7_T9_mT8_P12ihipStream_tbDpT10_ENKUlT_T0_E_clISt17integral_constantIbLb0EES18_IbLb1EEEEDaS14_S15_EUlS14_E_NS1_11comp_targetILNS1_3genE3ELNS1_11target_archE908ELNS1_3gpuE7ELNS1_3repE0EEENS1_30default_config_static_selectorELNS0_4arch9wavefront6targetE1EEEvT1_,comdat
.Lfunc_end246:
	.size	_ZN7rocprim17ROCPRIM_400000_NS6detail17trampoline_kernelINS0_14default_configENS1_25partition_config_selectorILNS1_17partition_subalgoE5EiNS0_10empty_typeEbEEZZNS1_14partition_implILS5_5ELb0ES3_mPiPS6_N6thrust23THRUST_200600_302600_NS18transform_iteratorINSC_6detail9not_fun_tIN6dUtils10isMinusOneIiEEEES9_NSC_11use_defaultESK_EENS0_5tupleIJS9_S6_EEENSM_IJSA_SA_EEES6_PlJS6_EEE10hipError_tPvRmT3_T4_T5_T6_T7_T9_mT8_P12ihipStream_tbDpT10_ENKUlT_T0_E_clISt17integral_constantIbLb0EES18_IbLb1EEEEDaS14_S15_EUlS14_E_NS1_11comp_targetILNS1_3genE3ELNS1_11target_archE908ELNS1_3gpuE7ELNS1_3repE0EEENS1_30default_config_static_selectorELNS0_4arch9wavefront6targetE1EEEvT1_, .Lfunc_end246-_ZN7rocprim17ROCPRIM_400000_NS6detail17trampoline_kernelINS0_14default_configENS1_25partition_config_selectorILNS1_17partition_subalgoE5EiNS0_10empty_typeEbEEZZNS1_14partition_implILS5_5ELb0ES3_mPiPS6_N6thrust23THRUST_200600_302600_NS18transform_iteratorINSC_6detail9not_fun_tIN6dUtils10isMinusOneIiEEEES9_NSC_11use_defaultESK_EENS0_5tupleIJS9_S6_EEENSM_IJSA_SA_EEES6_PlJS6_EEE10hipError_tPvRmT3_T4_T5_T6_T7_T9_mT8_P12ihipStream_tbDpT10_ENKUlT_T0_E_clISt17integral_constantIbLb0EES18_IbLb1EEEEDaS14_S15_EUlS14_E_NS1_11comp_targetILNS1_3genE3ELNS1_11target_archE908ELNS1_3gpuE7ELNS1_3repE0EEENS1_30default_config_static_selectorELNS0_4arch9wavefront6targetE1EEEvT1_
                                        ; -- End function
	.section	.AMDGPU.csdata,"",@progbits
; Kernel info:
; codeLenInByte = 0
; NumSgprs: 4
; NumVgprs: 0
; NumAgprs: 0
; TotalNumVgprs: 0
; ScratchSize: 0
; MemoryBound: 0
; FloatMode: 240
; IeeeMode: 1
; LDSByteSize: 0 bytes/workgroup (compile time only)
; SGPRBlocks: 0
; VGPRBlocks: 0
; NumSGPRsForWavesPerEU: 4
; NumVGPRsForWavesPerEU: 1
; AccumOffset: 4
; Occupancy: 8
; WaveLimiterHint : 0
; COMPUTE_PGM_RSRC2:SCRATCH_EN: 0
; COMPUTE_PGM_RSRC2:USER_SGPR: 6
; COMPUTE_PGM_RSRC2:TRAP_HANDLER: 0
; COMPUTE_PGM_RSRC2:TGID_X_EN: 1
; COMPUTE_PGM_RSRC2:TGID_Y_EN: 0
; COMPUTE_PGM_RSRC2:TGID_Z_EN: 0
; COMPUTE_PGM_RSRC2:TIDIG_COMP_CNT: 0
; COMPUTE_PGM_RSRC3_GFX90A:ACCUM_OFFSET: 0
; COMPUTE_PGM_RSRC3_GFX90A:TG_SPLIT: 0
	.section	.text._ZN7rocprim17ROCPRIM_400000_NS6detail17trampoline_kernelINS0_14default_configENS1_25partition_config_selectorILNS1_17partition_subalgoE5EiNS0_10empty_typeEbEEZZNS1_14partition_implILS5_5ELb0ES3_mPiPS6_N6thrust23THRUST_200600_302600_NS18transform_iteratorINSC_6detail9not_fun_tIN6dUtils10isMinusOneIiEEEES9_NSC_11use_defaultESK_EENS0_5tupleIJS9_S6_EEENSM_IJSA_SA_EEES6_PlJS6_EEE10hipError_tPvRmT3_T4_T5_T6_T7_T9_mT8_P12ihipStream_tbDpT10_ENKUlT_T0_E_clISt17integral_constantIbLb0EES18_IbLb1EEEEDaS14_S15_EUlS14_E_NS1_11comp_targetILNS1_3genE2ELNS1_11target_archE906ELNS1_3gpuE6ELNS1_3repE0EEENS1_30default_config_static_selectorELNS0_4arch9wavefront6targetE1EEEvT1_,"axG",@progbits,_ZN7rocprim17ROCPRIM_400000_NS6detail17trampoline_kernelINS0_14default_configENS1_25partition_config_selectorILNS1_17partition_subalgoE5EiNS0_10empty_typeEbEEZZNS1_14partition_implILS5_5ELb0ES3_mPiPS6_N6thrust23THRUST_200600_302600_NS18transform_iteratorINSC_6detail9not_fun_tIN6dUtils10isMinusOneIiEEEES9_NSC_11use_defaultESK_EENS0_5tupleIJS9_S6_EEENSM_IJSA_SA_EEES6_PlJS6_EEE10hipError_tPvRmT3_T4_T5_T6_T7_T9_mT8_P12ihipStream_tbDpT10_ENKUlT_T0_E_clISt17integral_constantIbLb0EES18_IbLb1EEEEDaS14_S15_EUlS14_E_NS1_11comp_targetILNS1_3genE2ELNS1_11target_archE906ELNS1_3gpuE6ELNS1_3repE0EEENS1_30default_config_static_selectorELNS0_4arch9wavefront6targetE1EEEvT1_,comdat
	.protected	_ZN7rocprim17ROCPRIM_400000_NS6detail17trampoline_kernelINS0_14default_configENS1_25partition_config_selectorILNS1_17partition_subalgoE5EiNS0_10empty_typeEbEEZZNS1_14partition_implILS5_5ELb0ES3_mPiPS6_N6thrust23THRUST_200600_302600_NS18transform_iteratorINSC_6detail9not_fun_tIN6dUtils10isMinusOneIiEEEES9_NSC_11use_defaultESK_EENS0_5tupleIJS9_S6_EEENSM_IJSA_SA_EEES6_PlJS6_EEE10hipError_tPvRmT3_T4_T5_T6_T7_T9_mT8_P12ihipStream_tbDpT10_ENKUlT_T0_E_clISt17integral_constantIbLb0EES18_IbLb1EEEEDaS14_S15_EUlS14_E_NS1_11comp_targetILNS1_3genE2ELNS1_11target_archE906ELNS1_3gpuE6ELNS1_3repE0EEENS1_30default_config_static_selectorELNS0_4arch9wavefront6targetE1EEEvT1_ ; -- Begin function _ZN7rocprim17ROCPRIM_400000_NS6detail17trampoline_kernelINS0_14default_configENS1_25partition_config_selectorILNS1_17partition_subalgoE5EiNS0_10empty_typeEbEEZZNS1_14partition_implILS5_5ELb0ES3_mPiPS6_N6thrust23THRUST_200600_302600_NS18transform_iteratorINSC_6detail9not_fun_tIN6dUtils10isMinusOneIiEEEES9_NSC_11use_defaultESK_EENS0_5tupleIJS9_S6_EEENSM_IJSA_SA_EEES6_PlJS6_EEE10hipError_tPvRmT3_T4_T5_T6_T7_T9_mT8_P12ihipStream_tbDpT10_ENKUlT_T0_E_clISt17integral_constantIbLb0EES18_IbLb1EEEEDaS14_S15_EUlS14_E_NS1_11comp_targetILNS1_3genE2ELNS1_11target_archE906ELNS1_3gpuE6ELNS1_3repE0EEENS1_30default_config_static_selectorELNS0_4arch9wavefront6targetE1EEEvT1_
	.globl	_ZN7rocprim17ROCPRIM_400000_NS6detail17trampoline_kernelINS0_14default_configENS1_25partition_config_selectorILNS1_17partition_subalgoE5EiNS0_10empty_typeEbEEZZNS1_14partition_implILS5_5ELb0ES3_mPiPS6_N6thrust23THRUST_200600_302600_NS18transform_iteratorINSC_6detail9not_fun_tIN6dUtils10isMinusOneIiEEEES9_NSC_11use_defaultESK_EENS0_5tupleIJS9_S6_EEENSM_IJSA_SA_EEES6_PlJS6_EEE10hipError_tPvRmT3_T4_T5_T6_T7_T9_mT8_P12ihipStream_tbDpT10_ENKUlT_T0_E_clISt17integral_constantIbLb0EES18_IbLb1EEEEDaS14_S15_EUlS14_E_NS1_11comp_targetILNS1_3genE2ELNS1_11target_archE906ELNS1_3gpuE6ELNS1_3repE0EEENS1_30default_config_static_selectorELNS0_4arch9wavefront6targetE1EEEvT1_
	.p2align	8
	.type	_ZN7rocprim17ROCPRIM_400000_NS6detail17trampoline_kernelINS0_14default_configENS1_25partition_config_selectorILNS1_17partition_subalgoE5EiNS0_10empty_typeEbEEZZNS1_14partition_implILS5_5ELb0ES3_mPiPS6_N6thrust23THRUST_200600_302600_NS18transform_iteratorINSC_6detail9not_fun_tIN6dUtils10isMinusOneIiEEEES9_NSC_11use_defaultESK_EENS0_5tupleIJS9_S6_EEENSM_IJSA_SA_EEES6_PlJS6_EEE10hipError_tPvRmT3_T4_T5_T6_T7_T9_mT8_P12ihipStream_tbDpT10_ENKUlT_T0_E_clISt17integral_constantIbLb0EES18_IbLb1EEEEDaS14_S15_EUlS14_E_NS1_11comp_targetILNS1_3genE2ELNS1_11target_archE906ELNS1_3gpuE6ELNS1_3repE0EEENS1_30default_config_static_selectorELNS0_4arch9wavefront6targetE1EEEvT1_,@function
_ZN7rocprim17ROCPRIM_400000_NS6detail17trampoline_kernelINS0_14default_configENS1_25partition_config_selectorILNS1_17partition_subalgoE5EiNS0_10empty_typeEbEEZZNS1_14partition_implILS5_5ELb0ES3_mPiPS6_N6thrust23THRUST_200600_302600_NS18transform_iteratorINSC_6detail9not_fun_tIN6dUtils10isMinusOneIiEEEES9_NSC_11use_defaultESK_EENS0_5tupleIJS9_S6_EEENSM_IJSA_SA_EEES6_PlJS6_EEE10hipError_tPvRmT3_T4_T5_T6_T7_T9_mT8_P12ihipStream_tbDpT10_ENKUlT_T0_E_clISt17integral_constantIbLb0EES18_IbLb1EEEEDaS14_S15_EUlS14_E_NS1_11comp_targetILNS1_3genE2ELNS1_11target_archE906ELNS1_3gpuE6ELNS1_3repE0EEENS1_30default_config_static_selectorELNS0_4arch9wavefront6targetE1EEEvT1_: ; @_ZN7rocprim17ROCPRIM_400000_NS6detail17trampoline_kernelINS0_14default_configENS1_25partition_config_selectorILNS1_17partition_subalgoE5EiNS0_10empty_typeEbEEZZNS1_14partition_implILS5_5ELb0ES3_mPiPS6_N6thrust23THRUST_200600_302600_NS18transform_iteratorINSC_6detail9not_fun_tIN6dUtils10isMinusOneIiEEEES9_NSC_11use_defaultESK_EENS0_5tupleIJS9_S6_EEENSM_IJSA_SA_EEES6_PlJS6_EEE10hipError_tPvRmT3_T4_T5_T6_T7_T9_mT8_P12ihipStream_tbDpT10_ENKUlT_T0_E_clISt17integral_constantIbLb0EES18_IbLb1EEEEDaS14_S15_EUlS14_E_NS1_11comp_targetILNS1_3genE2ELNS1_11target_archE906ELNS1_3gpuE6ELNS1_3repE0EEENS1_30default_config_static_selectorELNS0_4arch9wavefront6targetE1EEEvT1_
; %bb.0:
	.section	.rodata,"a",@progbits
	.p2align	6, 0x0
	.amdhsa_kernel _ZN7rocprim17ROCPRIM_400000_NS6detail17trampoline_kernelINS0_14default_configENS1_25partition_config_selectorILNS1_17partition_subalgoE5EiNS0_10empty_typeEbEEZZNS1_14partition_implILS5_5ELb0ES3_mPiPS6_N6thrust23THRUST_200600_302600_NS18transform_iteratorINSC_6detail9not_fun_tIN6dUtils10isMinusOneIiEEEES9_NSC_11use_defaultESK_EENS0_5tupleIJS9_S6_EEENSM_IJSA_SA_EEES6_PlJS6_EEE10hipError_tPvRmT3_T4_T5_T6_T7_T9_mT8_P12ihipStream_tbDpT10_ENKUlT_T0_E_clISt17integral_constantIbLb0EES18_IbLb1EEEEDaS14_S15_EUlS14_E_NS1_11comp_targetILNS1_3genE2ELNS1_11target_archE906ELNS1_3gpuE6ELNS1_3repE0EEENS1_30default_config_static_selectorELNS0_4arch9wavefront6targetE1EEEvT1_
		.amdhsa_group_segment_fixed_size 0
		.amdhsa_private_segment_fixed_size 0
		.amdhsa_kernarg_size 136
		.amdhsa_user_sgpr_count 6
		.amdhsa_user_sgpr_private_segment_buffer 1
		.amdhsa_user_sgpr_dispatch_ptr 0
		.amdhsa_user_sgpr_queue_ptr 0
		.amdhsa_user_sgpr_kernarg_segment_ptr 1
		.amdhsa_user_sgpr_dispatch_id 0
		.amdhsa_user_sgpr_flat_scratch_init 0
		.amdhsa_user_sgpr_kernarg_preload_length 0
		.amdhsa_user_sgpr_kernarg_preload_offset 0
		.amdhsa_user_sgpr_private_segment_size 0
		.amdhsa_uses_dynamic_stack 0
		.amdhsa_system_sgpr_private_segment_wavefront_offset 0
		.amdhsa_system_sgpr_workgroup_id_x 1
		.amdhsa_system_sgpr_workgroup_id_y 0
		.amdhsa_system_sgpr_workgroup_id_z 0
		.amdhsa_system_sgpr_workgroup_info 0
		.amdhsa_system_vgpr_workitem_id 0
		.amdhsa_next_free_vgpr 1
		.amdhsa_next_free_sgpr 0
		.amdhsa_accum_offset 4
		.amdhsa_reserve_vcc 0
		.amdhsa_reserve_flat_scratch 0
		.amdhsa_float_round_mode_32 0
		.amdhsa_float_round_mode_16_64 0
		.amdhsa_float_denorm_mode_32 3
		.amdhsa_float_denorm_mode_16_64 3
		.amdhsa_dx10_clamp 1
		.amdhsa_ieee_mode 1
		.amdhsa_fp16_overflow 0
		.amdhsa_tg_split 0
		.amdhsa_exception_fp_ieee_invalid_op 0
		.amdhsa_exception_fp_denorm_src 0
		.amdhsa_exception_fp_ieee_div_zero 0
		.amdhsa_exception_fp_ieee_overflow 0
		.amdhsa_exception_fp_ieee_underflow 0
		.amdhsa_exception_fp_ieee_inexact 0
		.amdhsa_exception_int_div_zero 0
	.end_amdhsa_kernel
	.section	.text._ZN7rocprim17ROCPRIM_400000_NS6detail17trampoline_kernelINS0_14default_configENS1_25partition_config_selectorILNS1_17partition_subalgoE5EiNS0_10empty_typeEbEEZZNS1_14partition_implILS5_5ELb0ES3_mPiPS6_N6thrust23THRUST_200600_302600_NS18transform_iteratorINSC_6detail9not_fun_tIN6dUtils10isMinusOneIiEEEES9_NSC_11use_defaultESK_EENS0_5tupleIJS9_S6_EEENSM_IJSA_SA_EEES6_PlJS6_EEE10hipError_tPvRmT3_T4_T5_T6_T7_T9_mT8_P12ihipStream_tbDpT10_ENKUlT_T0_E_clISt17integral_constantIbLb0EES18_IbLb1EEEEDaS14_S15_EUlS14_E_NS1_11comp_targetILNS1_3genE2ELNS1_11target_archE906ELNS1_3gpuE6ELNS1_3repE0EEENS1_30default_config_static_selectorELNS0_4arch9wavefront6targetE1EEEvT1_,"axG",@progbits,_ZN7rocprim17ROCPRIM_400000_NS6detail17trampoline_kernelINS0_14default_configENS1_25partition_config_selectorILNS1_17partition_subalgoE5EiNS0_10empty_typeEbEEZZNS1_14partition_implILS5_5ELb0ES3_mPiPS6_N6thrust23THRUST_200600_302600_NS18transform_iteratorINSC_6detail9not_fun_tIN6dUtils10isMinusOneIiEEEES9_NSC_11use_defaultESK_EENS0_5tupleIJS9_S6_EEENSM_IJSA_SA_EEES6_PlJS6_EEE10hipError_tPvRmT3_T4_T5_T6_T7_T9_mT8_P12ihipStream_tbDpT10_ENKUlT_T0_E_clISt17integral_constantIbLb0EES18_IbLb1EEEEDaS14_S15_EUlS14_E_NS1_11comp_targetILNS1_3genE2ELNS1_11target_archE906ELNS1_3gpuE6ELNS1_3repE0EEENS1_30default_config_static_selectorELNS0_4arch9wavefront6targetE1EEEvT1_,comdat
.Lfunc_end247:
	.size	_ZN7rocprim17ROCPRIM_400000_NS6detail17trampoline_kernelINS0_14default_configENS1_25partition_config_selectorILNS1_17partition_subalgoE5EiNS0_10empty_typeEbEEZZNS1_14partition_implILS5_5ELb0ES3_mPiPS6_N6thrust23THRUST_200600_302600_NS18transform_iteratorINSC_6detail9not_fun_tIN6dUtils10isMinusOneIiEEEES9_NSC_11use_defaultESK_EENS0_5tupleIJS9_S6_EEENSM_IJSA_SA_EEES6_PlJS6_EEE10hipError_tPvRmT3_T4_T5_T6_T7_T9_mT8_P12ihipStream_tbDpT10_ENKUlT_T0_E_clISt17integral_constantIbLb0EES18_IbLb1EEEEDaS14_S15_EUlS14_E_NS1_11comp_targetILNS1_3genE2ELNS1_11target_archE906ELNS1_3gpuE6ELNS1_3repE0EEENS1_30default_config_static_selectorELNS0_4arch9wavefront6targetE1EEEvT1_, .Lfunc_end247-_ZN7rocprim17ROCPRIM_400000_NS6detail17trampoline_kernelINS0_14default_configENS1_25partition_config_selectorILNS1_17partition_subalgoE5EiNS0_10empty_typeEbEEZZNS1_14partition_implILS5_5ELb0ES3_mPiPS6_N6thrust23THRUST_200600_302600_NS18transform_iteratorINSC_6detail9not_fun_tIN6dUtils10isMinusOneIiEEEES9_NSC_11use_defaultESK_EENS0_5tupleIJS9_S6_EEENSM_IJSA_SA_EEES6_PlJS6_EEE10hipError_tPvRmT3_T4_T5_T6_T7_T9_mT8_P12ihipStream_tbDpT10_ENKUlT_T0_E_clISt17integral_constantIbLb0EES18_IbLb1EEEEDaS14_S15_EUlS14_E_NS1_11comp_targetILNS1_3genE2ELNS1_11target_archE906ELNS1_3gpuE6ELNS1_3repE0EEENS1_30default_config_static_selectorELNS0_4arch9wavefront6targetE1EEEvT1_
                                        ; -- End function
	.section	.AMDGPU.csdata,"",@progbits
; Kernel info:
; codeLenInByte = 0
; NumSgprs: 4
; NumVgprs: 0
; NumAgprs: 0
; TotalNumVgprs: 0
; ScratchSize: 0
; MemoryBound: 0
; FloatMode: 240
; IeeeMode: 1
; LDSByteSize: 0 bytes/workgroup (compile time only)
; SGPRBlocks: 0
; VGPRBlocks: 0
; NumSGPRsForWavesPerEU: 4
; NumVGPRsForWavesPerEU: 1
; AccumOffset: 4
; Occupancy: 8
; WaveLimiterHint : 0
; COMPUTE_PGM_RSRC2:SCRATCH_EN: 0
; COMPUTE_PGM_RSRC2:USER_SGPR: 6
; COMPUTE_PGM_RSRC2:TRAP_HANDLER: 0
; COMPUTE_PGM_RSRC2:TGID_X_EN: 1
; COMPUTE_PGM_RSRC2:TGID_Y_EN: 0
; COMPUTE_PGM_RSRC2:TGID_Z_EN: 0
; COMPUTE_PGM_RSRC2:TIDIG_COMP_CNT: 0
; COMPUTE_PGM_RSRC3_GFX90A:ACCUM_OFFSET: 0
; COMPUTE_PGM_RSRC3_GFX90A:TG_SPLIT: 0
	.section	.text._ZN7rocprim17ROCPRIM_400000_NS6detail17trampoline_kernelINS0_14default_configENS1_25partition_config_selectorILNS1_17partition_subalgoE5EiNS0_10empty_typeEbEEZZNS1_14partition_implILS5_5ELb0ES3_mPiPS6_N6thrust23THRUST_200600_302600_NS18transform_iteratorINSC_6detail9not_fun_tIN6dUtils10isMinusOneIiEEEES9_NSC_11use_defaultESK_EENS0_5tupleIJS9_S6_EEENSM_IJSA_SA_EEES6_PlJS6_EEE10hipError_tPvRmT3_T4_T5_T6_T7_T9_mT8_P12ihipStream_tbDpT10_ENKUlT_T0_E_clISt17integral_constantIbLb0EES18_IbLb1EEEEDaS14_S15_EUlS14_E_NS1_11comp_targetILNS1_3genE10ELNS1_11target_archE1200ELNS1_3gpuE4ELNS1_3repE0EEENS1_30default_config_static_selectorELNS0_4arch9wavefront6targetE1EEEvT1_,"axG",@progbits,_ZN7rocprim17ROCPRIM_400000_NS6detail17trampoline_kernelINS0_14default_configENS1_25partition_config_selectorILNS1_17partition_subalgoE5EiNS0_10empty_typeEbEEZZNS1_14partition_implILS5_5ELb0ES3_mPiPS6_N6thrust23THRUST_200600_302600_NS18transform_iteratorINSC_6detail9not_fun_tIN6dUtils10isMinusOneIiEEEES9_NSC_11use_defaultESK_EENS0_5tupleIJS9_S6_EEENSM_IJSA_SA_EEES6_PlJS6_EEE10hipError_tPvRmT3_T4_T5_T6_T7_T9_mT8_P12ihipStream_tbDpT10_ENKUlT_T0_E_clISt17integral_constantIbLb0EES18_IbLb1EEEEDaS14_S15_EUlS14_E_NS1_11comp_targetILNS1_3genE10ELNS1_11target_archE1200ELNS1_3gpuE4ELNS1_3repE0EEENS1_30default_config_static_selectorELNS0_4arch9wavefront6targetE1EEEvT1_,comdat
	.protected	_ZN7rocprim17ROCPRIM_400000_NS6detail17trampoline_kernelINS0_14default_configENS1_25partition_config_selectorILNS1_17partition_subalgoE5EiNS0_10empty_typeEbEEZZNS1_14partition_implILS5_5ELb0ES3_mPiPS6_N6thrust23THRUST_200600_302600_NS18transform_iteratorINSC_6detail9not_fun_tIN6dUtils10isMinusOneIiEEEES9_NSC_11use_defaultESK_EENS0_5tupleIJS9_S6_EEENSM_IJSA_SA_EEES6_PlJS6_EEE10hipError_tPvRmT3_T4_T5_T6_T7_T9_mT8_P12ihipStream_tbDpT10_ENKUlT_T0_E_clISt17integral_constantIbLb0EES18_IbLb1EEEEDaS14_S15_EUlS14_E_NS1_11comp_targetILNS1_3genE10ELNS1_11target_archE1200ELNS1_3gpuE4ELNS1_3repE0EEENS1_30default_config_static_selectorELNS0_4arch9wavefront6targetE1EEEvT1_ ; -- Begin function _ZN7rocprim17ROCPRIM_400000_NS6detail17trampoline_kernelINS0_14default_configENS1_25partition_config_selectorILNS1_17partition_subalgoE5EiNS0_10empty_typeEbEEZZNS1_14partition_implILS5_5ELb0ES3_mPiPS6_N6thrust23THRUST_200600_302600_NS18transform_iteratorINSC_6detail9not_fun_tIN6dUtils10isMinusOneIiEEEES9_NSC_11use_defaultESK_EENS0_5tupleIJS9_S6_EEENSM_IJSA_SA_EEES6_PlJS6_EEE10hipError_tPvRmT3_T4_T5_T6_T7_T9_mT8_P12ihipStream_tbDpT10_ENKUlT_T0_E_clISt17integral_constantIbLb0EES18_IbLb1EEEEDaS14_S15_EUlS14_E_NS1_11comp_targetILNS1_3genE10ELNS1_11target_archE1200ELNS1_3gpuE4ELNS1_3repE0EEENS1_30default_config_static_selectorELNS0_4arch9wavefront6targetE1EEEvT1_
	.globl	_ZN7rocprim17ROCPRIM_400000_NS6detail17trampoline_kernelINS0_14default_configENS1_25partition_config_selectorILNS1_17partition_subalgoE5EiNS0_10empty_typeEbEEZZNS1_14partition_implILS5_5ELb0ES3_mPiPS6_N6thrust23THRUST_200600_302600_NS18transform_iteratorINSC_6detail9not_fun_tIN6dUtils10isMinusOneIiEEEES9_NSC_11use_defaultESK_EENS0_5tupleIJS9_S6_EEENSM_IJSA_SA_EEES6_PlJS6_EEE10hipError_tPvRmT3_T4_T5_T6_T7_T9_mT8_P12ihipStream_tbDpT10_ENKUlT_T0_E_clISt17integral_constantIbLb0EES18_IbLb1EEEEDaS14_S15_EUlS14_E_NS1_11comp_targetILNS1_3genE10ELNS1_11target_archE1200ELNS1_3gpuE4ELNS1_3repE0EEENS1_30default_config_static_selectorELNS0_4arch9wavefront6targetE1EEEvT1_
	.p2align	8
	.type	_ZN7rocprim17ROCPRIM_400000_NS6detail17trampoline_kernelINS0_14default_configENS1_25partition_config_selectorILNS1_17partition_subalgoE5EiNS0_10empty_typeEbEEZZNS1_14partition_implILS5_5ELb0ES3_mPiPS6_N6thrust23THRUST_200600_302600_NS18transform_iteratorINSC_6detail9not_fun_tIN6dUtils10isMinusOneIiEEEES9_NSC_11use_defaultESK_EENS0_5tupleIJS9_S6_EEENSM_IJSA_SA_EEES6_PlJS6_EEE10hipError_tPvRmT3_T4_T5_T6_T7_T9_mT8_P12ihipStream_tbDpT10_ENKUlT_T0_E_clISt17integral_constantIbLb0EES18_IbLb1EEEEDaS14_S15_EUlS14_E_NS1_11comp_targetILNS1_3genE10ELNS1_11target_archE1200ELNS1_3gpuE4ELNS1_3repE0EEENS1_30default_config_static_selectorELNS0_4arch9wavefront6targetE1EEEvT1_,@function
_ZN7rocprim17ROCPRIM_400000_NS6detail17trampoline_kernelINS0_14default_configENS1_25partition_config_selectorILNS1_17partition_subalgoE5EiNS0_10empty_typeEbEEZZNS1_14partition_implILS5_5ELb0ES3_mPiPS6_N6thrust23THRUST_200600_302600_NS18transform_iteratorINSC_6detail9not_fun_tIN6dUtils10isMinusOneIiEEEES9_NSC_11use_defaultESK_EENS0_5tupleIJS9_S6_EEENSM_IJSA_SA_EEES6_PlJS6_EEE10hipError_tPvRmT3_T4_T5_T6_T7_T9_mT8_P12ihipStream_tbDpT10_ENKUlT_T0_E_clISt17integral_constantIbLb0EES18_IbLb1EEEEDaS14_S15_EUlS14_E_NS1_11comp_targetILNS1_3genE10ELNS1_11target_archE1200ELNS1_3gpuE4ELNS1_3repE0EEENS1_30default_config_static_selectorELNS0_4arch9wavefront6targetE1EEEvT1_: ; @_ZN7rocprim17ROCPRIM_400000_NS6detail17trampoline_kernelINS0_14default_configENS1_25partition_config_selectorILNS1_17partition_subalgoE5EiNS0_10empty_typeEbEEZZNS1_14partition_implILS5_5ELb0ES3_mPiPS6_N6thrust23THRUST_200600_302600_NS18transform_iteratorINSC_6detail9not_fun_tIN6dUtils10isMinusOneIiEEEES9_NSC_11use_defaultESK_EENS0_5tupleIJS9_S6_EEENSM_IJSA_SA_EEES6_PlJS6_EEE10hipError_tPvRmT3_T4_T5_T6_T7_T9_mT8_P12ihipStream_tbDpT10_ENKUlT_T0_E_clISt17integral_constantIbLb0EES18_IbLb1EEEEDaS14_S15_EUlS14_E_NS1_11comp_targetILNS1_3genE10ELNS1_11target_archE1200ELNS1_3gpuE4ELNS1_3repE0EEENS1_30default_config_static_selectorELNS0_4arch9wavefront6targetE1EEEvT1_
; %bb.0:
	.section	.rodata,"a",@progbits
	.p2align	6, 0x0
	.amdhsa_kernel _ZN7rocprim17ROCPRIM_400000_NS6detail17trampoline_kernelINS0_14default_configENS1_25partition_config_selectorILNS1_17partition_subalgoE5EiNS0_10empty_typeEbEEZZNS1_14partition_implILS5_5ELb0ES3_mPiPS6_N6thrust23THRUST_200600_302600_NS18transform_iteratorINSC_6detail9not_fun_tIN6dUtils10isMinusOneIiEEEES9_NSC_11use_defaultESK_EENS0_5tupleIJS9_S6_EEENSM_IJSA_SA_EEES6_PlJS6_EEE10hipError_tPvRmT3_T4_T5_T6_T7_T9_mT8_P12ihipStream_tbDpT10_ENKUlT_T0_E_clISt17integral_constantIbLb0EES18_IbLb1EEEEDaS14_S15_EUlS14_E_NS1_11comp_targetILNS1_3genE10ELNS1_11target_archE1200ELNS1_3gpuE4ELNS1_3repE0EEENS1_30default_config_static_selectorELNS0_4arch9wavefront6targetE1EEEvT1_
		.amdhsa_group_segment_fixed_size 0
		.amdhsa_private_segment_fixed_size 0
		.amdhsa_kernarg_size 136
		.amdhsa_user_sgpr_count 6
		.amdhsa_user_sgpr_private_segment_buffer 1
		.amdhsa_user_sgpr_dispatch_ptr 0
		.amdhsa_user_sgpr_queue_ptr 0
		.amdhsa_user_sgpr_kernarg_segment_ptr 1
		.amdhsa_user_sgpr_dispatch_id 0
		.amdhsa_user_sgpr_flat_scratch_init 0
		.amdhsa_user_sgpr_kernarg_preload_length 0
		.amdhsa_user_sgpr_kernarg_preload_offset 0
		.amdhsa_user_sgpr_private_segment_size 0
		.amdhsa_uses_dynamic_stack 0
		.amdhsa_system_sgpr_private_segment_wavefront_offset 0
		.amdhsa_system_sgpr_workgroup_id_x 1
		.amdhsa_system_sgpr_workgroup_id_y 0
		.amdhsa_system_sgpr_workgroup_id_z 0
		.amdhsa_system_sgpr_workgroup_info 0
		.amdhsa_system_vgpr_workitem_id 0
		.amdhsa_next_free_vgpr 1
		.amdhsa_next_free_sgpr 0
		.amdhsa_accum_offset 4
		.amdhsa_reserve_vcc 0
		.amdhsa_reserve_flat_scratch 0
		.amdhsa_float_round_mode_32 0
		.amdhsa_float_round_mode_16_64 0
		.amdhsa_float_denorm_mode_32 3
		.amdhsa_float_denorm_mode_16_64 3
		.amdhsa_dx10_clamp 1
		.amdhsa_ieee_mode 1
		.amdhsa_fp16_overflow 0
		.amdhsa_tg_split 0
		.amdhsa_exception_fp_ieee_invalid_op 0
		.amdhsa_exception_fp_denorm_src 0
		.amdhsa_exception_fp_ieee_div_zero 0
		.amdhsa_exception_fp_ieee_overflow 0
		.amdhsa_exception_fp_ieee_underflow 0
		.amdhsa_exception_fp_ieee_inexact 0
		.amdhsa_exception_int_div_zero 0
	.end_amdhsa_kernel
	.section	.text._ZN7rocprim17ROCPRIM_400000_NS6detail17trampoline_kernelINS0_14default_configENS1_25partition_config_selectorILNS1_17partition_subalgoE5EiNS0_10empty_typeEbEEZZNS1_14partition_implILS5_5ELb0ES3_mPiPS6_N6thrust23THRUST_200600_302600_NS18transform_iteratorINSC_6detail9not_fun_tIN6dUtils10isMinusOneIiEEEES9_NSC_11use_defaultESK_EENS0_5tupleIJS9_S6_EEENSM_IJSA_SA_EEES6_PlJS6_EEE10hipError_tPvRmT3_T4_T5_T6_T7_T9_mT8_P12ihipStream_tbDpT10_ENKUlT_T0_E_clISt17integral_constantIbLb0EES18_IbLb1EEEEDaS14_S15_EUlS14_E_NS1_11comp_targetILNS1_3genE10ELNS1_11target_archE1200ELNS1_3gpuE4ELNS1_3repE0EEENS1_30default_config_static_selectorELNS0_4arch9wavefront6targetE1EEEvT1_,"axG",@progbits,_ZN7rocprim17ROCPRIM_400000_NS6detail17trampoline_kernelINS0_14default_configENS1_25partition_config_selectorILNS1_17partition_subalgoE5EiNS0_10empty_typeEbEEZZNS1_14partition_implILS5_5ELb0ES3_mPiPS6_N6thrust23THRUST_200600_302600_NS18transform_iteratorINSC_6detail9not_fun_tIN6dUtils10isMinusOneIiEEEES9_NSC_11use_defaultESK_EENS0_5tupleIJS9_S6_EEENSM_IJSA_SA_EEES6_PlJS6_EEE10hipError_tPvRmT3_T4_T5_T6_T7_T9_mT8_P12ihipStream_tbDpT10_ENKUlT_T0_E_clISt17integral_constantIbLb0EES18_IbLb1EEEEDaS14_S15_EUlS14_E_NS1_11comp_targetILNS1_3genE10ELNS1_11target_archE1200ELNS1_3gpuE4ELNS1_3repE0EEENS1_30default_config_static_selectorELNS0_4arch9wavefront6targetE1EEEvT1_,comdat
.Lfunc_end248:
	.size	_ZN7rocprim17ROCPRIM_400000_NS6detail17trampoline_kernelINS0_14default_configENS1_25partition_config_selectorILNS1_17partition_subalgoE5EiNS0_10empty_typeEbEEZZNS1_14partition_implILS5_5ELb0ES3_mPiPS6_N6thrust23THRUST_200600_302600_NS18transform_iteratorINSC_6detail9not_fun_tIN6dUtils10isMinusOneIiEEEES9_NSC_11use_defaultESK_EENS0_5tupleIJS9_S6_EEENSM_IJSA_SA_EEES6_PlJS6_EEE10hipError_tPvRmT3_T4_T5_T6_T7_T9_mT8_P12ihipStream_tbDpT10_ENKUlT_T0_E_clISt17integral_constantIbLb0EES18_IbLb1EEEEDaS14_S15_EUlS14_E_NS1_11comp_targetILNS1_3genE10ELNS1_11target_archE1200ELNS1_3gpuE4ELNS1_3repE0EEENS1_30default_config_static_selectorELNS0_4arch9wavefront6targetE1EEEvT1_, .Lfunc_end248-_ZN7rocprim17ROCPRIM_400000_NS6detail17trampoline_kernelINS0_14default_configENS1_25partition_config_selectorILNS1_17partition_subalgoE5EiNS0_10empty_typeEbEEZZNS1_14partition_implILS5_5ELb0ES3_mPiPS6_N6thrust23THRUST_200600_302600_NS18transform_iteratorINSC_6detail9not_fun_tIN6dUtils10isMinusOneIiEEEES9_NSC_11use_defaultESK_EENS0_5tupleIJS9_S6_EEENSM_IJSA_SA_EEES6_PlJS6_EEE10hipError_tPvRmT3_T4_T5_T6_T7_T9_mT8_P12ihipStream_tbDpT10_ENKUlT_T0_E_clISt17integral_constantIbLb0EES18_IbLb1EEEEDaS14_S15_EUlS14_E_NS1_11comp_targetILNS1_3genE10ELNS1_11target_archE1200ELNS1_3gpuE4ELNS1_3repE0EEENS1_30default_config_static_selectorELNS0_4arch9wavefront6targetE1EEEvT1_
                                        ; -- End function
	.section	.AMDGPU.csdata,"",@progbits
; Kernel info:
; codeLenInByte = 0
; NumSgprs: 4
; NumVgprs: 0
; NumAgprs: 0
; TotalNumVgprs: 0
; ScratchSize: 0
; MemoryBound: 0
; FloatMode: 240
; IeeeMode: 1
; LDSByteSize: 0 bytes/workgroup (compile time only)
; SGPRBlocks: 0
; VGPRBlocks: 0
; NumSGPRsForWavesPerEU: 4
; NumVGPRsForWavesPerEU: 1
; AccumOffset: 4
; Occupancy: 8
; WaveLimiterHint : 0
; COMPUTE_PGM_RSRC2:SCRATCH_EN: 0
; COMPUTE_PGM_RSRC2:USER_SGPR: 6
; COMPUTE_PGM_RSRC2:TRAP_HANDLER: 0
; COMPUTE_PGM_RSRC2:TGID_X_EN: 1
; COMPUTE_PGM_RSRC2:TGID_Y_EN: 0
; COMPUTE_PGM_RSRC2:TGID_Z_EN: 0
; COMPUTE_PGM_RSRC2:TIDIG_COMP_CNT: 0
; COMPUTE_PGM_RSRC3_GFX90A:ACCUM_OFFSET: 0
; COMPUTE_PGM_RSRC3_GFX90A:TG_SPLIT: 0
	.section	.text._ZN7rocprim17ROCPRIM_400000_NS6detail17trampoline_kernelINS0_14default_configENS1_25partition_config_selectorILNS1_17partition_subalgoE5EiNS0_10empty_typeEbEEZZNS1_14partition_implILS5_5ELb0ES3_mPiPS6_N6thrust23THRUST_200600_302600_NS18transform_iteratorINSC_6detail9not_fun_tIN6dUtils10isMinusOneIiEEEES9_NSC_11use_defaultESK_EENS0_5tupleIJS9_S6_EEENSM_IJSA_SA_EEES6_PlJS6_EEE10hipError_tPvRmT3_T4_T5_T6_T7_T9_mT8_P12ihipStream_tbDpT10_ENKUlT_T0_E_clISt17integral_constantIbLb0EES18_IbLb1EEEEDaS14_S15_EUlS14_E_NS1_11comp_targetILNS1_3genE9ELNS1_11target_archE1100ELNS1_3gpuE3ELNS1_3repE0EEENS1_30default_config_static_selectorELNS0_4arch9wavefront6targetE1EEEvT1_,"axG",@progbits,_ZN7rocprim17ROCPRIM_400000_NS6detail17trampoline_kernelINS0_14default_configENS1_25partition_config_selectorILNS1_17partition_subalgoE5EiNS0_10empty_typeEbEEZZNS1_14partition_implILS5_5ELb0ES3_mPiPS6_N6thrust23THRUST_200600_302600_NS18transform_iteratorINSC_6detail9not_fun_tIN6dUtils10isMinusOneIiEEEES9_NSC_11use_defaultESK_EENS0_5tupleIJS9_S6_EEENSM_IJSA_SA_EEES6_PlJS6_EEE10hipError_tPvRmT3_T4_T5_T6_T7_T9_mT8_P12ihipStream_tbDpT10_ENKUlT_T0_E_clISt17integral_constantIbLb0EES18_IbLb1EEEEDaS14_S15_EUlS14_E_NS1_11comp_targetILNS1_3genE9ELNS1_11target_archE1100ELNS1_3gpuE3ELNS1_3repE0EEENS1_30default_config_static_selectorELNS0_4arch9wavefront6targetE1EEEvT1_,comdat
	.protected	_ZN7rocprim17ROCPRIM_400000_NS6detail17trampoline_kernelINS0_14default_configENS1_25partition_config_selectorILNS1_17partition_subalgoE5EiNS0_10empty_typeEbEEZZNS1_14partition_implILS5_5ELb0ES3_mPiPS6_N6thrust23THRUST_200600_302600_NS18transform_iteratorINSC_6detail9not_fun_tIN6dUtils10isMinusOneIiEEEES9_NSC_11use_defaultESK_EENS0_5tupleIJS9_S6_EEENSM_IJSA_SA_EEES6_PlJS6_EEE10hipError_tPvRmT3_T4_T5_T6_T7_T9_mT8_P12ihipStream_tbDpT10_ENKUlT_T0_E_clISt17integral_constantIbLb0EES18_IbLb1EEEEDaS14_S15_EUlS14_E_NS1_11comp_targetILNS1_3genE9ELNS1_11target_archE1100ELNS1_3gpuE3ELNS1_3repE0EEENS1_30default_config_static_selectorELNS0_4arch9wavefront6targetE1EEEvT1_ ; -- Begin function _ZN7rocprim17ROCPRIM_400000_NS6detail17trampoline_kernelINS0_14default_configENS1_25partition_config_selectorILNS1_17partition_subalgoE5EiNS0_10empty_typeEbEEZZNS1_14partition_implILS5_5ELb0ES3_mPiPS6_N6thrust23THRUST_200600_302600_NS18transform_iteratorINSC_6detail9not_fun_tIN6dUtils10isMinusOneIiEEEES9_NSC_11use_defaultESK_EENS0_5tupleIJS9_S6_EEENSM_IJSA_SA_EEES6_PlJS6_EEE10hipError_tPvRmT3_T4_T5_T6_T7_T9_mT8_P12ihipStream_tbDpT10_ENKUlT_T0_E_clISt17integral_constantIbLb0EES18_IbLb1EEEEDaS14_S15_EUlS14_E_NS1_11comp_targetILNS1_3genE9ELNS1_11target_archE1100ELNS1_3gpuE3ELNS1_3repE0EEENS1_30default_config_static_selectorELNS0_4arch9wavefront6targetE1EEEvT1_
	.globl	_ZN7rocprim17ROCPRIM_400000_NS6detail17trampoline_kernelINS0_14default_configENS1_25partition_config_selectorILNS1_17partition_subalgoE5EiNS0_10empty_typeEbEEZZNS1_14partition_implILS5_5ELb0ES3_mPiPS6_N6thrust23THRUST_200600_302600_NS18transform_iteratorINSC_6detail9not_fun_tIN6dUtils10isMinusOneIiEEEES9_NSC_11use_defaultESK_EENS0_5tupleIJS9_S6_EEENSM_IJSA_SA_EEES6_PlJS6_EEE10hipError_tPvRmT3_T4_T5_T6_T7_T9_mT8_P12ihipStream_tbDpT10_ENKUlT_T0_E_clISt17integral_constantIbLb0EES18_IbLb1EEEEDaS14_S15_EUlS14_E_NS1_11comp_targetILNS1_3genE9ELNS1_11target_archE1100ELNS1_3gpuE3ELNS1_3repE0EEENS1_30default_config_static_selectorELNS0_4arch9wavefront6targetE1EEEvT1_
	.p2align	8
	.type	_ZN7rocprim17ROCPRIM_400000_NS6detail17trampoline_kernelINS0_14default_configENS1_25partition_config_selectorILNS1_17partition_subalgoE5EiNS0_10empty_typeEbEEZZNS1_14partition_implILS5_5ELb0ES3_mPiPS6_N6thrust23THRUST_200600_302600_NS18transform_iteratorINSC_6detail9not_fun_tIN6dUtils10isMinusOneIiEEEES9_NSC_11use_defaultESK_EENS0_5tupleIJS9_S6_EEENSM_IJSA_SA_EEES6_PlJS6_EEE10hipError_tPvRmT3_T4_T5_T6_T7_T9_mT8_P12ihipStream_tbDpT10_ENKUlT_T0_E_clISt17integral_constantIbLb0EES18_IbLb1EEEEDaS14_S15_EUlS14_E_NS1_11comp_targetILNS1_3genE9ELNS1_11target_archE1100ELNS1_3gpuE3ELNS1_3repE0EEENS1_30default_config_static_selectorELNS0_4arch9wavefront6targetE1EEEvT1_,@function
_ZN7rocprim17ROCPRIM_400000_NS6detail17trampoline_kernelINS0_14default_configENS1_25partition_config_selectorILNS1_17partition_subalgoE5EiNS0_10empty_typeEbEEZZNS1_14partition_implILS5_5ELb0ES3_mPiPS6_N6thrust23THRUST_200600_302600_NS18transform_iteratorINSC_6detail9not_fun_tIN6dUtils10isMinusOneIiEEEES9_NSC_11use_defaultESK_EENS0_5tupleIJS9_S6_EEENSM_IJSA_SA_EEES6_PlJS6_EEE10hipError_tPvRmT3_T4_T5_T6_T7_T9_mT8_P12ihipStream_tbDpT10_ENKUlT_T0_E_clISt17integral_constantIbLb0EES18_IbLb1EEEEDaS14_S15_EUlS14_E_NS1_11comp_targetILNS1_3genE9ELNS1_11target_archE1100ELNS1_3gpuE3ELNS1_3repE0EEENS1_30default_config_static_selectorELNS0_4arch9wavefront6targetE1EEEvT1_: ; @_ZN7rocprim17ROCPRIM_400000_NS6detail17trampoline_kernelINS0_14default_configENS1_25partition_config_selectorILNS1_17partition_subalgoE5EiNS0_10empty_typeEbEEZZNS1_14partition_implILS5_5ELb0ES3_mPiPS6_N6thrust23THRUST_200600_302600_NS18transform_iteratorINSC_6detail9not_fun_tIN6dUtils10isMinusOneIiEEEES9_NSC_11use_defaultESK_EENS0_5tupleIJS9_S6_EEENSM_IJSA_SA_EEES6_PlJS6_EEE10hipError_tPvRmT3_T4_T5_T6_T7_T9_mT8_P12ihipStream_tbDpT10_ENKUlT_T0_E_clISt17integral_constantIbLb0EES18_IbLb1EEEEDaS14_S15_EUlS14_E_NS1_11comp_targetILNS1_3genE9ELNS1_11target_archE1100ELNS1_3gpuE3ELNS1_3repE0EEENS1_30default_config_static_selectorELNS0_4arch9wavefront6targetE1EEEvT1_
; %bb.0:
	.section	.rodata,"a",@progbits
	.p2align	6, 0x0
	.amdhsa_kernel _ZN7rocprim17ROCPRIM_400000_NS6detail17trampoline_kernelINS0_14default_configENS1_25partition_config_selectorILNS1_17partition_subalgoE5EiNS0_10empty_typeEbEEZZNS1_14partition_implILS5_5ELb0ES3_mPiPS6_N6thrust23THRUST_200600_302600_NS18transform_iteratorINSC_6detail9not_fun_tIN6dUtils10isMinusOneIiEEEES9_NSC_11use_defaultESK_EENS0_5tupleIJS9_S6_EEENSM_IJSA_SA_EEES6_PlJS6_EEE10hipError_tPvRmT3_T4_T5_T6_T7_T9_mT8_P12ihipStream_tbDpT10_ENKUlT_T0_E_clISt17integral_constantIbLb0EES18_IbLb1EEEEDaS14_S15_EUlS14_E_NS1_11comp_targetILNS1_3genE9ELNS1_11target_archE1100ELNS1_3gpuE3ELNS1_3repE0EEENS1_30default_config_static_selectorELNS0_4arch9wavefront6targetE1EEEvT1_
		.amdhsa_group_segment_fixed_size 0
		.amdhsa_private_segment_fixed_size 0
		.amdhsa_kernarg_size 136
		.amdhsa_user_sgpr_count 6
		.amdhsa_user_sgpr_private_segment_buffer 1
		.amdhsa_user_sgpr_dispatch_ptr 0
		.amdhsa_user_sgpr_queue_ptr 0
		.amdhsa_user_sgpr_kernarg_segment_ptr 1
		.amdhsa_user_sgpr_dispatch_id 0
		.amdhsa_user_sgpr_flat_scratch_init 0
		.amdhsa_user_sgpr_kernarg_preload_length 0
		.amdhsa_user_sgpr_kernarg_preload_offset 0
		.amdhsa_user_sgpr_private_segment_size 0
		.amdhsa_uses_dynamic_stack 0
		.amdhsa_system_sgpr_private_segment_wavefront_offset 0
		.amdhsa_system_sgpr_workgroup_id_x 1
		.amdhsa_system_sgpr_workgroup_id_y 0
		.amdhsa_system_sgpr_workgroup_id_z 0
		.amdhsa_system_sgpr_workgroup_info 0
		.amdhsa_system_vgpr_workitem_id 0
		.amdhsa_next_free_vgpr 1
		.amdhsa_next_free_sgpr 0
		.amdhsa_accum_offset 4
		.amdhsa_reserve_vcc 0
		.amdhsa_reserve_flat_scratch 0
		.amdhsa_float_round_mode_32 0
		.amdhsa_float_round_mode_16_64 0
		.amdhsa_float_denorm_mode_32 3
		.amdhsa_float_denorm_mode_16_64 3
		.amdhsa_dx10_clamp 1
		.amdhsa_ieee_mode 1
		.amdhsa_fp16_overflow 0
		.amdhsa_tg_split 0
		.amdhsa_exception_fp_ieee_invalid_op 0
		.amdhsa_exception_fp_denorm_src 0
		.amdhsa_exception_fp_ieee_div_zero 0
		.amdhsa_exception_fp_ieee_overflow 0
		.amdhsa_exception_fp_ieee_underflow 0
		.amdhsa_exception_fp_ieee_inexact 0
		.amdhsa_exception_int_div_zero 0
	.end_amdhsa_kernel
	.section	.text._ZN7rocprim17ROCPRIM_400000_NS6detail17trampoline_kernelINS0_14default_configENS1_25partition_config_selectorILNS1_17partition_subalgoE5EiNS0_10empty_typeEbEEZZNS1_14partition_implILS5_5ELb0ES3_mPiPS6_N6thrust23THRUST_200600_302600_NS18transform_iteratorINSC_6detail9not_fun_tIN6dUtils10isMinusOneIiEEEES9_NSC_11use_defaultESK_EENS0_5tupleIJS9_S6_EEENSM_IJSA_SA_EEES6_PlJS6_EEE10hipError_tPvRmT3_T4_T5_T6_T7_T9_mT8_P12ihipStream_tbDpT10_ENKUlT_T0_E_clISt17integral_constantIbLb0EES18_IbLb1EEEEDaS14_S15_EUlS14_E_NS1_11comp_targetILNS1_3genE9ELNS1_11target_archE1100ELNS1_3gpuE3ELNS1_3repE0EEENS1_30default_config_static_selectorELNS0_4arch9wavefront6targetE1EEEvT1_,"axG",@progbits,_ZN7rocprim17ROCPRIM_400000_NS6detail17trampoline_kernelINS0_14default_configENS1_25partition_config_selectorILNS1_17partition_subalgoE5EiNS0_10empty_typeEbEEZZNS1_14partition_implILS5_5ELb0ES3_mPiPS6_N6thrust23THRUST_200600_302600_NS18transform_iteratorINSC_6detail9not_fun_tIN6dUtils10isMinusOneIiEEEES9_NSC_11use_defaultESK_EENS0_5tupleIJS9_S6_EEENSM_IJSA_SA_EEES6_PlJS6_EEE10hipError_tPvRmT3_T4_T5_T6_T7_T9_mT8_P12ihipStream_tbDpT10_ENKUlT_T0_E_clISt17integral_constantIbLb0EES18_IbLb1EEEEDaS14_S15_EUlS14_E_NS1_11comp_targetILNS1_3genE9ELNS1_11target_archE1100ELNS1_3gpuE3ELNS1_3repE0EEENS1_30default_config_static_selectorELNS0_4arch9wavefront6targetE1EEEvT1_,comdat
.Lfunc_end249:
	.size	_ZN7rocprim17ROCPRIM_400000_NS6detail17trampoline_kernelINS0_14default_configENS1_25partition_config_selectorILNS1_17partition_subalgoE5EiNS0_10empty_typeEbEEZZNS1_14partition_implILS5_5ELb0ES3_mPiPS6_N6thrust23THRUST_200600_302600_NS18transform_iteratorINSC_6detail9not_fun_tIN6dUtils10isMinusOneIiEEEES9_NSC_11use_defaultESK_EENS0_5tupleIJS9_S6_EEENSM_IJSA_SA_EEES6_PlJS6_EEE10hipError_tPvRmT3_T4_T5_T6_T7_T9_mT8_P12ihipStream_tbDpT10_ENKUlT_T0_E_clISt17integral_constantIbLb0EES18_IbLb1EEEEDaS14_S15_EUlS14_E_NS1_11comp_targetILNS1_3genE9ELNS1_11target_archE1100ELNS1_3gpuE3ELNS1_3repE0EEENS1_30default_config_static_selectorELNS0_4arch9wavefront6targetE1EEEvT1_, .Lfunc_end249-_ZN7rocprim17ROCPRIM_400000_NS6detail17trampoline_kernelINS0_14default_configENS1_25partition_config_selectorILNS1_17partition_subalgoE5EiNS0_10empty_typeEbEEZZNS1_14partition_implILS5_5ELb0ES3_mPiPS6_N6thrust23THRUST_200600_302600_NS18transform_iteratorINSC_6detail9not_fun_tIN6dUtils10isMinusOneIiEEEES9_NSC_11use_defaultESK_EENS0_5tupleIJS9_S6_EEENSM_IJSA_SA_EEES6_PlJS6_EEE10hipError_tPvRmT3_T4_T5_T6_T7_T9_mT8_P12ihipStream_tbDpT10_ENKUlT_T0_E_clISt17integral_constantIbLb0EES18_IbLb1EEEEDaS14_S15_EUlS14_E_NS1_11comp_targetILNS1_3genE9ELNS1_11target_archE1100ELNS1_3gpuE3ELNS1_3repE0EEENS1_30default_config_static_selectorELNS0_4arch9wavefront6targetE1EEEvT1_
                                        ; -- End function
	.section	.AMDGPU.csdata,"",@progbits
; Kernel info:
; codeLenInByte = 0
; NumSgprs: 4
; NumVgprs: 0
; NumAgprs: 0
; TotalNumVgprs: 0
; ScratchSize: 0
; MemoryBound: 0
; FloatMode: 240
; IeeeMode: 1
; LDSByteSize: 0 bytes/workgroup (compile time only)
; SGPRBlocks: 0
; VGPRBlocks: 0
; NumSGPRsForWavesPerEU: 4
; NumVGPRsForWavesPerEU: 1
; AccumOffset: 4
; Occupancy: 8
; WaveLimiterHint : 0
; COMPUTE_PGM_RSRC2:SCRATCH_EN: 0
; COMPUTE_PGM_RSRC2:USER_SGPR: 6
; COMPUTE_PGM_RSRC2:TRAP_HANDLER: 0
; COMPUTE_PGM_RSRC2:TGID_X_EN: 1
; COMPUTE_PGM_RSRC2:TGID_Y_EN: 0
; COMPUTE_PGM_RSRC2:TGID_Z_EN: 0
; COMPUTE_PGM_RSRC2:TIDIG_COMP_CNT: 0
; COMPUTE_PGM_RSRC3_GFX90A:ACCUM_OFFSET: 0
; COMPUTE_PGM_RSRC3_GFX90A:TG_SPLIT: 0
	.section	.text._ZN7rocprim17ROCPRIM_400000_NS6detail17trampoline_kernelINS0_14default_configENS1_25partition_config_selectorILNS1_17partition_subalgoE5EiNS0_10empty_typeEbEEZZNS1_14partition_implILS5_5ELb0ES3_mPiPS6_N6thrust23THRUST_200600_302600_NS18transform_iteratorINSC_6detail9not_fun_tIN6dUtils10isMinusOneIiEEEES9_NSC_11use_defaultESK_EENS0_5tupleIJS9_S6_EEENSM_IJSA_SA_EEES6_PlJS6_EEE10hipError_tPvRmT3_T4_T5_T6_T7_T9_mT8_P12ihipStream_tbDpT10_ENKUlT_T0_E_clISt17integral_constantIbLb0EES18_IbLb1EEEEDaS14_S15_EUlS14_E_NS1_11comp_targetILNS1_3genE8ELNS1_11target_archE1030ELNS1_3gpuE2ELNS1_3repE0EEENS1_30default_config_static_selectorELNS0_4arch9wavefront6targetE1EEEvT1_,"axG",@progbits,_ZN7rocprim17ROCPRIM_400000_NS6detail17trampoline_kernelINS0_14default_configENS1_25partition_config_selectorILNS1_17partition_subalgoE5EiNS0_10empty_typeEbEEZZNS1_14partition_implILS5_5ELb0ES3_mPiPS6_N6thrust23THRUST_200600_302600_NS18transform_iteratorINSC_6detail9not_fun_tIN6dUtils10isMinusOneIiEEEES9_NSC_11use_defaultESK_EENS0_5tupleIJS9_S6_EEENSM_IJSA_SA_EEES6_PlJS6_EEE10hipError_tPvRmT3_T4_T5_T6_T7_T9_mT8_P12ihipStream_tbDpT10_ENKUlT_T0_E_clISt17integral_constantIbLb0EES18_IbLb1EEEEDaS14_S15_EUlS14_E_NS1_11comp_targetILNS1_3genE8ELNS1_11target_archE1030ELNS1_3gpuE2ELNS1_3repE0EEENS1_30default_config_static_selectorELNS0_4arch9wavefront6targetE1EEEvT1_,comdat
	.protected	_ZN7rocprim17ROCPRIM_400000_NS6detail17trampoline_kernelINS0_14default_configENS1_25partition_config_selectorILNS1_17partition_subalgoE5EiNS0_10empty_typeEbEEZZNS1_14partition_implILS5_5ELb0ES3_mPiPS6_N6thrust23THRUST_200600_302600_NS18transform_iteratorINSC_6detail9not_fun_tIN6dUtils10isMinusOneIiEEEES9_NSC_11use_defaultESK_EENS0_5tupleIJS9_S6_EEENSM_IJSA_SA_EEES6_PlJS6_EEE10hipError_tPvRmT3_T4_T5_T6_T7_T9_mT8_P12ihipStream_tbDpT10_ENKUlT_T0_E_clISt17integral_constantIbLb0EES18_IbLb1EEEEDaS14_S15_EUlS14_E_NS1_11comp_targetILNS1_3genE8ELNS1_11target_archE1030ELNS1_3gpuE2ELNS1_3repE0EEENS1_30default_config_static_selectorELNS0_4arch9wavefront6targetE1EEEvT1_ ; -- Begin function _ZN7rocprim17ROCPRIM_400000_NS6detail17trampoline_kernelINS0_14default_configENS1_25partition_config_selectorILNS1_17partition_subalgoE5EiNS0_10empty_typeEbEEZZNS1_14partition_implILS5_5ELb0ES3_mPiPS6_N6thrust23THRUST_200600_302600_NS18transform_iteratorINSC_6detail9not_fun_tIN6dUtils10isMinusOneIiEEEES9_NSC_11use_defaultESK_EENS0_5tupleIJS9_S6_EEENSM_IJSA_SA_EEES6_PlJS6_EEE10hipError_tPvRmT3_T4_T5_T6_T7_T9_mT8_P12ihipStream_tbDpT10_ENKUlT_T0_E_clISt17integral_constantIbLb0EES18_IbLb1EEEEDaS14_S15_EUlS14_E_NS1_11comp_targetILNS1_3genE8ELNS1_11target_archE1030ELNS1_3gpuE2ELNS1_3repE0EEENS1_30default_config_static_selectorELNS0_4arch9wavefront6targetE1EEEvT1_
	.globl	_ZN7rocprim17ROCPRIM_400000_NS6detail17trampoline_kernelINS0_14default_configENS1_25partition_config_selectorILNS1_17partition_subalgoE5EiNS0_10empty_typeEbEEZZNS1_14partition_implILS5_5ELb0ES3_mPiPS6_N6thrust23THRUST_200600_302600_NS18transform_iteratorINSC_6detail9not_fun_tIN6dUtils10isMinusOneIiEEEES9_NSC_11use_defaultESK_EENS0_5tupleIJS9_S6_EEENSM_IJSA_SA_EEES6_PlJS6_EEE10hipError_tPvRmT3_T4_T5_T6_T7_T9_mT8_P12ihipStream_tbDpT10_ENKUlT_T0_E_clISt17integral_constantIbLb0EES18_IbLb1EEEEDaS14_S15_EUlS14_E_NS1_11comp_targetILNS1_3genE8ELNS1_11target_archE1030ELNS1_3gpuE2ELNS1_3repE0EEENS1_30default_config_static_selectorELNS0_4arch9wavefront6targetE1EEEvT1_
	.p2align	8
	.type	_ZN7rocprim17ROCPRIM_400000_NS6detail17trampoline_kernelINS0_14default_configENS1_25partition_config_selectorILNS1_17partition_subalgoE5EiNS0_10empty_typeEbEEZZNS1_14partition_implILS5_5ELb0ES3_mPiPS6_N6thrust23THRUST_200600_302600_NS18transform_iteratorINSC_6detail9not_fun_tIN6dUtils10isMinusOneIiEEEES9_NSC_11use_defaultESK_EENS0_5tupleIJS9_S6_EEENSM_IJSA_SA_EEES6_PlJS6_EEE10hipError_tPvRmT3_T4_T5_T6_T7_T9_mT8_P12ihipStream_tbDpT10_ENKUlT_T0_E_clISt17integral_constantIbLb0EES18_IbLb1EEEEDaS14_S15_EUlS14_E_NS1_11comp_targetILNS1_3genE8ELNS1_11target_archE1030ELNS1_3gpuE2ELNS1_3repE0EEENS1_30default_config_static_selectorELNS0_4arch9wavefront6targetE1EEEvT1_,@function
_ZN7rocprim17ROCPRIM_400000_NS6detail17trampoline_kernelINS0_14default_configENS1_25partition_config_selectorILNS1_17partition_subalgoE5EiNS0_10empty_typeEbEEZZNS1_14partition_implILS5_5ELb0ES3_mPiPS6_N6thrust23THRUST_200600_302600_NS18transform_iteratorINSC_6detail9not_fun_tIN6dUtils10isMinusOneIiEEEES9_NSC_11use_defaultESK_EENS0_5tupleIJS9_S6_EEENSM_IJSA_SA_EEES6_PlJS6_EEE10hipError_tPvRmT3_T4_T5_T6_T7_T9_mT8_P12ihipStream_tbDpT10_ENKUlT_T0_E_clISt17integral_constantIbLb0EES18_IbLb1EEEEDaS14_S15_EUlS14_E_NS1_11comp_targetILNS1_3genE8ELNS1_11target_archE1030ELNS1_3gpuE2ELNS1_3repE0EEENS1_30default_config_static_selectorELNS0_4arch9wavefront6targetE1EEEvT1_: ; @_ZN7rocprim17ROCPRIM_400000_NS6detail17trampoline_kernelINS0_14default_configENS1_25partition_config_selectorILNS1_17partition_subalgoE5EiNS0_10empty_typeEbEEZZNS1_14partition_implILS5_5ELb0ES3_mPiPS6_N6thrust23THRUST_200600_302600_NS18transform_iteratorINSC_6detail9not_fun_tIN6dUtils10isMinusOneIiEEEES9_NSC_11use_defaultESK_EENS0_5tupleIJS9_S6_EEENSM_IJSA_SA_EEES6_PlJS6_EEE10hipError_tPvRmT3_T4_T5_T6_T7_T9_mT8_P12ihipStream_tbDpT10_ENKUlT_T0_E_clISt17integral_constantIbLb0EES18_IbLb1EEEEDaS14_S15_EUlS14_E_NS1_11comp_targetILNS1_3genE8ELNS1_11target_archE1030ELNS1_3gpuE2ELNS1_3repE0EEENS1_30default_config_static_selectorELNS0_4arch9wavefront6targetE1EEEvT1_
; %bb.0:
	.section	.rodata,"a",@progbits
	.p2align	6, 0x0
	.amdhsa_kernel _ZN7rocprim17ROCPRIM_400000_NS6detail17trampoline_kernelINS0_14default_configENS1_25partition_config_selectorILNS1_17partition_subalgoE5EiNS0_10empty_typeEbEEZZNS1_14partition_implILS5_5ELb0ES3_mPiPS6_N6thrust23THRUST_200600_302600_NS18transform_iteratorINSC_6detail9not_fun_tIN6dUtils10isMinusOneIiEEEES9_NSC_11use_defaultESK_EENS0_5tupleIJS9_S6_EEENSM_IJSA_SA_EEES6_PlJS6_EEE10hipError_tPvRmT3_T4_T5_T6_T7_T9_mT8_P12ihipStream_tbDpT10_ENKUlT_T0_E_clISt17integral_constantIbLb0EES18_IbLb1EEEEDaS14_S15_EUlS14_E_NS1_11comp_targetILNS1_3genE8ELNS1_11target_archE1030ELNS1_3gpuE2ELNS1_3repE0EEENS1_30default_config_static_selectorELNS0_4arch9wavefront6targetE1EEEvT1_
		.amdhsa_group_segment_fixed_size 0
		.amdhsa_private_segment_fixed_size 0
		.amdhsa_kernarg_size 136
		.amdhsa_user_sgpr_count 6
		.amdhsa_user_sgpr_private_segment_buffer 1
		.amdhsa_user_sgpr_dispatch_ptr 0
		.amdhsa_user_sgpr_queue_ptr 0
		.amdhsa_user_sgpr_kernarg_segment_ptr 1
		.amdhsa_user_sgpr_dispatch_id 0
		.amdhsa_user_sgpr_flat_scratch_init 0
		.amdhsa_user_sgpr_kernarg_preload_length 0
		.amdhsa_user_sgpr_kernarg_preload_offset 0
		.amdhsa_user_sgpr_private_segment_size 0
		.amdhsa_uses_dynamic_stack 0
		.amdhsa_system_sgpr_private_segment_wavefront_offset 0
		.amdhsa_system_sgpr_workgroup_id_x 1
		.amdhsa_system_sgpr_workgroup_id_y 0
		.amdhsa_system_sgpr_workgroup_id_z 0
		.amdhsa_system_sgpr_workgroup_info 0
		.amdhsa_system_vgpr_workitem_id 0
		.amdhsa_next_free_vgpr 1
		.amdhsa_next_free_sgpr 0
		.amdhsa_accum_offset 4
		.amdhsa_reserve_vcc 0
		.amdhsa_reserve_flat_scratch 0
		.amdhsa_float_round_mode_32 0
		.amdhsa_float_round_mode_16_64 0
		.amdhsa_float_denorm_mode_32 3
		.amdhsa_float_denorm_mode_16_64 3
		.amdhsa_dx10_clamp 1
		.amdhsa_ieee_mode 1
		.amdhsa_fp16_overflow 0
		.amdhsa_tg_split 0
		.amdhsa_exception_fp_ieee_invalid_op 0
		.amdhsa_exception_fp_denorm_src 0
		.amdhsa_exception_fp_ieee_div_zero 0
		.amdhsa_exception_fp_ieee_overflow 0
		.amdhsa_exception_fp_ieee_underflow 0
		.amdhsa_exception_fp_ieee_inexact 0
		.amdhsa_exception_int_div_zero 0
	.end_amdhsa_kernel
	.section	.text._ZN7rocprim17ROCPRIM_400000_NS6detail17trampoline_kernelINS0_14default_configENS1_25partition_config_selectorILNS1_17partition_subalgoE5EiNS0_10empty_typeEbEEZZNS1_14partition_implILS5_5ELb0ES3_mPiPS6_N6thrust23THRUST_200600_302600_NS18transform_iteratorINSC_6detail9not_fun_tIN6dUtils10isMinusOneIiEEEES9_NSC_11use_defaultESK_EENS0_5tupleIJS9_S6_EEENSM_IJSA_SA_EEES6_PlJS6_EEE10hipError_tPvRmT3_T4_T5_T6_T7_T9_mT8_P12ihipStream_tbDpT10_ENKUlT_T0_E_clISt17integral_constantIbLb0EES18_IbLb1EEEEDaS14_S15_EUlS14_E_NS1_11comp_targetILNS1_3genE8ELNS1_11target_archE1030ELNS1_3gpuE2ELNS1_3repE0EEENS1_30default_config_static_selectorELNS0_4arch9wavefront6targetE1EEEvT1_,"axG",@progbits,_ZN7rocprim17ROCPRIM_400000_NS6detail17trampoline_kernelINS0_14default_configENS1_25partition_config_selectorILNS1_17partition_subalgoE5EiNS0_10empty_typeEbEEZZNS1_14partition_implILS5_5ELb0ES3_mPiPS6_N6thrust23THRUST_200600_302600_NS18transform_iteratorINSC_6detail9not_fun_tIN6dUtils10isMinusOneIiEEEES9_NSC_11use_defaultESK_EENS0_5tupleIJS9_S6_EEENSM_IJSA_SA_EEES6_PlJS6_EEE10hipError_tPvRmT3_T4_T5_T6_T7_T9_mT8_P12ihipStream_tbDpT10_ENKUlT_T0_E_clISt17integral_constantIbLb0EES18_IbLb1EEEEDaS14_S15_EUlS14_E_NS1_11comp_targetILNS1_3genE8ELNS1_11target_archE1030ELNS1_3gpuE2ELNS1_3repE0EEENS1_30default_config_static_selectorELNS0_4arch9wavefront6targetE1EEEvT1_,comdat
.Lfunc_end250:
	.size	_ZN7rocprim17ROCPRIM_400000_NS6detail17trampoline_kernelINS0_14default_configENS1_25partition_config_selectorILNS1_17partition_subalgoE5EiNS0_10empty_typeEbEEZZNS1_14partition_implILS5_5ELb0ES3_mPiPS6_N6thrust23THRUST_200600_302600_NS18transform_iteratorINSC_6detail9not_fun_tIN6dUtils10isMinusOneIiEEEES9_NSC_11use_defaultESK_EENS0_5tupleIJS9_S6_EEENSM_IJSA_SA_EEES6_PlJS6_EEE10hipError_tPvRmT3_T4_T5_T6_T7_T9_mT8_P12ihipStream_tbDpT10_ENKUlT_T0_E_clISt17integral_constantIbLb0EES18_IbLb1EEEEDaS14_S15_EUlS14_E_NS1_11comp_targetILNS1_3genE8ELNS1_11target_archE1030ELNS1_3gpuE2ELNS1_3repE0EEENS1_30default_config_static_selectorELNS0_4arch9wavefront6targetE1EEEvT1_, .Lfunc_end250-_ZN7rocprim17ROCPRIM_400000_NS6detail17trampoline_kernelINS0_14default_configENS1_25partition_config_selectorILNS1_17partition_subalgoE5EiNS0_10empty_typeEbEEZZNS1_14partition_implILS5_5ELb0ES3_mPiPS6_N6thrust23THRUST_200600_302600_NS18transform_iteratorINSC_6detail9not_fun_tIN6dUtils10isMinusOneIiEEEES9_NSC_11use_defaultESK_EENS0_5tupleIJS9_S6_EEENSM_IJSA_SA_EEES6_PlJS6_EEE10hipError_tPvRmT3_T4_T5_T6_T7_T9_mT8_P12ihipStream_tbDpT10_ENKUlT_T0_E_clISt17integral_constantIbLb0EES18_IbLb1EEEEDaS14_S15_EUlS14_E_NS1_11comp_targetILNS1_3genE8ELNS1_11target_archE1030ELNS1_3gpuE2ELNS1_3repE0EEENS1_30default_config_static_selectorELNS0_4arch9wavefront6targetE1EEEvT1_
                                        ; -- End function
	.section	.AMDGPU.csdata,"",@progbits
; Kernel info:
; codeLenInByte = 0
; NumSgprs: 4
; NumVgprs: 0
; NumAgprs: 0
; TotalNumVgprs: 0
; ScratchSize: 0
; MemoryBound: 0
; FloatMode: 240
; IeeeMode: 1
; LDSByteSize: 0 bytes/workgroup (compile time only)
; SGPRBlocks: 0
; VGPRBlocks: 0
; NumSGPRsForWavesPerEU: 4
; NumVGPRsForWavesPerEU: 1
; AccumOffset: 4
; Occupancy: 8
; WaveLimiterHint : 0
; COMPUTE_PGM_RSRC2:SCRATCH_EN: 0
; COMPUTE_PGM_RSRC2:USER_SGPR: 6
; COMPUTE_PGM_RSRC2:TRAP_HANDLER: 0
; COMPUTE_PGM_RSRC2:TGID_X_EN: 1
; COMPUTE_PGM_RSRC2:TGID_Y_EN: 0
; COMPUTE_PGM_RSRC2:TGID_Z_EN: 0
; COMPUTE_PGM_RSRC2:TIDIG_COMP_CNT: 0
; COMPUTE_PGM_RSRC3_GFX90A:ACCUM_OFFSET: 0
; COMPUTE_PGM_RSRC3_GFX90A:TG_SPLIT: 0
	.section	.text._ZN7rocprim17ROCPRIM_400000_NS6detail17trampoline_kernelINS0_14default_configENS1_25partition_config_selectorILNS1_17partition_subalgoE6EiNS0_10empty_typeEbEEZZNS1_14partition_implILS5_6ELb0ES3_mPiPS6_SA_NS0_5tupleIJS9_S6_EEENSB_IJSA_SA_EEES6_PlJN6thrust23THRUST_200600_302600_NS6detail9not_fun_tINSH_10functional5actorINSJ_9compositeIJNSJ_27transparent_binary_operatorINSG_8equal_toIvEEEENSK_INSJ_8argumentILj0EEEEENSJ_5valueIiEEEEEEEEEEEE10hipError_tPvRmT3_T4_T5_T6_T7_T9_mT8_P12ihipStream_tbDpT10_ENKUlT_T0_E_clISt17integral_constantIbLb0EES1H_EEDaS1C_S1D_EUlS1C_E_NS1_11comp_targetILNS1_3genE0ELNS1_11target_archE4294967295ELNS1_3gpuE0ELNS1_3repE0EEENS1_30default_config_static_selectorELNS0_4arch9wavefront6targetE1EEEvT1_,"axG",@progbits,_ZN7rocprim17ROCPRIM_400000_NS6detail17trampoline_kernelINS0_14default_configENS1_25partition_config_selectorILNS1_17partition_subalgoE6EiNS0_10empty_typeEbEEZZNS1_14partition_implILS5_6ELb0ES3_mPiPS6_SA_NS0_5tupleIJS9_S6_EEENSB_IJSA_SA_EEES6_PlJN6thrust23THRUST_200600_302600_NS6detail9not_fun_tINSH_10functional5actorINSJ_9compositeIJNSJ_27transparent_binary_operatorINSG_8equal_toIvEEEENSK_INSJ_8argumentILj0EEEEENSJ_5valueIiEEEEEEEEEEEE10hipError_tPvRmT3_T4_T5_T6_T7_T9_mT8_P12ihipStream_tbDpT10_ENKUlT_T0_E_clISt17integral_constantIbLb0EES1H_EEDaS1C_S1D_EUlS1C_E_NS1_11comp_targetILNS1_3genE0ELNS1_11target_archE4294967295ELNS1_3gpuE0ELNS1_3repE0EEENS1_30default_config_static_selectorELNS0_4arch9wavefront6targetE1EEEvT1_,comdat
	.protected	_ZN7rocprim17ROCPRIM_400000_NS6detail17trampoline_kernelINS0_14default_configENS1_25partition_config_selectorILNS1_17partition_subalgoE6EiNS0_10empty_typeEbEEZZNS1_14partition_implILS5_6ELb0ES3_mPiPS6_SA_NS0_5tupleIJS9_S6_EEENSB_IJSA_SA_EEES6_PlJN6thrust23THRUST_200600_302600_NS6detail9not_fun_tINSH_10functional5actorINSJ_9compositeIJNSJ_27transparent_binary_operatorINSG_8equal_toIvEEEENSK_INSJ_8argumentILj0EEEEENSJ_5valueIiEEEEEEEEEEEE10hipError_tPvRmT3_T4_T5_T6_T7_T9_mT8_P12ihipStream_tbDpT10_ENKUlT_T0_E_clISt17integral_constantIbLb0EES1H_EEDaS1C_S1D_EUlS1C_E_NS1_11comp_targetILNS1_3genE0ELNS1_11target_archE4294967295ELNS1_3gpuE0ELNS1_3repE0EEENS1_30default_config_static_selectorELNS0_4arch9wavefront6targetE1EEEvT1_ ; -- Begin function _ZN7rocprim17ROCPRIM_400000_NS6detail17trampoline_kernelINS0_14default_configENS1_25partition_config_selectorILNS1_17partition_subalgoE6EiNS0_10empty_typeEbEEZZNS1_14partition_implILS5_6ELb0ES3_mPiPS6_SA_NS0_5tupleIJS9_S6_EEENSB_IJSA_SA_EEES6_PlJN6thrust23THRUST_200600_302600_NS6detail9not_fun_tINSH_10functional5actorINSJ_9compositeIJNSJ_27transparent_binary_operatorINSG_8equal_toIvEEEENSK_INSJ_8argumentILj0EEEEENSJ_5valueIiEEEEEEEEEEEE10hipError_tPvRmT3_T4_T5_T6_T7_T9_mT8_P12ihipStream_tbDpT10_ENKUlT_T0_E_clISt17integral_constantIbLb0EES1H_EEDaS1C_S1D_EUlS1C_E_NS1_11comp_targetILNS1_3genE0ELNS1_11target_archE4294967295ELNS1_3gpuE0ELNS1_3repE0EEENS1_30default_config_static_selectorELNS0_4arch9wavefront6targetE1EEEvT1_
	.globl	_ZN7rocprim17ROCPRIM_400000_NS6detail17trampoline_kernelINS0_14default_configENS1_25partition_config_selectorILNS1_17partition_subalgoE6EiNS0_10empty_typeEbEEZZNS1_14partition_implILS5_6ELb0ES3_mPiPS6_SA_NS0_5tupleIJS9_S6_EEENSB_IJSA_SA_EEES6_PlJN6thrust23THRUST_200600_302600_NS6detail9not_fun_tINSH_10functional5actorINSJ_9compositeIJNSJ_27transparent_binary_operatorINSG_8equal_toIvEEEENSK_INSJ_8argumentILj0EEEEENSJ_5valueIiEEEEEEEEEEEE10hipError_tPvRmT3_T4_T5_T6_T7_T9_mT8_P12ihipStream_tbDpT10_ENKUlT_T0_E_clISt17integral_constantIbLb0EES1H_EEDaS1C_S1D_EUlS1C_E_NS1_11comp_targetILNS1_3genE0ELNS1_11target_archE4294967295ELNS1_3gpuE0ELNS1_3repE0EEENS1_30default_config_static_selectorELNS0_4arch9wavefront6targetE1EEEvT1_
	.p2align	8
	.type	_ZN7rocprim17ROCPRIM_400000_NS6detail17trampoline_kernelINS0_14default_configENS1_25partition_config_selectorILNS1_17partition_subalgoE6EiNS0_10empty_typeEbEEZZNS1_14partition_implILS5_6ELb0ES3_mPiPS6_SA_NS0_5tupleIJS9_S6_EEENSB_IJSA_SA_EEES6_PlJN6thrust23THRUST_200600_302600_NS6detail9not_fun_tINSH_10functional5actorINSJ_9compositeIJNSJ_27transparent_binary_operatorINSG_8equal_toIvEEEENSK_INSJ_8argumentILj0EEEEENSJ_5valueIiEEEEEEEEEEEE10hipError_tPvRmT3_T4_T5_T6_T7_T9_mT8_P12ihipStream_tbDpT10_ENKUlT_T0_E_clISt17integral_constantIbLb0EES1H_EEDaS1C_S1D_EUlS1C_E_NS1_11comp_targetILNS1_3genE0ELNS1_11target_archE4294967295ELNS1_3gpuE0ELNS1_3repE0EEENS1_30default_config_static_selectorELNS0_4arch9wavefront6targetE1EEEvT1_,@function
_ZN7rocprim17ROCPRIM_400000_NS6detail17trampoline_kernelINS0_14default_configENS1_25partition_config_selectorILNS1_17partition_subalgoE6EiNS0_10empty_typeEbEEZZNS1_14partition_implILS5_6ELb0ES3_mPiPS6_SA_NS0_5tupleIJS9_S6_EEENSB_IJSA_SA_EEES6_PlJN6thrust23THRUST_200600_302600_NS6detail9not_fun_tINSH_10functional5actorINSJ_9compositeIJNSJ_27transparent_binary_operatorINSG_8equal_toIvEEEENSK_INSJ_8argumentILj0EEEEENSJ_5valueIiEEEEEEEEEEEE10hipError_tPvRmT3_T4_T5_T6_T7_T9_mT8_P12ihipStream_tbDpT10_ENKUlT_T0_E_clISt17integral_constantIbLb0EES1H_EEDaS1C_S1D_EUlS1C_E_NS1_11comp_targetILNS1_3genE0ELNS1_11target_archE4294967295ELNS1_3gpuE0ELNS1_3repE0EEENS1_30default_config_static_selectorELNS0_4arch9wavefront6targetE1EEEvT1_: ; @_ZN7rocprim17ROCPRIM_400000_NS6detail17trampoline_kernelINS0_14default_configENS1_25partition_config_selectorILNS1_17partition_subalgoE6EiNS0_10empty_typeEbEEZZNS1_14partition_implILS5_6ELb0ES3_mPiPS6_SA_NS0_5tupleIJS9_S6_EEENSB_IJSA_SA_EEES6_PlJN6thrust23THRUST_200600_302600_NS6detail9not_fun_tINSH_10functional5actorINSJ_9compositeIJNSJ_27transparent_binary_operatorINSG_8equal_toIvEEEENSK_INSJ_8argumentILj0EEEEENSJ_5valueIiEEEEEEEEEEEE10hipError_tPvRmT3_T4_T5_T6_T7_T9_mT8_P12ihipStream_tbDpT10_ENKUlT_T0_E_clISt17integral_constantIbLb0EES1H_EEDaS1C_S1D_EUlS1C_E_NS1_11comp_targetILNS1_3genE0ELNS1_11target_archE4294967295ELNS1_3gpuE0ELNS1_3repE0EEENS1_30default_config_static_selectorELNS0_4arch9wavefront6targetE1EEEvT1_
; %bb.0:
	.section	.rodata,"a",@progbits
	.p2align	6, 0x0
	.amdhsa_kernel _ZN7rocprim17ROCPRIM_400000_NS6detail17trampoline_kernelINS0_14default_configENS1_25partition_config_selectorILNS1_17partition_subalgoE6EiNS0_10empty_typeEbEEZZNS1_14partition_implILS5_6ELb0ES3_mPiPS6_SA_NS0_5tupleIJS9_S6_EEENSB_IJSA_SA_EEES6_PlJN6thrust23THRUST_200600_302600_NS6detail9not_fun_tINSH_10functional5actorINSJ_9compositeIJNSJ_27transparent_binary_operatorINSG_8equal_toIvEEEENSK_INSJ_8argumentILj0EEEEENSJ_5valueIiEEEEEEEEEEEE10hipError_tPvRmT3_T4_T5_T6_T7_T9_mT8_P12ihipStream_tbDpT10_ENKUlT_T0_E_clISt17integral_constantIbLb0EES1H_EEDaS1C_S1D_EUlS1C_E_NS1_11comp_targetILNS1_3genE0ELNS1_11target_archE4294967295ELNS1_3gpuE0ELNS1_3repE0EEENS1_30default_config_static_selectorELNS0_4arch9wavefront6targetE1EEEvT1_
		.amdhsa_group_segment_fixed_size 0
		.amdhsa_private_segment_fixed_size 0
		.amdhsa_kernarg_size 120
		.amdhsa_user_sgpr_count 6
		.amdhsa_user_sgpr_private_segment_buffer 1
		.amdhsa_user_sgpr_dispatch_ptr 0
		.amdhsa_user_sgpr_queue_ptr 0
		.amdhsa_user_sgpr_kernarg_segment_ptr 1
		.amdhsa_user_sgpr_dispatch_id 0
		.amdhsa_user_sgpr_flat_scratch_init 0
		.amdhsa_user_sgpr_kernarg_preload_length 0
		.amdhsa_user_sgpr_kernarg_preload_offset 0
		.amdhsa_user_sgpr_private_segment_size 0
		.amdhsa_uses_dynamic_stack 0
		.amdhsa_system_sgpr_private_segment_wavefront_offset 0
		.amdhsa_system_sgpr_workgroup_id_x 1
		.amdhsa_system_sgpr_workgroup_id_y 0
		.amdhsa_system_sgpr_workgroup_id_z 0
		.amdhsa_system_sgpr_workgroup_info 0
		.amdhsa_system_vgpr_workitem_id 0
		.amdhsa_next_free_vgpr 1
		.amdhsa_next_free_sgpr 0
		.amdhsa_accum_offset 4
		.amdhsa_reserve_vcc 0
		.amdhsa_reserve_flat_scratch 0
		.amdhsa_float_round_mode_32 0
		.amdhsa_float_round_mode_16_64 0
		.amdhsa_float_denorm_mode_32 3
		.amdhsa_float_denorm_mode_16_64 3
		.amdhsa_dx10_clamp 1
		.amdhsa_ieee_mode 1
		.amdhsa_fp16_overflow 0
		.amdhsa_tg_split 0
		.amdhsa_exception_fp_ieee_invalid_op 0
		.amdhsa_exception_fp_denorm_src 0
		.amdhsa_exception_fp_ieee_div_zero 0
		.amdhsa_exception_fp_ieee_overflow 0
		.amdhsa_exception_fp_ieee_underflow 0
		.amdhsa_exception_fp_ieee_inexact 0
		.amdhsa_exception_int_div_zero 0
	.end_amdhsa_kernel
	.section	.text._ZN7rocprim17ROCPRIM_400000_NS6detail17trampoline_kernelINS0_14default_configENS1_25partition_config_selectorILNS1_17partition_subalgoE6EiNS0_10empty_typeEbEEZZNS1_14partition_implILS5_6ELb0ES3_mPiPS6_SA_NS0_5tupleIJS9_S6_EEENSB_IJSA_SA_EEES6_PlJN6thrust23THRUST_200600_302600_NS6detail9not_fun_tINSH_10functional5actorINSJ_9compositeIJNSJ_27transparent_binary_operatorINSG_8equal_toIvEEEENSK_INSJ_8argumentILj0EEEEENSJ_5valueIiEEEEEEEEEEEE10hipError_tPvRmT3_T4_T5_T6_T7_T9_mT8_P12ihipStream_tbDpT10_ENKUlT_T0_E_clISt17integral_constantIbLb0EES1H_EEDaS1C_S1D_EUlS1C_E_NS1_11comp_targetILNS1_3genE0ELNS1_11target_archE4294967295ELNS1_3gpuE0ELNS1_3repE0EEENS1_30default_config_static_selectorELNS0_4arch9wavefront6targetE1EEEvT1_,"axG",@progbits,_ZN7rocprim17ROCPRIM_400000_NS6detail17trampoline_kernelINS0_14default_configENS1_25partition_config_selectorILNS1_17partition_subalgoE6EiNS0_10empty_typeEbEEZZNS1_14partition_implILS5_6ELb0ES3_mPiPS6_SA_NS0_5tupleIJS9_S6_EEENSB_IJSA_SA_EEES6_PlJN6thrust23THRUST_200600_302600_NS6detail9not_fun_tINSH_10functional5actorINSJ_9compositeIJNSJ_27transparent_binary_operatorINSG_8equal_toIvEEEENSK_INSJ_8argumentILj0EEEEENSJ_5valueIiEEEEEEEEEEEE10hipError_tPvRmT3_T4_T5_T6_T7_T9_mT8_P12ihipStream_tbDpT10_ENKUlT_T0_E_clISt17integral_constantIbLb0EES1H_EEDaS1C_S1D_EUlS1C_E_NS1_11comp_targetILNS1_3genE0ELNS1_11target_archE4294967295ELNS1_3gpuE0ELNS1_3repE0EEENS1_30default_config_static_selectorELNS0_4arch9wavefront6targetE1EEEvT1_,comdat
.Lfunc_end251:
	.size	_ZN7rocprim17ROCPRIM_400000_NS6detail17trampoline_kernelINS0_14default_configENS1_25partition_config_selectorILNS1_17partition_subalgoE6EiNS0_10empty_typeEbEEZZNS1_14partition_implILS5_6ELb0ES3_mPiPS6_SA_NS0_5tupleIJS9_S6_EEENSB_IJSA_SA_EEES6_PlJN6thrust23THRUST_200600_302600_NS6detail9not_fun_tINSH_10functional5actorINSJ_9compositeIJNSJ_27transparent_binary_operatorINSG_8equal_toIvEEEENSK_INSJ_8argumentILj0EEEEENSJ_5valueIiEEEEEEEEEEEE10hipError_tPvRmT3_T4_T5_T6_T7_T9_mT8_P12ihipStream_tbDpT10_ENKUlT_T0_E_clISt17integral_constantIbLb0EES1H_EEDaS1C_S1D_EUlS1C_E_NS1_11comp_targetILNS1_3genE0ELNS1_11target_archE4294967295ELNS1_3gpuE0ELNS1_3repE0EEENS1_30default_config_static_selectorELNS0_4arch9wavefront6targetE1EEEvT1_, .Lfunc_end251-_ZN7rocprim17ROCPRIM_400000_NS6detail17trampoline_kernelINS0_14default_configENS1_25partition_config_selectorILNS1_17partition_subalgoE6EiNS0_10empty_typeEbEEZZNS1_14partition_implILS5_6ELb0ES3_mPiPS6_SA_NS0_5tupleIJS9_S6_EEENSB_IJSA_SA_EEES6_PlJN6thrust23THRUST_200600_302600_NS6detail9not_fun_tINSH_10functional5actorINSJ_9compositeIJNSJ_27transparent_binary_operatorINSG_8equal_toIvEEEENSK_INSJ_8argumentILj0EEEEENSJ_5valueIiEEEEEEEEEEEE10hipError_tPvRmT3_T4_T5_T6_T7_T9_mT8_P12ihipStream_tbDpT10_ENKUlT_T0_E_clISt17integral_constantIbLb0EES1H_EEDaS1C_S1D_EUlS1C_E_NS1_11comp_targetILNS1_3genE0ELNS1_11target_archE4294967295ELNS1_3gpuE0ELNS1_3repE0EEENS1_30default_config_static_selectorELNS0_4arch9wavefront6targetE1EEEvT1_
                                        ; -- End function
	.section	.AMDGPU.csdata,"",@progbits
; Kernel info:
; codeLenInByte = 0
; NumSgprs: 4
; NumVgprs: 0
; NumAgprs: 0
; TotalNumVgprs: 0
; ScratchSize: 0
; MemoryBound: 0
; FloatMode: 240
; IeeeMode: 1
; LDSByteSize: 0 bytes/workgroup (compile time only)
; SGPRBlocks: 0
; VGPRBlocks: 0
; NumSGPRsForWavesPerEU: 4
; NumVGPRsForWavesPerEU: 1
; AccumOffset: 4
; Occupancy: 8
; WaveLimiterHint : 0
; COMPUTE_PGM_RSRC2:SCRATCH_EN: 0
; COMPUTE_PGM_RSRC2:USER_SGPR: 6
; COMPUTE_PGM_RSRC2:TRAP_HANDLER: 0
; COMPUTE_PGM_RSRC2:TGID_X_EN: 1
; COMPUTE_PGM_RSRC2:TGID_Y_EN: 0
; COMPUTE_PGM_RSRC2:TGID_Z_EN: 0
; COMPUTE_PGM_RSRC2:TIDIG_COMP_CNT: 0
; COMPUTE_PGM_RSRC3_GFX90A:ACCUM_OFFSET: 0
; COMPUTE_PGM_RSRC3_GFX90A:TG_SPLIT: 0
	.section	.text._ZN7rocprim17ROCPRIM_400000_NS6detail17trampoline_kernelINS0_14default_configENS1_25partition_config_selectorILNS1_17partition_subalgoE6EiNS0_10empty_typeEbEEZZNS1_14partition_implILS5_6ELb0ES3_mPiPS6_SA_NS0_5tupleIJS9_S6_EEENSB_IJSA_SA_EEES6_PlJN6thrust23THRUST_200600_302600_NS6detail9not_fun_tINSH_10functional5actorINSJ_9compositeIJNSJ_27transparent_binary_operatorINSG_8equal_toIvEEEENSK_INSJ_8argumentILj0EEEEENSJ_5valueIiEEEEEEEEEEEE10hipError_tPvRmT3_T4_T5_T6_T7_T9_mT8_P12ihipStream_tbDpT10_ENKUlT_T0_E_clISt17integral_constantIbLb0EES1H_EEDaS1C_S1D_EUlS1C_E_NS1_11comp_targetILNS1_3genE5ELNS1_11target_archE942ELNS1_3gpuE9ELNS1_3repE0EEENS1_30default_config_static_selectorELNS0_4arch9wavefront6targetE1EEEvT1_,"axG",@progbits,_ZN7rocprim17ROCPRIM_400000_NS6detail17trampoline_kernelINS0_14default_configENS1_25partition_config_selectorILNS1_17partition_subalgoE6EiNS0_10empty_typeEbEEZZNS1_14partition_implILS5_6ELb0ES3_mPiPS6_SA_NS0_5tupleIJS9_S6_EEENSB_IJSA_SA_EEES6_PlJN6thrust23THRUST_200600_302600_NS6detail9not_fun_tINSH_10functional5actorINSJ_9compositeIJNSJ_27transparent_binary_operatorINSG_8equal_toIvEEEENSK_INSJ_8argumentILj0EEEEENSJ_5valueIiEEEEEEEEEEEE10hipError_tPvRmT3_T4_T5_T6_T7_T9_mT8_P12ihipStream_tbDpT10_ENKUlT_T0_E_clISt17integral_constantIbLb0EES1H_EEDaS1C_S1D_EUlS1C_E_NS1_11comp_targetILNS1_3genE5ELNS1_11target_archE942ELNS1_3gpuE9ELNS1_3repE0EEENS1_30default_config_static_selectorELNS0_4arch9wavefront6targetE1EEEvT1_,comdat
	.protected	_ZN7rocprim17ROCPRIM_400000_NS6detail17trampoline_kernelINS0_14default_configENS1_25partition_config_selectorILNS1_17partition_subalgoE6EiNS0_10empty_typeEbEEZZNS1_14partition_implILS5_6ELb0ES3_mPiPS6_SA_NS0_5tupleIJS9_S6_EEENSB_IJSA_SA_EEES6_PlJN6thrust23THRUST_200600_302600_NS6detail9not_fun_tINSH_10functional5actorINSJ_9compositeIJNSJ_27transparent_binary_operatorINSG_8equal_toIvEEEENSK_INSJ_8argumentILj0EEEEENSJ_5valueIiEEEEEEEEEEEE10hipError_tPvRmT3_T4_T5_T6_T7_T9_mT8_P12ihipStream_tbDpT10_ENKUlT_T0_E_clISt17integral_constantIbLb0EES1H_EEDaS1C_S1D_EUlS1C_E_NS1_11comp_targetILNS1_3genE5ELNS1_11target_archE942ELNS1_3gpuE9ELNS1_3repE0EEENS1_30default_config_static_selectorELNS0_4arch9wavefront6targetE1EEEvT1_ ; -- Begin function _ZN7rocprim17ROCPRIM_400000_NS6detail17trampoline_kernelINS0_14default_configENS1_25partition_config_selectorILNS1_17partition_subalgoE6EiNS0_10empty_typeEbEEZZNS1_14partition_implILS5_6ELb0ES3_mPiPS6_SA_NS0_5tupleIJS9_S6_EEENSB_IJSA_SA_EEES6_PlJN6thrust23THRUST_200600_302600_NS6detail9not_fun_tINSH_10functional5actorINSJ_9compositeIJNSJ_27transparent_binary_operatorINSG_8equal_toIvEEEENSK_INSJ_8argumentILj0EEEEENSJ_5valueIiEEEEEEEEEEEE10hipError_tPvRmT3_T4_T5_T6_T7_T9_mT8_P12ihipStream_tbDpT10_ENKUlT_T0_E_clISt17integral_constantIbLb0EES1H_EEDaS1C_S1D_EUlS1C_E_NS1_11comp_targetILNS1_3genE5ELNS1_11target_archE942ELNS1_3gpuE9ELNS1_3repE0EEENS1_30default_config_static_selectorELNS0_4arch9wavefront6targetE1EEEvT1_
	.globl	_ZN7rocprim17ROCPRIM_400000_NS6detail17trampoline_kernelINS0_14default_configENS1_25partition_config_selectorILNS1_17partition_subalgoE6EiNS0_10empty_typeEbEEZZNS1_14partition_implILS5_6ELb0ES3_mPiPS6_SA_NS0_5tupleIJS9_S6_EEENSB_IJSA_SA_EEES6_PlJN6thrust23THRUST_200600_302600_NS6detail9not_fun_tINSH_10functional5actorINSJ_9compositeIJNSJ_27transparent_binary_operatorINSG_8equal_toIvEEEENSK_INSJ_8argumentILj0EEEEENSJ_5valueIiEEEEEEEEEEEE10hipError_tPvRmT3_T4_T5_T6_T7_T9_mT8_P12ihipStream_tbDpT10_ENKUlT_T0_E_clISt17integral_constantIbLb0EES1H_EEDaS1C_S1D_EUlS1C_E_NS1_11comp_targetILNS1_3genE5ELNS1_11target_archE942ELNS1_3gpuE9ELNS1_3repE0EEENS1_30default_config_static_selectorELNS0_4arch9wavefront6targetE1EEEvT1_
	.p2align	8
	.type	_ZN7rocprim17ROCPRIM_400000_NS6detail17trampoline_kernelINS0_14default_configENS1_25partition_config_selectorILNS1_17partition_subalgoE6EiNS0_10empty_typeEbEEZZNS1_14partition_implILS5_6ELb0ES3_mPiPS6_SA_NS0_5tupleIJS9_S6_EEENSB_IJSA_SA_EEES6_PlJN6thrust23THRUST_200600_302600_NS6detail9not_fun_tINSH_10functional5actorINSJ_9compositeIJNSJ_27transparent_binary_operatorINSG_8equal_toIvEEEENSK_INSJ_8argumentILj0EEEEENSJ_5valueIiEEEEEEEEEEEE10hipError_tPvRmT3_T4_T5_T6_T7_T9_mT8_P12ihipStream_tbDpT10_ENKUlT_T0_E_clISt17integral_constantIbLb0EES1H_EEDaS1C_S1D_EUlS1C_E_NS1_11comp_targetILNS1_3genE5ELNS1_11target_archE942ELNS1_3gpuE9ELNS1_3repE0EEENS1_30default_config_static_selectorELNS0_4arch9wavefront6targetE1EEEvT1_,@function
_ZN7rocprim17ROCPRIM_400000_NS6detail17trampoline_kernelINS0_14default_configENS1_25partition_config_selectorILNS1_17partition_subalgoE6EiNS0_10empty_typeEbEEZZNS1_14partition_implILS5_6ELb0ES3_mPiPS6_SA_NS0_5tupleIJS9_S6_EEENSB_IJSA_SA_EEES6_PlJN6thrust23THRUST_200600_302600_NS6detail9not_fun_tINSH_10functional5actorINSJ_9compositeIJNSJ_27transparent_binary_operatorINSG_8equal_toIvEEEENSK_INSJ_8argumentILj0EEEEENSJ_5valueIiEEEEEEEEEEEE10hipError_tPvRmT3_T4_T5_T6_T7_T9_mT8_P12ihipStream_tbDpT10_ENKUlT_T0_E_clISt17integral_constantIbLb0EES1H_EEDaS1C_S1D_EUlS1C_E_NS1_11comp_targetILNS1_3genE5ELNS1_11target_archE942ELNS1_3gpuE9ELNS1_3repE0EEENS1_30default_config_static_selectorELNS0_4arch9wavefront6targetE1EEEvT1_: ; @_ZN7rocprim17ROCPRIM_400000_NS6detail17trampoline_kernelINS0_14default_configENS1_25partition_config_selectorILNS1_17partition_subalgoE6EiNS0_10empty_typeEbEEZZNS1_14partition_implILS5_6ELb0ES3_mPiPS6_SA_NS0_5tupleIJS9_S6_EEENSB_IJSA_SA_EEES6_PlJN6thrust23THRUST_200600_302600_NS6detail9not_fun_tINSH_10functional5actorINSJ_9compositeIJNSJ_27transparent_binary_operatorINSG_8equal_toIvEEEENSK_INSJ_8argumentILj0EEEEENSJ_5valueIiEEEEEEEEEEEE10hipError_tPvRmT3_T4_T5_T6_T7_T9_mT8_P12ihipStream_tbDpT10_ENKUlT_T0_E_clISt17integral_constantIbLb0EES1H_EEDaS1C_S1D_EUlS1C_E_NS1_11comp_targetILNS1_3genE5ELNS1_11target_archE942ELNS1_3gpuE9ELNS1_3repE0EEENS1_30default_config_static_selectorELNS0_4arch9wavefront6targetE1EEEvT1_
; %bb.0:
	.section	.rodata,"a",@progbits
	.p2align	6, 0x0
	.amdhsa_kernel _ZN7rocprim17ROCPRIM_400000_NS6detail17trampoline_kernelINS0_14default_configENS1_25partition_config_selectorILNS1_17partition_subalgoE6EiNS0_10empty_typeEbEEZZNS1_14partition_implILS5_6ELb0ES3_mPiPS6_SA_NS0_5tupleIJS9_S6_EEENSB_IJSA_SA_EEES6_PlJN6thrust23THRUST_200600_302600_NS6detail9not_fun_tINSH_10functional5actorINSJ_9compositeIJNSJ_27transparent_binary_operatorINSG_8equal_toIvEEEENSK_INSJ_8argumentILj0EEEEENSJ_5valueIiEEEEEEEEEEEE10hipError_tPvRmT3_T4_T5_T6_T7_T9_mT8_P12ihipStream_tbDpT10_ENKUlT_T0_E_clISt17integral_constantIbLb0EES1H_EEDaS1C_S1D_EUlS1C_E_NS1_11comp_targetILNS1_3genE5ELNS1_11target_archE942ELNS1_3gpuE9ELNS1_3repE0EEENS1_30default_config_static_selectorELNS0_4arch9wavefront6targetE1EEEvT1_
		.amdhsa_group_segment_fixed_size 0
		.amdhsa_private_segment_fixed_size 0
		.amdhsa_kernarg_size 120
		.amdhsa_user_sgpr_count 6
		.amdhsa_user_sgpr_private_segment_buffer 1
		.amdhsa_user_sgpr_dispatch_ptr 0
		.amdhsa_user_sgpr_queue_ptr 0
		.amdhsa_user_sgpr_kernarg_segment_ptr 1
		.amdhsa_user_sgpr_dispatch_id 0
		.amdhsa_user_sgpr_flat_scratch_init 0
		.amdhsa_user_sgpr_kernarg_preload_length 0
		.amdhsa_user_sgpr_kernarg_preload_offset 0
		.amdhsa_user_sgpr_private_segment_size 0
		.amdhsa_uses_dynamic_stack 0
		.amdhsa_system_sgpr_private_segment_wavefront_offset 0
		.amdhsa_system_sgpr_workgroup_id_x 1
		.amdhsa_system_sgpr_workgroup_id_y 0
		.amdhsa_system_sgpr_workgroup_id_z 0
		.amdhsa_system_sgpr_workgroup_info 0
		.amdhsa_system_vgpr_workitem_id 0
		.amdhsa_next_free_vgpr 1
		.amdhsa_next_free_sgpr 0
		.amdhsa_accum_offset 4
		.amdhsa_reserve_vcc 0
		.amdhsa_reserve_flat_scratch 0
		.amdhsa_float_round_mode_32 0
		.amdhsa_float_round_mode_16_64 0
		.amdhsa_float_denorm_mode_32 3
		.amdhsa_float_denorm_mode_16_64 3
		.amdhsa_dx10_clamp 1
		.amdhsa_ieee_mode 1
		.amdhsa_fp16_overflow 0
		.amdhsa_tg_split 0
		.amdhsa_exception_fp_ieee_invalid_op 0
		.amdhsa_exception_fp_denorm_src 0
		.amdhsa_exception_fp_ieee_div_zero 0
		.amdhsa_exception_fp_ieee_overflow 0
		.amdhsa_exception_fp_ieee_underflow 0
		.amdhsa_exception_fp_ieee_inexact 0
		.amdhsa_exception_int_div_zero 0
	.end_amdhsa_kernel
	.section	.text._ZN7rocprim17ROCPRIM_400000_NS6detail17trampoline_kernelINS0_14default_configENS1_25partition_config_selectorILNS1_17partition_subalgoE6EiNS0_10empty_typeEbEEZZNS1_14partition_implILS5_6ELb0ES3_mPiPS6_SA_NS0_5tupleIJS9_S6_EEENSB_IJSA_SA_EEES6_PlJN6thrust23THRUST_200600_302600_NS6detail9not_fun_tINSH_10functional5actorINSJ_9compositeIJNSJ_27transparent_binary_operatorINSG_8equal_toIvEEEENSK_INSJ_8argumentILj0EEEEENSJ_5valueIiEEEEEEEEEEEE10hipError_tPvRmT3_T4_T5_T6_T7_T9_mT8_P12ihipStream_tbDpT10_ENKUlT_T0_E_clISt17integral_constantIbLb0EES1H_EEDaS1C_S1D_EUlS1C_E_NS1_11comp_targetILNS1_3genE5ELNS1_11target_archE942ELNS1_3gpuE9ELNS1_3repE0EEENS1_30default_config_static_selectorELNS0_4arch9wavefront6targetE1EEEvT1_,"axG",@progbits,_ZN7rocprim17ROCPRIM_400000_NS6detail17trampoline_kernelINS0_14default_configENS1_25partition_config_selectorILNS1_17partition_subalgoE6EiNS0_10empty_typeEbEEZZNS1_14partition_implILS5_6ELb0ES3_mPiPS6_SA_NS0_5tupleIJS9_S6_EEENSB_IJSA_SA_EEES6_PlJN6thrust23THRUST_200600_302600_NS6detail9not_fun_tINSH_10functional5actorINSJ_9compositeIJNSJ_27transparent_binary_operatorINSG_8equal_toIvEEEENSK_INSJ_8argumentILj0EEEEENSJ_5valueIiEEEEEEEEEEEE10hipError_tPvRmT3_T4_T5_T6_T7_T9_mT8_P12ihipStream_tbDpT10_ENKUlT_T0_E_clISt17integral_constantIbLb0EES1H_EEDaS1C_S1D_EUlS1C_E_NS1_11comp_targetILNS1_3genE5ELNS1_11target_archE942ELNS1_3gpuE9ELNS1_3repE0EEENS1_30default_config_static_selectorELNS0_4arch9wavefront6targetE1EEEvT1_,comdat
.Lfunc_end252:
	.size	_ZN7rocprim17ROCPRIM_400000_NS6detail17trampoline_kernelINS0_14default_configENS1_25partition_config_selectorILNS1_17partition_subalgoE6EiNS0_10empty_typeEbEEZZNS1_14partition_implILS5_6ELb0ES3_mPiPS6_SA_NS0_5tupleIJS9_S6_EEENSB_IJSA_SA_EEES6_PlJN6thrust23THRUST_200600_302600_NS6detail9not_fun_tINSH_10functional5actorINSJ_9compositeIJNSJ_27transparent_binary_operatorINSG_8equal_toIvEEEENSK_INSJ_8argumentILj0EEEEENSJ_5valueIiEEEEEEEEEEEE10hipError_tPvRmT3_T4_T5_T6_T7_T9_mT8_P12ihipStream_tbDpT10_ENKUlT_T0_E_clISt17integral_constantIbLb0EES1H_EEDaS1C_S1D_EUlS1C_E_NS1_11comp_targetILNS1_3genE5ELNS1_11target_archE942ELNS1_3gpuE9ELNS1_3repE0EEENS1_30default_config_static_selectorELNS0_4arch9wavefront6targetE1EEEvT1_, .Lfunc_end252-_ZN7rocprim17ROCPRIM_400000_NS6detail17trampoline_kernelINS0_14default_configENS1_25partition_config_selectorILNS1_17partition_subalgoE6EiNS0_10empty_typeEbEEZZNS1_14partition_implILS5_6ELb0ES3_mPiPS6_SA_NS0_5tupleIJS9_S6_EEENSB_IJSA_SA_EEES6_PlJN6thrust23THRUST_200600_302600_NS6detail9not_fun_tINSH_10functional5actorINSJ_9compositeIJNSJ_27transparent_binary_operatorINSG_8equal_toIvEEEENSK_INSJ_8argumentILj0EEEEENSJ_5valueIiEEEEEEEEEEEE10hipError_tPvRmT3_T4_T5_T6_T7_T9_mT8_P12ihipStream_tbDpT10_ENKUlT_T0_E_clISt17integral_constantIbLb0EES1H_EEDaS1C_S1D_EUlS1C_E_NS1_11comp_targetILNS1_3genE5ELNS1_11target_archE942ELNS1_3gpuE9ELNS1_3repE0EEENS1_30default_config_static_selectorELNS0_4arch9wavefront6targetE1EEEvT1_
                                        ; -- End function
	.section	.AMDGPU.csdata,"",@progbits
; Kernel info:
; codeLenInByte = 0
; NumSgprs: 4
; NumVgprs: 0
; NumAgprs: 0
; TotalNumVgprs: 0
; ScratchSize: 0
; MemoryBound: 0
; FloatMode: 240
; IeeeMode: 1
; LDSByteSize: 0 bytes/workgroup (compile time only)
; SGPRBlocks: 0
; VGPRBlocks: 0
; NumSGPRsForWavesPerEU: 4
; NumVGPRsForWavesPerEU: 1
; AccumOffset: 4
; Occupancy: 8
; WaveLimiterHint : 0
; COMPUTE_PGM_RSRC2:SCRATCH_EN: 0
; COMPUTE_PGM_RSRC2:USER_SGPR: 6
; COMPUTE_PGM_RSRC2:TRAP_HANDLER: 0
; COMPUTE_PGM_RSRC2:TGID_X_EN: 1
; COMPUTE_PGM_RSRC2:TGID_Y_EN: 0
; COMPUTE_PGM_RSRC2:TGID_Z_EN: 0
; COMPUTE_PGM_RSRC2:TIDIG_COMP_CNT: 0
; COMPUTE_PGM_RSRC3_GFX90A:ACCUM_OFFSET: 0
; COMPUTE_PGM_RSRC3_GFX90A:TG_SPLIT: 0
	.section	.text._ZN7rocprim17ROCPRIM_400000_NS6detail17trampoline_kernelINS0_14default_configENS1_25partition_config_selectorILNS1_17partition_subalgoE6EiNS0_10empty_typeEbEEZZNS1_14partition_implILS5_6ELb0ES3_mPiPS6_SA_NS0_5tupleIJS9_S6_EEENSB_IJSA_SA_EEES6_PlJN6thrust23THRUST_200600_302600_NS6detail9not_fun_tINSH_10functional5actorINSJ_9compositeIJNSJ_27transparent_binary_operatorINSG_8equal_toIvEEEENSK_INSJ_8argumentILj0EEEEENSJ_5valueIiEEEEEEEEEEEE10hipError_tPvRmT3_T4_T5_T6_T7_T9_mT8_P12ihipStream_tbDpT10_ENKUlT_T0_E_clISt17integral_constantIbLb0EES1H_EEDaS1C_S1D_EUlS1C_E_NS1_11comp_targetILNS1_3genE4ELNS1_11target_archE910ELNS1_3gpuE8ELNS1_3repE0EEENS1_30default_config_static_selectorELNS0_4arch9wavefront6targetE1EEEvT1_,"axG",@progbits,_ZN7rocprim17ROCPRIM_400000_NS6detail17trampoline_kernelINS0_14default_configENS1_25partition_config_selectorILNS1_17partition_subalgoE6EiNS0_10empty_typeEbEEZZNS1_14partition_implILS5_6ELb0ES3_mPiPS6_SA_NS0_5tupleIJS9_S6_EEENSB_IJSA_SA_EEES6_PlJN6thrust23THRUST_200600_302600_NS6detail9not_fun_tINSH_10functional5actorINSJ_9compositeIJNSJ_27transparent_binary_operatorINSG_8equal_toIvEEEENSK_INSJ_8argumentILj0EEEEENSJ_5valueIiEEEEEEEEEEEE10hipError_tPvRmT3_T4_T5_T6_T7_T9_mT8_P12ihipStream_tbDpT10_ENKUlT_T0_E_clISt17integral_constantIbLb0EES1H_EEDaS1C_S1D_EUlS1C_E_NS1_11comp_targetILNS1_3genE4ELNS1_11target_archE910ELNS1_3gpuE8ELNS1_3repE0EEENS1_30default_config_static_selectorELNS0_4arch9wavefront6targetE1EEEvT1_,comdat
	.protected	_ZN7rocprim17ROCPRIM_400000_NS6detail17trampoline_kernelINS0_14default_configENS1_25partition_config_selectorILNS1_17partition_subalgoE6EiNS0_10empty_typeEbEEZZNS1_14partition_implILS5_6ELb0ES3_mPiPS6_SA_NS0_5tupleIJS9_S6_EEENSB_IJSA_SA_EEES6_PlJN6thrust23THRUST_200600_302600_NS6detail9not_fun_tINSH_10functional5actorINSJ_9compositeIJNSJ_27transparent_binary_operatorINSG_8equal_toIvEEEENSK_INSJ_8argumentILj0EEEEENSJ_5valueIiEEEEEEEEEEEE10hipError_tPvRmT3_T4_T5_T6_T7_T9_mT8_P12ihipStream_tbDpT10_ENKUlT_T0_E_clISt17integral_constantIbLb0EES1H_EEDaS1C_S1D_EUlS1C_E_NS1_11comp_targetILNS1_3genE4ELNS1_11target_archE910ELNS1_3gpuE8ELNS1_3repE0EEENS1_30default_config_static_selectorELNS0_4arch9wavefront6targetE1EEEvT1_ ; -- Begin function _ZN7rocprim17ROCPRIM_400000_NS6detail17trampoline_kernelINS0_14default_configENS1_25partition_config_selectorILNS1_17partition_subalgoE6EiNS0_10empty_typeEbEEZZNS1_14partition_implILS5_6ELb0ES3_mPiPS6_SA_NS0_5tupleIJS9_S6_EEENSB_IJSA_SA_EEES6_PlJN6thrust23THRUST_200600_302600_NS6detail9not_fun_tINSH_10functional5actorINSJ_9compositeIJNSJ_27transparent_binary_operatorINSG_8equal_toIvEEEENSK_INSJ_8argumentILj0EEEEENSJ_5valueIiEEEEEEEEEEEE10hipError_tPvRmT3_T4_T5_T6_T7_T9_mT8_P12ihipStream_tbDpT10_ENKUlT_T0_E_clISt17integral_constantIbLb0EES1H_EEDaS1C_S1D_EUlS1C_E_NS1_11comp_targetILNS1_3genE4ELNS1_11target_archE910ELNS1_3gpuE8ELNS1_3repE0EEENS1_30default_config_static_selectorELNS0_4arch9wavefront6targetE1EEEvT1_
	.globl	_ZN7rocprim17ROCPRIM_400000_NS6detail17trampoline_kernelINS0_14default_configENS1_25partition_config_selectorILNS1_17partition_subalgoE6EiNS0_10empty_typeEbEEZZNS1_14partition_implILS5_6ELb0ES3_mPiPS6_SA_NS0_5tupleIJS9_S6_EEENSB_IJSA_SA_EEES6_PlJN6thrust23THRUST_200600_302600_NS6detail9not_fun_tINSH_10functional5actorINSJ_9compositeIJNSJ_27transparent_binary_operatorINSG_8equal_toIvEEEENSK_INSJ_8argumentILj0EEEEENSJ_5valueIiEEEEEEEEEEEE10hipError_tPvRmT3_T4_T5_T6_T7_T9_mT8_P12ihipStream_tbDpT10_ENKUlT_T0_E_clISt17integral_constantIbLb0EES1H_EEDaS1C_S1D_EUlS1C_E_NS1_11comp_targetILNS1_3genE4ELNS1_11target_archE910ELNS1_3gpuE8ELNS1_3repE0EEENS1_30default_config_static_selectorELNS0_4arch9wavefront6targetE1EEEvT1_
	.p2align	8
	.type	_ZN7rocprim17ROCPRIM_400000_NS6detail17trampoline_kernelINS0_14default_configENS1_25partition_config_selectorILNS1_17partition_subalgoE6EiNS0_10empty_typeEbEEZZNS1_14partition_implILS5_6ELb0ES3_mPiPS6_SA_NS0_5tupleIJS9_S6_EEENSB_IJSA_SA_EEES6_PlJN6thrust23THRUST_200600_302600_NS6detail9not_fun_tINSH_10functional5actorINSJ_9compositeIJNSJ_27transparent_binary_operatorINSG_8equal_toIvEEEENSK_INSJ_8argumentILj0EEEEENSJ_5valueIiEEEEEEEEEEEE10hipError_tPvRmT3_T4_T5_T6_T7_T9_mT8_P12ihipStream_tbDpT10_ENKUlT_T0_E_clISt17integral_constantIbLb0EES1H_EEDaS1C_S1D_EUlS1C_E_NS1_11comp_targetILNS1_3genE4ELNS1_11target_archE910ELNS1_3gpuE8ELNS1_3repE0EEENS1_30default_config_static_selectorELNS0_4arch9wavefront6targetE1EEEvT1_,@function
_ZN7rocprim17ROCPRIM_400000_NS6detail17trampoline_kernelINS0_14default_configENS1_25partition_config_selectorILNS1_17partition_subalgoE6EiNS0_10empty_typeEbEEZZNS1_14partition_implILS5_6ELb0ES3_mPiPS6_SA_NS0_5tupleIJS9_S6_EEENSB_IJSA_SA_EEES6_PlJN6thrust23THRUST_200600_302600_NS6detail9not_fun_tINSH_10functional5actorINSJ_9compositeIJNSJ_27transparent_binary_operatorINSG_8equal_toIvEEEENSK_INSJ_8argumentILj0EEEEENSJ_5valueIiEEEEEEEEEEEE10hipError_tPvRmT3_T4_T5_T6_T7_T9_mT8_P12ihipStream_tbDpT10_ENKUlT_T0_E_clISt17integral_constantIbLb0EES1H_EEDaS1C_S1D_EUlS1C_E_NS1_11comp_targetILNS1_3genE4ELNS1_11target_archE910ELNS1_3gpuE8ELNS1_3repE0EEENS1_30default_config_static_selectorELNS0_4arch9wavefront6targetE1EEEvT1_: ; @_ZN7rocprim17ROCPRIM_400000_NS6detail17trampoline_kernelINS0_14default_configENS1_25partition_config_selectorILNS1_17partition_subalgoE6EiNS0_10empty_typeEbEEZZNS1_14partition_implILS5_6ELb0ES3_mPiPS6_SA_NS0_5tupleIJS9_S6_EEENSB_IJSA_SA_EEES6_PlJN6thrust23THRUST_200600_302600_NS6detail9not_fun_tINSH_10functional5actorINSJ_9compositeIJNSJ_27transparent_binary_operatorINSG_8equal_toIvEEEENSK_INSJ_8argumentILj0EEEEENSJ_5valueIiEEEEEEEEEEEE10hipError_tPvRmT3_T4_T5_T6_T7_T9_mT8_P12ihipStream_tbDpT10_ENKUlT_T0_E_clISt17integral_constantIbLb0EES1H_EEDaS1C_S1D_EUlS1C_E_NS1_11comp_targetILNS1_3genE4ELNS1_11target_archE910ELNS1_3gpuE8ELNS1_3repE0EEENS1_30default_config_static_selectorELNS0_4arch9wavefront6targetE1EEEvT1_
; %bb.0:
	s_load_dwordx2 s[8:9], s[4:5], 0x50
	s_load_dwordx4 s[0:3], s[4:5], 0x8
	s_load_dwordx4 s[24:27], s[4:5], 0x40
	s_load_dword s7, s[4:5], 0x68
	v_lshlrev_b32_e32 v1, 2, v0
	s_waitcnt lgkmcnt(0)
	v_mov_b32_e32 v3, s9
	s_lshl_b64 s[10:11], s[2:3], 2
	s_add_u32 s12, s0, s10
	s_mul_i32 s0, s7, 0x1400
	s_addc_u32 s13, s1, s11
	s_add_i32 s1, s0, s2
	s_add_i32 s9, s7, -1
	s_sub_i32 s7, s8, s1
	s_add_u32 s0, s2, s0
	s_addc_u32 s1, s3, 0
	v_mov_b32_e32 v2, s8
	s_cmp_eq_u32 s6, s9
	s_load_dwordx2 s[26:27], s[26:27], 0x0
	v_cmp_ge_u64_e32 vcc, s[0:1], v[2:3]
	s_cselect_b64 s[28:29], -1, 0
	s_mul_i32 s10, s6, 0x1400
	s_mov_b32 s11, 0
	s_and_b64 s[30:31], s[28:29], vcc
	s_xor_b64 s[0:1], s[30:31], -1
	s_lshl_b64 s[2:3], s[10:11], 2
	s_add_u32 s2, s12, s2
	s_mov_b64 s[8:9], -1
	s_addc_u32 s3, s13, s3
	s_and_b64 vcc, exec, s[0:1]
	s_cbranch_vccz .LBB253_2
; %bb.1:
	v_mov_b32_e32 v2, s3
	v_add_co_u32_e32 v8, vcc, s2, v1
	v_addc_co_u32_e32 v9, vcc, 0, v2, vcc
	v_add_co_u32_e32 v2, vcc, 0x1000, v8
	v_addc_co_u32_e32 v3, vcc, 0, v9, vcc
	;; [unrolled: 2-line block ×4, first 2 shown]
	v_add_co_u32_e32 v8, vcc, 0x4000, v8
	global_load_dword v10, v1, s[2:3]
	global_load_dword v11, v1, s[2:3] offset:2048
	v_addc_co_u32_e32 v9, vcc, 0, v9, vcc
	global_load_dword v12, v[2:3], off
	global_load_dword v13, v[2:3], off offset:2048
	global_load_dword v14, v[4:5], off
	global_load_dword v15, v[4:5], off offset:2048
	global_load_dword v16, v[6:7], off
	global_load_dword v17, v[6:7], off offset:2048
	global_load_dword v18, v[8:9], off
	global_load_dword v19, v[8:9], off offset:2048
	s_mov_b64 s[8:9], 0
	s_waitcnt vmcnt(8)
	ds_write2st64_b32 v1, v10, v11 offset1:8
	s_waitcnt vmcnt(6)
	ds_write2st64_b32 v1, v12, v13 offset0:16 offset1:24
	s_waitcnt vmcnt(4)
	ds_write2st64_b32 v1, v14, v15 offset0:32 offset1:40
	;; [unrolled: 2-line block ×4, first 2 shown]
	s_waitcnt lgkmcnt(0)
	s_barrier
.LBB253_2:
	s_andn2_b64 vcc, exec, s[8:9]
	s_addk_i32 s7, 0x1400
	s_cbranch_vccnz .LBB253_24
; %bb.3:
	v_cmp_gt_u32_e32 vcc, s7, v0
                                        ; implicit-def: $vgpr2_vgpr3_vgpr4_vgpr5_vgpr6_vgpr7_vgpr8_vgpr9_vgpr10_vgpr11
	s_and_saveexec_b64 s[8:9], vcc
	s_cbranch_execz .LBB253_5
; %bb.4:
	global_load_dword v2, v1, s[2:3]
                                        ; kill: def $vgpr3 killed $sgpr0 killed $exec
.LBB253_5:
	s_or_b64 exec, exec, s[8:9]
	v_or_b32_e32 v12, 0x200, v0
	v_cmp_gt_u32_e32 vcc, s7, v12
	s_and_saveexec_b64 s[8:9], vcc
	s_cbranch_execz .LBB253_7
; %bb.6:
	global_load_dword v3, v1, s[2:3] offset:2048
.LBB253_7:
	s_or_b64 exec, exec, s[8:9]
	v_or_b32_e32 v12, 0x400, v0
	v_cmp_gt_u32_e32 vcc, s7, v12
	s_and_saveexec_b64 s[8:9], vcc
	s_cbranch_execz .LBB253_9
; %bb.8:
	v_lshlrev_b32_e32 v4, 2, v12
	global_load_dword v4, v4, s[2:3]
.LBB253_9:
	s_or_b64 exec, exec, s[8:9]
	v_or_b32_e32 v12, 0x600, v0
	v_cmp_gt_u32_e32 vcc, s7, v12
	s_and_saveexec_b64 s[8:9], vcc
	s_cbranch_execz .LBB253_11
; %bb.10:
	v_lshlrev_b32_e32 v5, 2, v12
	global_load_dword v5, v5, s[2:3]
.LBB253_11:
	;; [unrolled: 9-line block ×8, first 2 shown]
	s_or_b64 exec, exec, s[8:9]
	s_waitcnt vmcnt(0)
	ds_write2st64_b32 v1, v2, v3 offset1:8
	ds_write2st64_b32 v1, v4, v5 offset0:16 offset1:24
	ds_write2st64_b32 v1, v6, v7 offset0:32 offset1:40
	;; [unrolled: 1-line block ×4, first 2 shown]
	s_waitcnt lgkmcnt(0)
	s_barrier
.LBB253_24:
	v_mul_u32_u24_e32 v1, 10, v0
	v_lshlrev_b32_e32 v21, 2, v1
	s_load_dword s33, s[4:5], 0x74
	s_waitcnt lgkmcnt(0)
	ds_read2_b64 v[6:9], v21 offset1:1
	ds_read2_b64 v[2:5], v21 offset0:2 offset1:3
	ds_read_b64 v[18:19], v21 offset:32
	s_andn2_b64 vcc, exec, s[0:1]
	s_waitcnt lgkmcnt(0)
	v_cmp_ne_u32_e64 s[2:3], s33, v6
	v_cmp_ne_u32_e64 s[0:1], s33, v7
	;; [unrolled: 1-line block ×10, first 2 shown]
	s_barrier
	s_cbranch_vccnz .LBB253_26
; %bb.25:
	s_and_b64 s[20:21], s[20:21], exec
	s_and_b64 s[18:19], s[18:19], exec
	;; [unrolled: 1-line block ×10, first 2 shown]
	s_load_dwordx2 s[46:47], s[4:5], 0x60
	s_cbranch_execz .LBB253_27
	s_branch .LBB253_28
.LBB253_26:
                                        ; implicit-def: $sgpr42_sgpr43
                                        ; implicit-def: $sgpr44_sgpr45
                                        ; implicit-def: $sgpr22_sgpr23
                                        ; implicit-def: $sgpr40_sgpr41
                                        ; implicit-def: $sgpr38_sgpr39
                                        ; implicit-def: $sgpr36_sgpr37
                                        ; implicit-def: $sgpr34_sgpr35
                                        ; implicit-def: $sgpr16_sgpr17
                                        ; implicit-def: $sgpr18_sgpr19
                                        ; implicit-def: $sgpr20_sgpr21
	s_load_dwordx2 s[46:47], s[4:5], 0x60
.LBB253_27:
	v_or_b32_e32 v10, 1, v1
	v_cmp_gt_u32_e32 vcc, s7, v1
	v_cmp_ne_u32_e64 s[0:1], s33, v6
	s_and_b64 s[2:3], vcc, s[0:1]
	v_cmp_gt_u32_e32 vcc, s7, v10
	v_cmp_ne_u32_e64 s[0:1], s33, v7
	v_add_u32_e32 v11, 2, v1
	s_and_b64 s[8:9], vcc, s[0:1]
	v_add_u32_e32 v12, 3, v1
	v_cmp_gt_u32_e32 vcc, s7, v11
	v_cmp_ne_u32_e64 s[0:1], s33, v8
	s_andn2_b64 s[42:43], s[42:43], exec
	s_and_b64 s[8:9], s[8:9], exec
	v_add_u32_e32 v13, 4, v1
	s_and_b64 s[10:11], vcc, s[0:1]
	v_cmp_gt_u32_e32 vcc, s7, v12
	v_cmp_ne_u32_e64 s[0:1], s33, v9
	s_or_b64 s[42:43], s[42:43], s[8:9]
	s_andn2_b64 s[8:9], s[44:45], exec
	s_and_b64 s[2:3], s[2:3], exec
	v_add_u32_e32 v14, 5, v1
	s_and_b64 s[12:13], vcc, s[0:1]
	v_cmp_gt_u32_e32 vcc, s7, v13
	v_cmp_ne_u32_e64 s[0:1], s33, v2
	s_or_b64 s[44:45], s[8:9], s[2:3]
	;; [unrolled: 7-line block ×6, first 2 shown]
	s_andn2_b64 s[2:3], s[34:35], exec
	s_and_b64 s[8:9], s[50:51], exec
	s_and_b64 s[54:55], vcc, s[0:1]
	v_cmp_gt_u32_e32 vcc, s7, v20
	v_cmp_ne_u32_e64 s[0:1], s33, v19
	s_or_b64 s[34:35], s[2:3], s[8:9]
	s_andn2_b64 s[2:3], s[16:17], exec
	s_and_b64 s[8:9], s[52:53], exec
	s_and_b64 s[0:1], vcc, s[0:1]
	s_or_b64 s[16:17], s[2:3], s[8:9]
	s_andn2_b64 s[2:3], s[18:19], exec
	s_and_b64 s[8:9], s[54:55], exec
	s_or_b64 s[18:19], s[2:3], s[8:9]
	s_andn2_b64 s[2:3], s[20:21], exec
	s_and_b64 s[0:1], s[0:1], exec
	s_or_b64 s[20:21], s[2:3], s[0:1]
.LBB253_28:
	v_cndmask_b32_e64 v36, 0, 1, s[44:45]
	v_cndmask_b32_e64 v34, 0, 1, s[42:43]
	;; [unrolled: 1-line block ×3, first 2 shown]
	v_add_co_u32_e32 v10, vcc, v36, v34
	v_addc_co_u32_e64 v11, s[0:1], 0, 0, vcc
	v_add_co_u32_e32 v10, vcc, v10, v32
	v_cndmask_b32_e64 v30, 0, 1, s[40:41]
	v_addc_co_u32_e32 v11, vcc, 0, v11, vcc
	v_add_co_u32_e32 v10, vcc, v10, v30
	v_cndmask_b32_e64 v28, 0, 1, s[38:39]
	v_addc_co_u32_e32 v11, vcc, 0, v11, vcc
	;; [unrolled: 3-line block ×7, first 2 shown]
	v_add_co_u32_e32 v38, vcc, v10, v1
	v_mbcnt_lo_u32_b32 v1, -1, 0
	v_mbcnt_hi_u32_b32 v23, -1, v1
	v_addc_co_u32_e32 v39, vcc, 0, v11, vcc
	v_and_b32_e32 v27, 15, v23
	s_cmp_lg_u32 s6, 0
	v_cmp_eq_u32_e64 s[2:3], 0, v27
	v_cmp_lt_u32_e64 s[0:1], 1, v27
	v_cmp_lt_u32_e64 s[10:11], 3, v27
	;; [unrolled: 1-line block ×3, first 2 shown]
	v_and_b32_e32 v25, 16, v23
	v_cmp_eq_u32_e64 s[12:13], 0, v23
	v_cmp_ne_u32_e32 vcc, 0, v23
	s_cbranch_scc0 .LBB253_59
; %bb.29:
	v_mov_b32_dpp v1, v38 row_shr:1 row_mask:0xf bank_mask:0xf
	v_add_co_u32_e64 v1, s[14:15], v38, v1
	v_mov_b32_e32 v10, 0
	v_addc_co_u32_e64 v11, s[14:15], 0, v39, s[14:15]
	s_nop 0
	v_mov_b32_dpp v10, v10 row_shr:1 row_mask:0xf bank_mask:0xf
	v_add_co_u32_e64 v12, s[14:15], 0, v1
	v_addc_co_u32_e64 v10, s[14:15], v10, v11, s[14:15]
	v_cndmask_b32_e64 v1, v1, v38, s[2:3]
	v_cndmask_b32_e64 v11, v10, 0, s[2:3]
	v_cndmask_b32_e64 v12, v12, v38, s[2:3]
	v_mov_b32_dpp v13, v1 row_shr:2 row_mask:0xf bank_mask:0xf
	v_cndmask_b32_e64 v10, v10, v39, s[2:3]
	v_mov_b32_dpp v14, v11 row_shr:2 row_mask:0xf bank_mask:0xf
	v_add_co_u32_e64 v13, s[14:15], v13, v12
	v_addc_co_u32_e64 v14, s[14:15], v14, v10, s[14:15]
	v_cndmask_b32_e64 v1, v1, v13, s[0:1]
	v_cndmask_b32_e64 v11, v11, v14, s[0:1]
	v_cndmask_b32_e64 v12, v12, v13, s[0:1]
	v_mov_b32_dpp v13, v1 row_shr:4 row_mask:0xf bank_mask:0xf
	v_cndmask_b32_e64 v10, v10, v14, s[0:1]
	;; [unrolled: 8-line block ×3, first 2 shown]
	v_mov_b32_dpp v14, v11 row_shr:8 row_mask:0xf bank_mask:0xf
	v_add_co_u32_e64 v13, s[10:11], v13, v12
	v_addc_co_u32_e64 v14, s[10:11], v14, v10, s[10:11]
	v_cndmask_b32_e64 v15, v1, v13, s[8:9]
	v_cndmask_b32_e64 v11, v11, v14, s[8:9]
	;; [unrolled: 1-line block ×4, first 2 shown]
	v_mov_b32_dpp v10, v15 row_bcast:15 row_mask:0xf bank_mask:0xf
	v_mov_b32_dpp v14, v11 row_bcast:15 row_mask:0xf bank_mask:0xf
	v_add_co_u32_e64 v13, s[8:9], v10, v12
	v_addc_co_u32_e64 v14, s[8:9], v14, v1, s[8:9]
	v_cmp_eq_u32_e64 s[8:9], 0, v25
	v_cndmask_b32_e64 v10, v14, v11, s[8:9]
	v_cndmask_b32_e64 v11, v13, v15, s[8:9]
	s_nop 0
	v_mov_b32_dpp v16, v10 row_bcast:31 row_mask:0xf bank_mask:0xf
	v_mov_b32_dpp v15, v11 row_bcast:31 row_mask:0xf bank_mask:0xf
	v_pk_mov_b32 v[10:11], v[38:39], v[38:39] op_sel:[0,1]
	s_and_saveexec_b64 s[10:11], vcc
; %bb.30:
	v_cmp_lt_u32_e32 vcc, 31, v23
	v_cndmask_b32_e64 v10, v13, v12, s[8:9]
	v_cndmask_b32_e32 v12, 0, v15, vcc
	v_cndmask_b32_e64 v1, v14, v1, s[8:9]
	v_cndmask_b32_e32 v11, 0, v16, vcc
	v_add_co_u32_e32 v10, vcc, v12, v10
	v_addc_co_u32_e32 v11, vcc, v11, v1, vcc
; %bb.31:
	s_or_b64 exec, exec, s[10:11]
	v_or_b32_e32 v12, 63, v0
	v_lshrrev_b32_e32 v1, 6, v0
	v_cmp_eq_u32_e32 vcc, v12, v0
	s_and_saveexec_b64 s[8:9], vcc
	s_cbranch_execz .LBB253_33
; %bb.32:
	v_lshlrev_b32_e32 v12, 3, v1
	ds_write_b64 v12, v[10:11]
.LBB253_33:
	s_or_b64 exec, exec, s[8:9]
	v_cmp_gt_u32_e32 vcc, 8, v0
	s_waitcnt lgkmcnt(0)
	s_barrier
	s_and_saveexec_b64 s[10:11], vcc
	s_cbranch_execz .LBB253_37
; %bb.34:
	v_lshlrev_b32_e32 v14, 3, v0
	ds_read_b64 v[12:13], v14
	v_and_b32_e32 v15, 7, v23
	v_cmp_ne_u32_e64 s[8:9], 0, v15
	s_waitcnt lgkmcnt(0)
	v_mov_b32_dpp v16, v12 row_shr:1 row_mask:0xf bank_mask:0xf
	v_add_co_u32_e32 v29, vcc, v12, v16
	v_addc_co_u32_e32 v31, vcc, 0, v13, vcc
	v_mov_b32_dpp v17, v13 row_shr:1 row_mask:0xf bank_mask:0xf
	v_add_co_u32_e32 v16, vcc, 0, v29
	v_addc_co_u32_e32 v17, vcc, v17, v31, vcc
	v_cmp_eq_u32_e32 vcc, 0, v15
	v_cndmask_b32_e32 v33, v29, v12, vcc
	v_cndmask_b32_e32 v35, v17, v13, vcc
	;; [unrolled: 1-line block ×3, first 2 shown]
	v_mov_b32_dpp v31, v33 row_shr:2 row_mask:0xf bank_mask:0xf
	v_mov_b32_dpp v37, v35 row_shr:2 row_mask:0xf bank_mask:0xf
	v_add_co_u32_e32 v29, vcc, v31, v29
	v_addc_co_u32_e32 v31, vcc, v37, v35, vcc
	v_cmp_lt_u32_e32 vcc, 1, v15
	v_cndmask_b32_e32 v35, v35, v31, vcc
	v_cndmask_b32_e32 v33, v33, v29, vcc
                                        ; kill: def $vgpr37 killed $sgpr0 killed $exec
	s_nop 0
	v_mov_b32_dpp v35, v35 row_shr:4 row_mask:0xf bank_mask:0xf
	v_mov_b32_dpp v33, v33 row_shr:4 row_mask:0xf bank_mask:0xf
	s_and_saveexec_b64 s[14:15], s[8:9]
; %bb.35:
	v_cndmask_b32_e32 v13, v17, v31, vcc
	v_cndmask_b32_e32 v12, v16, v29, vcc
	v_cmp_lt_u32_e32 vcc, 3, v15
	v_cndmask_b32_e32 v16, 0, v33, vcc
	v_cndmask_b32_e32 v15, 0, v35, vcc
	v_add_co_u32_e32 v12, vcc, v16, v12
	v_addc_co_u32_e32 v13, vcc, v15, v13, vcc
; %bb.36:
	s_or_b64 exec, exec, s[14:15]
	ds_write_b64 v14, v[12:13]
.LBB253_37:
	s_or_b64 exec, exec, s[10:11]
	v_cmp_gt_u32_e32 vcc, 64, v0
	v_cmp_lt_u32_e64 s[8:9], 63, v0
	s_waitcnt lgkmcnt(0)
	s_barrier
	s_waitcnt lgkmcnt(0)
                                        ; implicit-def: $vgpr40_vgpr41
	s_and_saveexec_b64 s[10:11], s[8:9]
	s_cbranch_execz .LBB253_39
; %bb.38:
	v_lshl_add_u32 v1, v1, 3, -8
	ds_read_b64 v[40:41], v1
	s_waitcnt lgkmcnt(0)
	v_add_co_u32_e64 v10, s[8:9], v40, v10
	v_addc_co_u32_e64 v11, s[8:9], v41, v11, s[8:9]
.LBB253_39:
	s_or_b64 exec, exec, s[10:11]
	v_add_u32_e32 v1, -1, v23
	v_and_b32_e32 v12, 64, v23
	v_cmp_lt_i32_e64 s[8:9], v1, v12
	v_cndmask_b32_e64 v1, v1, v23, s[8:9]
	v_lshlrev_b32_e32 v12, 2, v1
	ds_bpermute_b32 v1, v12, v10
	ds_bpermute_b32 v29, v12, v11
	s_and_saveexec_b64 s[14:15], vcc
	s_cbranch_execz .LBB253_58
; %bb.40:
	v_mov_b32_e32 v13, 0
	ds_read_b64 v[10:11], v13 offset:56
	s_and_saveexec_b64 s[8:9], s[12:13]
	s_cbranch_execz .LBB253_42
; %bb.41:
	s_add_i32 s10, s6, 64
	s_mov_b32 s11, 0
	s_lshl_b64 s[10:11], s[10:11], 4
	s_add_u32 s10, s46, s10
	s_addc_u32 s11, s47, s11
	v_mov_b32_e32 v12, 1
	v_pk_mov_b32 v[14:15], s[10:11], s[10:11] op_sel:[0,1]
	s_waitcnt lgkmcnt(0)
	;;#ASMSTART
	global_store_dwordx4 v[14:15], v[10:13] off	
s_waitcnt vmcnt(0)
	;;#ASMEND
.LBB253_42:
	s_or_b64 exec, exec, s[8:9]
	v_xad_u32 v42, v23, -1, s6
	v_add_u32_e32 v12, 64, v42
	v_lshlrev_b64 v[14:15], 4, v[12:13]
	v_mov_b32_e32 v12, s47
	v_add_co_u32_e32 v44, vcc, s46, v14
	v_addc_co_u32_e32 v45, vcc, v12, v15, vcc
	;;#ASMSTART
	global_load_dwordx4 v[14:17], v[44:45] off glc	
s_waitcnt vmcnt(0)
	;;#ASMEND
	v_and_b32_e32 v12, 0xff, v15
	v_and_b32_e32 v17, 0xff00, v15
	v_or3_b32 v12, 0, v12, v17
	v_or3_b32 v14, v14, 0, 0
	v_and_b32_e32 v17, 0xff000000, v15
	v_and_b32_e32 v15, 0xff0000, v15
	v_or3_b32 v15, v12, v15, v17
	v_or3_b32 v14, v14, 0, 0
	v_cmp_eq_u16_sdwa s[10:11], v16, v13 src0_sel:BYTE_0 src1_sel:DWORD
	s_and_saveexec_b64 s[8:9], s[10:11]
	s_cbranch_execz .LBB253_46
; %bb.43:
	s_mov_b64 s[10:11], 0
	v_mov_b32_e32 v12, 0
.LBB253_44:                             ; =>This Inner Loop Header: Depth=1
	;;#ASMSTART
	global_load_dwordx4 v[14:17], v[44:45] off glc	
s_waitcnt vmcnt(0)
	;;#ASMEND
	v_cmp_ne_u16_sdwa s[48:49], v16, v12 src0_sel:BYTE_0 src1_sel:DWORD
	s_or_b64 s[10:11], s[48:49], s[10:11]
	s_andn2_b64 exec, exec, s[10:11]
	s_cbranch_execnz .LBB253_44
; %bb.45:
	s_or_b64 exec, exec, s[10:11]
.LBB253_46:
	s_or_b64 exec, exec, s[8:9]
	v_and_b32_e32 v33, 63, v23
	v_mov_b32_e32 v31, 2
	v_cmp_ne_u32_e32 vcc, 63, v33
	v_cmp_eq_u16_sdwa s[8:9], v16, v31 src0_sel:BYTE_0 src1_sel:DWORD
	v_lshlrev_b64 v[44:45], v23, -1
	v_addc_co_u32_e32 v17, vcc, 0, v23, vcc
	v_and_b32_e32 v12, s9, v45
	v_lshlrev_b32_e32 v35, 2, v17
	v_or_b32_e32 v12, 0x80000000, v12
	ds_bpermute_b32 v17, v35, v14
	v_and_b32_e32 v13, s8, v44
	v_ffbl_b32_e32 v12, v12
	v_add_u32_e32 v12, 32, v12
	v_ffbl_b32_e32 v13, v13
	v_min_u32_e32 v12, v13, v12
	ds_bpermute_b32 v13, v35, v15
	s_waitcnt lgkmcnt(1)
	v_add_co_u32_e32 v17, vcc, v14, v17
	v_addc_co_u32_e32 v37, vcc, 0, v15, vcc
	v_add_co_u32_e32 v46, vcc, 0, v17
	v_cmp_gt_u32_e64 s[8:9], 62, v33
	s_waitcnt lgkmcnt(0)
	v_addc_co_u32_e32 v13, vcc, v13, v37, vcc
	v_cndmask_b32_e64 v37, 0, 1, s[8:9]
	v_cmp_lt_u32_e32 vcc, v33, v12
	v_lshlrev_b32_e32 v37, 1, v37
	v_cndmask_b32_e32 v17, v14, v17, vcc
	v_add_lshl_u32 v37, v37, v23, 2
	v_cndmask_b32_e32 v13, v15, v13, vcc
	ds_bpermute_b32 v47, v37, v17
	ds_bpermute_b32 v49, v37, v13
	v_cndmask_b32_e32 v46, v14, v46, vcc
	v_add_u32_e32 v48, 2, v33
	v_cmp_gt_u32_e64 s[10:11], 60, v33
	s_waitcnt lgkmcnt(1)
	v_add_co_u32_e64 v47, s[8:9], v47, v46
	s_waitcnt lgkmcnt(0)
	v_addc_co_u32_e64 v49, s[8:9], v49, v13, s[8:9]
	v_cmp_gt_u32_e64 s[8:9], v48, v12
	v_cndmask_b32_e64 v13, v49, v13, s[8:9]
	v_cndmask_b32_e64 v49, 0, 1, s[10:11]
	v_lshlrev_b32_e32 v49, 2, v49
	v_cndmask_b32_e64 v17, v47, v17, s[8:9]
	v_add_lshl_u32 v49, v49, v23, 2
	ds_bpermute_b32 v51, v49, v17
	v_cndmask_b32_e64 v46, v47, v46, s[8:9]
	ds_bpermute_b32 v47, v49, v13
	v_add_u32_e32 v50, 4, v33
	v_cmp_gt_u32_e64 s[10:11], 56, v33
	s_waitcnt lgkmcnt(1)
	v_add_co_u32_e64 v52, s[8:9], v51, v46
	s_waitcnt lgkmcnt(0)
	v_addc_co_u32_e64 v47, s[8:9], v47, v13, s[8:9]
	v_cmp_gt_u32_e64 s[8:9], v50, v12
	v_cndmask_b32_e64 v13, v47, v13, s[8:9]
	v_cndmask_b32_e64 v47, 0, 1, s[10:11]
	v_lshlrev_b32_e32 v47, 3, v47
	v_cndmask_b32_e64 v17, v52, v17, s[8:9]
	v_add_lshl_u32 v51, v47, v23, 2
	ds_bpermute_b32 v47, v51, v17
	ds_bpermute_b32 v53, v51, v13
	v_cndmask_b32_e64 v46, v52, v46, s[8:9]
	v_add_u32_e32 v52, 8, v33
	v_cmp_gt_u32_e64 s[10:11], 48, v33
	s_waitcnt lgkmcnt(1)
	v_add_co_u32_e64 v47, s[8:9], v47, v46
	s_waitcnt lgkmcnt(0)
	v_addc_co_u32_e64 v53, s[8:9], v53, v13, s[8:9]
	v_cmp_gt_u32_e64 s[8:9], v52, v12
	v_cndmask_b32_e64 v13, v53, v13, s[8:9]
	v_cndmask_b32_e64 v53, 0, 1, s[10:11]
	v_lshlrev_b32_e32 v53, 4, v53
	v_cndmask_b32_e64 v17, v47, v17, s[8:9]
	v_add_lshl_u32 v53, v53, v23, 2
	ds_bpermute_b32 v55, v53, v17
	v_cndmask_b32_e64 v46, v47, v46, s[8:9]
	ds_bpermute_b32 v47, v53, v13
	v_cmp_gt_u32_e64 s[10:11], 32, v33
	v_add_u32_e32 v54, 16, v33
	s_waitcnt lgkmcnt(1)
	v_add_co_u32_e64 v57, s[8:9], v55, v46
	s_waitcnt lgkmcnt(0)
	v_addc_co_u32_e64 v47, s[8:9], v47, v13, s[8:9]
	v_cndmask_b32_e64 v55, 0, 1, s[10:11]
	v_cmp_gt_u32_e64 s[8:9], v54, v12
	v_lshlrev_b32_e32 v55, 5, v55
	v_cndmask_b32_e64 v17, v57, v17, s[8:9]
	v_add_lshl_u32 v55, v55, v23, 2
	v_cndmask_b32_e64 v13, v47, v13, s[8:9]
	ds_bpermute_b32 v17, v55, v17
	ds_bpermute_b32 v47, v55, v13
	v_add_u32_e32 v56, 32, v33
	v_cndmask_b32_e64 v46, v57, v46, s[8:9]
	v_cmp_le_u32_e64 s[8:9], v56, v12
	s_waitcnt lgkmcnt(1)
	v_cndmask_b32_e64 v17, 0, v17, s[8:9]
	s_waitcnt lgkmcnt(0)
	v_cndmask_b32_e64 v12, 0, v47, s[8:9]
	v_add_co_u32_e64 v17, s[8:9], v17, v46
	v_addc_co_u32_e64 v12, s[8:9], v12, v13, s[8:9]
	v_mov_b32_e32 v43, 0
	v_cndmask_b32_e32 v15, v15, v12, vcc
	v_cndmask_b32_e32 v14, v14, v17, vcc
	s_branch .LBB253_48
.LBB253_47:                             ;   in Loop: Header=BB253_48 Depth=1
	s_or_b64 exec, exec, s[8:9]
	v_cmp_eq_u16_sdwa s[8:9], v16, v31 src0_sel:BYTE_0 src1_sel:DWORD
	v_and_b32_e32 v17, s9, v45
	v_or_b32_e32 v17, 0x80000000, v17
	ds_bpermute_b32 v47, v35, v14
	v_and_b32_e32 v46, s8, v44
	v_ffbl_b32_e32 v17, v17
	v_add_u32_e32 v17, 32, v17
	v_ffbl_b32_e32 v46, v46
	v_min_u32_e32 v17, v46, v17
	ds_bpermute_b32 v46, v35, v15
	s_waitcnt lgkmcnt(1)
	v_add_co_u32_e32 v47, vcc, v14, v47
	v_addc_co_u32_e32 v57, vcc, 0, v15, vcc
	v_add_co_u32_e32 v58, vcc, 0, v47
	s_waitcnt lgkmcnt(0)
	v_addc_co_u32_e32 v46, vcc, v46, v57, vcc
	v_cmp_lt_u32_e32 vcc, v33, v17
	v_cndmask_b32_e32 v47, v14, v47, vcc
	ds_bpermute_b32 v57, v37, v47
	v_cndmask_b32_e32 v46, v15, v46, vcc
	ds_bpermute_b32 v59, v37, v46
	v_cndmask_b32_e32 v58, v14, v58, vcc
	v_subrev_u32_e32 v42, 64, v42
	s_waitcnt lgkmcnt(1)
	v_add_co_u32_e64 v57, s[8:9], v57, v58
	s_waitcnt lgkmcnt(0)
	v_addc_co_u32_e64 v59, s[8:9], v59, v46, s[8:9]
	v_cmp_gt_u32_e64 s[8:9], v48, v17
	v_cndmask_b32_e64 v47, v57, v47, s[8:9]
	ds_bpermute_b32 v60, v49, v47
	v_cndmask_b32_e64 v46, v59, v46, s[8:9]
	ds_bpermute_b32 v59, v49, v46
	v_cndmask_b32_e64 v57, v57, v58, s[8:9]
	s_waitcnt lgkmcnt(1)
	v_add_co_u32_e64 v58, s[8:9], v60, v57
	s_waitcnt lgkmcnt(0)
	v_addc_co_u32_e64 v59, s[8:9], v59, v46, s[8:9]
	v_cmp_gt_u32_e64 s[8:9], v50, v17
	v_cndmask_b32_e64 v47, v58, v47, s[8:9]
	ds_bpermute_b32 v60, v51, v47
	v_cndmask_b32_e64 v46, v59, v46, s[8:9]
	ds_bpermute_b32 v59, v51, v46
	v_cndmask_b32_e64 v57, v58, v57, s[8:9]
	;; [unrolled: 10-line block ×3, first 2 shown]
	s_waitcnt lgkmcnt(1)
	v_add_co_u32_e64 v58, s[8:9], v60, v57
	s_waitcnt lgkmcnt(0)
	v_addc_co_u32_e64 v59, s[8:9], v59, v46, s[8:9]
	v_cmp_gt_u32_e64 s[8:9], v54, v17
	v_cndmask_b32_e64 v47, v58, v47, s[8:9]
	v_cndmask_b32_e64 v46, v59, v46, s[8:9]
	ds_bpermute_b32 v47, v55, v47
	ds_bpermute_b32 v59, v55, v46
	v_cndmask_b32_e64 v57, v58, v57, s[8:9]
	v_cmp_le_u32_e64 s[8:9], v56, v17
	s_waitcnt lgkmcnt(1)
	v_cndmask_b32_e64 v47, 0, v47, s[8:9]
	s_waitcnt lgkmcnt(0)
	v_cndmask_b32_e64 v17, 0, v59, s[8:9]
	v_add_co_u32_e64 v47, s[8:9], v47, v57
	v_addc_co_u32_e64 v17, s[8:9], v17, v46, s[8:9]
	v_cndmask_b32_e32 v14, v14, v47, vcc
	v_cndmask_b32_e32 v15, v15, v17, vcc
	v_add_co_u32_e32 v14, vcc, v14, v12
	v_addc_co_u32_e32 v15, vcc, v15, v13, vcc
.LBB253_48:                             ; =>This Loop Header: Depth=1
                                        ;     Child Loop BB253_51 Depth 2
	v_cmp_ne_u16_sdwa s[8:9], v16, v31 src0_sel:BYTE_0 src1_sel:DWORD
	v_cndmask_b32_e64 v12, 0, 1, s[8:9]
	;;#ASMSTART
	;;#ASMEND
	v_cmp_ne_u32_e32 vcc, 0, v12
	s_cmp_lg_u64 vcc, exec
	v_pk_mov_b32 v[12:13], v[14:15], v[14:15] op_sel:[0,1]
	s_cbranch_scc1 .LBB253_53
; %bb.49:                               ;   in Loop: Header=BB253_48 Depth=1
	v_lshlrev_b64 v[14:15], 4, v[42:43]
	v_mov_b32_e32 v16, s47
	v_add_co_u32_e32 v46, vcc, s46, v14
	v_addc_co_u32_e32 v47, vcc, v16, v15, vcc
	;;#ASMSTART
	global_load_dwordx4 v[14:17], v[46:47] off glc	
s_waitcnt vmcnt(0)
	;;#ASMEND
	v_and_b32_e32 v17, 0xff, v15
	v_and_b32_e32 v57, 0xff00, v15
	v_or3_b32 v17, 0, v17, v57
	v_or3_b32 v14, v14, 0, 0
	v_and_b32_e32 v57, 0xff000000, v15
	v_and_b32_e32 v15, 0xff0000, v15
	v_or3_b32 v15, v17, v15, v57
	v_or3_b32 v14, v14, 0, 0
	v_cmp_eq_u16_sdwa s[10:11], v16, v43 src0_sel:BYTE_0 src1_sel:DWORD
	s_and_saveexec_b64 s[8:9], s[10:11]
	s_cbranch_execz .LBB253_47
; %bb.50:                               ;   in Loop: Header=BB253_48 Depth=1
	s_mov_b64 s[10:11], 0
.LBB253_51:                             ;   Parent Loop BB253_48 Depth=1
                                        ; =>  This Inner Loop Header: Depth=2
	;;#ASMSTART
	global_load_dwordx4 v[14:17], v[46:47] off glc	
s_waitcnt vmcnt(0)
	;;#ASMEND
	v_cmp_ne_u16_sdwa s[48:49], v16, v43 src0_sel:BYTE_0 src1_sel:DWORD
	s_or_b64 s[10:11], s[48:49], s[10:11]
	s_andn2_b64 exec, exec, s[10:11]
	s_cbranch_execnz .LBB253_51
; %bb.52:                               ;   in Loop: Header=BB253_48 Depth=1
	s_or_b64 exec, exec, s[10:11]
	s_branch .LBB253_47
.LBB253_53:                             ;   in Loop: Header=BB253_48 Depth=1
                                        ; implicit-def: $vgpr14_vgpr15
                                        ; implicit-def: $vgpr16
	s_cbranch_execz .LBB253_48
; %bb.54:
	s_and_saveexec_b64 s[8:9], s[12:13]
	s_cbranch_execz .LBB253_56
; %bb.55:
	s_add_i32 s6, s6, 64
	s_mov_b32 s7, 0
	s_lshl_b64 s[6:7], s[6:7], 4
	s_add_u32 s6, s46, s6
	v_add_co_u32_e32 v14, vcc, v12, v10
	s_addc_u32 s7, s47, s7
	v_addc_co_u32_e32 v15, vcc, v13, v11, vcc
	v_mov_b32_e32 v16, 2
	v_mov_b32_e32 v17, 0
	v_pk_mov_b32 v[42:43], s[6:7], s[6:7] op_sel:[0,1]
	;;#ASMSTART
	global_store_dwordx4 v[42:43], v[14:17] off	
s_waitcnt vmcnt(0)
	;;#ASMEND
	ds_write_b128 v17, v[10:13] offset:20480
.LBB253_56:
	s_or_b64 exec, exec, s[8:9]
	v_cmp_eq_u32_e32 vcc, 0, v0
	s_and_b64 exec, exec, vcc
	s_cbranch_execz .LBB253_58
; %bb.57:
	v_mov_b32_e32 v10, 0
	ds_write_b64 v10, v[12:13] offset:56
.LBB253_58:
	s_or_b64 exec, exec, s[14:15]
	v_mov_b32_e32 v13, 0
	s_waitcnt lgkmcnt(0)
	s_barrier
	ds_read_b64 v[10:11], v13 offset:56
	v_cndmask_b32_e64 v1, v1, v40, s[12:13]
	v_cmp_ne_u32_e32 vcc, 0, v0
	v_cndmask_b32_e64 v12, v29, v41, s[12:13]
	v_cndmask_b32_e32 v1, 0, v1, vcc
	v_cndmask_b32_e32 v12, 0, v12, vcc
	s_waitcnt lgkmcnt(0)
	v_add_co_u32_e32 v54, vcc, v10, v1
	v_addc_co_u32_e32 v55, vcc, v11, v12, vcc
	v_add_co_u32_e32 v52, vcc, v54, v36
	v_addc_co_u32_e32 v53, vcc, 0, v55, vcc
	;; [unrolled: 2-line block ×7, first 2 shown]
	v_add_co_u32_e32 v40, vcc, v42, v24
	s_barrier
	ds_read_b128 v[10:13], v13 offset:20480
	v_addc_co_u32_e32 v41, vcc, 0, v43, vcc
	v_add_co_u32_e32 v14, vcc, v40, v22
	v_addc_co_u32_e32 v15, vcc, 0, v41, vcc
	v_add_co_u32_e32 v16, vcc, v14, v20
	v_addc_co_u32_e32 v17, vcc, 0, v15, vcc
	s_waitcnt lgkmcnt(0)
	v_readfirstlane_b32 s9, v13
	v_readfirstlane_b32 s8, v12
	s_load_dwordx2 s[6:7], s[4:5], 0x28
	s_branch .LBB253_73
.LBB253_59:
                                        ; implicit-def: $sgpr8_sgpr9
                                        ; implicit-def: $vgpr10_vgpr11
                                        ; implicit-def: $vgpr16_vgpr17
                                        ; implicit-def: $vgpr14_vgpr15
                                        ; implicit-def: $vgpr40_vgpr41
                                        ; implicit-def: $vgpr42_vgpr43
                                        ; implicit-def: $vgpr44_vgpr45
                                        ; implicit-def: $vgpr46_vgpr47
                                        ; implicit-def: $vgpr48_vgpr49
                                        ; implicit-def: $vgpr50_vgpr51
                                        ; implicit-def: $vgpr52_vgpr53
                                        ; implicit-def: $vgpr54_vgpr55
	s_load_dwordx2 s[6:7], s[4:5], 0x28
	s_cbranch_execz .LBB253_73
; %bb.60:
	v_mov_b32_dpp v1, v38 row_shr:1 row_mask:0xf bank_mask:0xf
	v_add_co_u32_e32 v1, vcc, v38, v1
	v_mov_b32_e32 v10, 0
	v_addc_co_u32_e32 v11, vcc, 0, v39, vcc
	s_nop 0
	v_mov_b32_dpp v10, v10 row_shr:1 row_mask:0xf bank_mask:0xf
	v_add_co_u32_e32 v12, vcc, 0, v1
	v_addc_co_u32_e32 v10, vcc, v10, v11, vcc
	v_cndmask_b32_e64 v1, v1, v38, s[2:3]
	v_cndmask_b32_e64 v11, v10, 0, s[2:3]
	;; [unrolled: 1-line block ×3, first 2 shown]
	v_mov_b32_dpp v13, v1 row_shr:2 row_mask:0xf bank_mask:0xf
	v_cndmask_b32_e64 v10, v10, v39, s[2:3]
	v_mov_b32_dpp v14, v11 row_shr:2 row_mask:0xf bank_mask:0xf
	v_add_co_u32_e32 v13, vcc, v13, v12
	v_addc_co_u32_e32 v14, vcc, v14, v10, vcc
	v_cndmask_b32_e64 v1, v1, v13, s[0:1]
	v_cndmask_b32_e64 v11, v11, v14, s[0:1]
	;; [unrolled: 1-line block ×3, first 2 shown]
	v_mov_b32_dpp v13, v1 row_shr:4 row_mask:0xf bank_mask:0xf
	v_cndmask_b32_e64 v10, v10, v14, s[0:1]
	v_mov_b32_dpp v14, v11 row_shr:4 row_mask:0xf bank_mask:0xf
	v_add_co_u32_e32 v13, vcc, v13, v12
	v_addc_co_u32_e32 v14, vcc, v14, v10, vcc
	v_cmp_lt_u32_e32 vcc, 3, v27
	v_cndmask_b32_e32 v1, v1, v13, vcc
	v_cndmask_b32_e32 v11, v11, v14, vcc
	;; [unrolled: 1-line block ×3, first 2 shown]
	v_mov_b32_dpp v13, v1 row_shr:8 row_mask:0xf bank_mask:0xf
	v_cndmask_b32_e32 v10, v10, v14, vcc
	v_mov_b32_dpp v14, v11 row_shr:8 row_mask:0xf bank_mask:0xf
	v_add_co_u32_e32 v13, vcc, v13, v12
	v_addc_co_u32_e32 v14, vcc, v14, v10, vcc
	v_cmp_lt_u32_e32 vcc, 7, v27
	v_cndmask_b32_e32 v16, v1, v13, vcc
	v_cndmask_b32_e32 v15, v11, v14, vcc
	;; [unrolled: 1-line block ×4, first 2 shown]
	v_mov_b32_dpp v11, v16 row_bcast:15 row_mask:0xf bank_mask:0xf
	v_mov_b32_dpp v12, v15 row_bcast:15 row_mask:0xf bank_mask:0xf
	v_add_co_u32_e32 v11, vcc, v11, v10
	v_addc_co_u32_e32 v12, vcc, v12, v1, vcc
	v_cmp_eq_u32_e64 s[0:1], 0, v25
	v_cndmask_b32_e64 v14, v12, v15, s[0:1]
	v_cndmask_b32_e64 v13, v11, v16, s[0:1]
	v_cmp_eq_u32_e32 vcc, 0, v23
	v_mov_b32_dpp v14, v14 row_bcast:31 row_mask:0xf bank_mask:0xf
	v_mov_b32_dpp v13, v13 row_bcast:31 row_mask:0xf bank_mask:0xf
	v_cmp_ne_u32_e64 s[2:3], 0, v23
	s_and_saveexec_b64 s[4:5], s[2:3]
; %bb.61:
	v_cndmask_b32_e64 v1, v12, v1, s[0:1]
	v_cndmask_b32_e64 v10, v11, v10, s[0:1]
	v_cmp_lt_u32_e64 s[0:1], 31, v23
	v_cndmask_b32_e64 v12, 0, v13, s[0:1]
	v_cndmask_b32_e64 v11, 0, v14, s[0:1]
	v_add_co_u32_e64 v38, s[0:1], v12, v10
	v_addc_co_u32_e64 v39, s[0:1], v11, v1, s[0:1]
; %bb.62:
	s_or_b64 exec, exec, s[4:5]
	v_or_b32_e32 v10, 63, v0
	v_lshrrev_b32_e32 v1, 6, v0
	v_cmp_eq_u32_e64 s[0:1], v10, v0
	s_and_saveexec_b64 s[2:3], s[0:1]
	s_cbranch_execz .LBB253_64
; %bb.63:
	v_lshlrev_b32_e32 v10, 3, v1
	ds_write_b64 v10, v[38:39]
.LBB253_64:
	s_or_b64 exec, exec, s[2:3]
	v_cmp_gt_u32_e64 s[0:1], 8, v0
	s_waitcnt lgkmcnt(0)
	s_barrier
	s_and_saveexec_b64 s[4:5], s[0:1]
	s_cbranch_execz .LBB253_68
; %bb.65:
	v_lshlrev_b32_e32 v12, 5, v0
	v_sub_u32_e32 v10, v21, v12
	ds_read_b64 v[10:11], v10
	v_and_b32_e32 v13, 7, v23
	v_sub_u32_e32 v12, 0, v12
	v_cmp_ne_u32_e64 s[2:3], 0, v13
	s_waitcnt lgkmcnt(0)
	v_mov_b32_dpp v14, v10 row_shr:1 row_mask:0xf bank_mask:0xf
	v_add_co_u32_e64 v16, s[0:1], v10, v14
	v_addc_co_u32_e64 v17, s[0:1], 0, v11, s[0:1]
	v_mov_b32_dpp v15, v11 row_shr:1 row_mask:0xf bank_mask:0xf
	v_add_co_u32_e64 v14, s[0:1], 0, v16
	v_addc_co_u32_e64 v15, s[0:1], v15, v17, s[0:1]
	v_cmp_eq_u32_e64 s[0:1], 0, v13
	v_cndmask_b32_e64 v25, v16, v10, s[0:1]
	v_cndmask_b32_e64 v27, v15, v11, s[0:1]
	;; [unrolled: 1-line block ×3, first 2 shown]
	v_mov_b32_dpp v17, v25 row_shr:2 row_mask:0xf bank_mask:0xf
	v_mov_b32_dpp v29, v27 row_shr:2 row_mask:0xf bank_mask:0xf
	v_add_co_u32_e64 v16, s[0:1], v17, v16
	v_addc_co_u32_e64 v17, s[0:1], v29, v27, s[0:1]
	v_cmp_lt_u32_e64 s[0:1], 1, v13
	v_cndmask_b32_e64 v27, v27, v17, s[0:1]
	v_cndmask_b32_e64 v25, v25, v16, s[0:1]
                                        ; kill: def $vgpr29 killed $sgpr0 killed $exec
	s_nop 0
	v_mov_b32_dpp v27, v27 row_shr:4 row_mask:0xf bank_mask:0xf
	v_mov_b32_dpp v25, v25 row_shr:4 row_mask:0xf bank_mask:0xf
	s_and_saveexec_b64 s[8:9], s[2:3]
; %bb.66:
	v_cndmask_b32_e64 v11, v15, v17, s[0:1]
	v_cndmask_b32_e64 v10, v14, v16, s[0:1]
	v_cmp_lt_u32_e64 s[0:1], 3, v13
	v_cndmask_b32_e64 v14, 0, v25, s[0:1]
	v_cndmask_b32_e64 v13, 0, v27, s[0:1]
	v_add_co_u32_e64 v10, s[0:1], v14, v10
	v_addc_co_u32_e64 v11, s[0:1], v13, v11, s[0:1]
; %bb.67:
	s_or_b64 exec, exec, s[8:9]
	v_add_u32_e32 v12, v21, v12
	ds_write_b64 v12, v[10:11]
.LBB253_68:
	s_or_b64 exec, exec, s[4:5]
	v_cmp_lt_u32_e64 s[0:1], 63, v0
	v_pk_mov_b32 v[14:15], 0, 0
	s_waitcnt lgkmcnt(0)
	s_barrier
	s_and_saveexec_b64 s[2:3], s[0:1]
	s_cbranch_execz .LBB253_70
; %bb.69:
	v_lshl_add_u32 v1, v1, 3, -8
	ds_read_b64 v[14:15], v1
.LBB253_70:
	s_or_b64 exec, exec, s[2:3]
	s_waitcnt lgkmcnt(0)
	v_add_co_u32_e64 v1, s[0:1], v14, v38
	v_addc_co_u32_e64 v10, s[0:1], v15, v39, s[0:1]
	v_add_u32_e32 v11, -1, v23
	v_and_b32_e32 v12, 64, v23
	v_cmp_lt_i32_e64 s[0:1], v11, v12
	v_cndmask_b32_e64 v11, v11, v23, s[0:1]
	v_lshlrev_b32_e32 v11, 2, v11
	v_mov_b32_e32 v13, 0
	ds_bpermute_b32 v1, v11, v1
	ds_bpermute_b32 v16, v11, v10
	ds_read_b64 v[10:11], v13 offset:56
	v_cmp_eq_u32_e64 s[0:1], 0, v0
	s_and_saveexec_b64 s[2:3], s[0:1]
	s_cbranch_execz .LBB253_72
; %bb.71:
	s_add_u32 s4, s46, 0x400
	s_addc_u32 s5, s47, 0
	v_mov_b32_e32 v12, 2
	v_pk_mov_b32 v[38:39], s[4:5], s[4:5] op_sel:[0,1]
	s_waitcnt lgkmcnt(0)
	;;#ASMSTART
	global_store_dwordx4 v[38:39], v[10:13] off	
s_waitcnt vmcnt(0)
	;;#ASMEND
.LBB253_72:
	s_or_b64 exec, exec, s[2:3]
	s_waitcnt lgkmcnt(2)
	v_cndmask_b32_e32 v1, v1, v14, vcc
	s_waitcnt lgkmcnt(1)
	v_cndmask_b32_e32 v12, v16, v15, vcc
	v_cndmask_b32_e64 v54, v1, 0, s[0:1]
	v_cndmask_b32_e64 v55, v12, 0, s[0:1]
	v_add_co_u32_e32 v52, vcc, v54, v36
	v_addc_co_u32_e32 v53, vcc, 0, v55, vcc
	v_add_co_u32_e32 v50, vcc, v52, v34
	v_addc_co_u32_e32 v51, vcc, 0, v53, vcc
	;; [unrolled: 2-line block ×9, first 2 shown]
	s_waitcnt lgkmcnt(0)
	s_barrier
	s_mov_b64 s[8:9], 0
.LBB253_73:
	s_mov_b64 s[0:1], 0x201
	v_cmp_gt_u64_e32 vcc, s[0:1], v[10:11]
	s_mov_b64 s[0:1], -1
	s_cbranch_vccnz .LBB253_77
; %bb.74:
	s_and_b64 vcc, exec, s[0:1]
	s_cbranch_vccnz .LBB253_98
.LBB253_75:
	v_cmp_eq_u32_e32 vcc, 0, v0
	s_and_b64 s[0:1], vcc, s[28:29]
	s_and_saveexec_b64 s[2:3], s[0:1]
	s_cbranch_execnz .LBB253_120
.LBB253_76:
	s_endpgm
.LBB253_77:
	v_mov_b32_e32 v1, s9
	v_add_co_u32_e32 v12, vcc, s8, v10
	v_addc_co_u32_e32 v13, vcc, v1, v11, vcc
	s_lshl_b64 s[0:1], s[26:27], 2
	s_waitcnt lgkmcnt(0)
	s_add_u32 s2, s6, s0
	v_cmp_ge_u64_e32 vcc, v[54:55], v[12:13]
	s_addc_u32 s3, s7, s1
	s_and_b64 s[0:1], s[30:31], vcc
	s_xor_b64 s[4:5], s[44:45], -1
	s_or_b64 s[0:1], s[0:1], s[4:5]
	s_xor_b64 s[4:5], s[0:1], -1
	s_and_saveexec_b64 s[0:1], s[4:5]
	s_cbranch_execz .LBB253_79
; %bb.78:
	v_lshlrev_b64 v[20:21], 2, v[54:55]
	v_mov_b32_e32 v1, s3
	v_add_co_u32_e32 v20, vcc, s2, v20
	v_addc_co_u32_e32 v21, vcc, v1, v21, vcc
	global_store_dword v[20:21], v6, off
.LBB253_79:
	s_or_b64 exec, exec, s[0:1]
	v_cmp_ge_u64_e32 vcc, v[52:53], v[12:13]
	s_and_b64 s[0:1], s[30:31], vcc
	s_xor_b64 s[4:5], s[42:43], -1
	s_or_b64 s[0:1], s[0:1], s[4:5]
	s_xor_b64 s[4:5], s[0:1], -1
	s_and_saveexec_b64 s[0:1], s[4:5]
	s_cbranch_execz .LBB253_81
; %bb.80:
	v_lshlrev_b64 v[20:21], 2, v[52:53]
	v_mov_b32_e32 v1, s3
	v_add_co_u32_e32 v20, vcc, s2, v20
	v_addc_co_u32_e32 v21, vcc, v1, v21, vcc
	global_store_dword v[20:21], v7, off
.LBB253_81:
	s_or_b64 exec, exec, s[0:1]
	v_cmp_ge_u64_e32 vcc, v[50:51], v[12:13]
	s_and_b64 s[0:1], s[30:31], vcc
	s_xor_b64 s[4:5], s[22:23], -1
	s_or_b64 s[0:1], s[0:1], s[4:5]
	s_xor_b64 s[4:5], s[0:1], -1
	s_and_saveexec_b64 s[0:1], s[4:5]
	s_cbranch_execz .LBB253_83
; %bb.82:
	v_lshlrev_b64 v[20:21], 2, v[50:51]
	v_mov_b32_e32 v1, s3
	v_add_co_u32_e32 v20, vcc, s2, v20
	v_addc_co_u32_e32 v21, vcc, v1, v21, vcc
	global_store_dword v[20:21], v8, off
.LBB253_83:
	s_or_b64 exec, exec, s[0:1]
	v_cmp_ge_u64_e32 vcc, v[48:49], v[12:13]
	s_and_b64 s[0:1], s[30:31], vcc
	s_xor_b64 s[4:5], s[40:41], -1
	s_or_b64 s[0:1], s[0:1], s[4:5]
	s_xor_b64 s[4:5], s[0:1], -1
	s_and_saveexec_b64 s[0:1], s[4:5]
	s_cbranch_execz .LBB253_85
; %bb.84:
	v_lshlrev_b64 v[20:21], 2, v[48:49]
	v_mov_b32_e32 v1, s3
	v_add_co_u32_e32 v20, vcc, s2, v20
	v_addc_co_u32_e32 v21, vcc, v1, v21, vcc
	global_store_dword v[20:21], v9, off
.LBB253_85:
	s_or_b64 exec, exec, s[0:1]
	v_cmp_ge_u64_e32 vcc, v[46:47], v[12:13]
	s_and_b64 s[0:1], s[30:31], vcc
	s_xor_b64 s[4:5], s[38:39], -1
	s_or_b64 s[0:1], s[0:1], s[4:5]
	s_xor_b64 s[4:5], s[0:1], -1
	s_and_saveexec_b64 s[0:1], s[4:5]
	s_cbranch_execz .LBB253_87
; %bb.86:
	v_lshlrev_b64 v[20:21], 2, v[46:47]
	v_mov_b32_e32 v1, s3
	v_add_co_u32_e32 v20, vcc, s2, v20
	v_addc_co_u32_e32 v21, vcc, v1, v21, vcc
	global_store_dword v[20:21], v2, off
.LBB253_87:
	s_or_b64 exec, exec, s[0:1]
	v_cmp_ge_u64_e32 vcc, v[44:45], v[12:13]
	s_and_b64 s[0:1], s[30:31], vcc
	s_xor_b64 s[4:5], s[36:37], -1
	s_or_b64 s[0:1], s[0:1], s[4:5]
	s_xor_b64 s[4:5], s[0:1], -1
	s_and_saveexec_b64 s[0:1], s[4:5]
	s_cbranch_execz .LBB253_89
; %bb.88:
	v_lshlrev_b64 v[20:21], 2, v[44:45]
	v_mov_b32_e32 v1, s3
	v_add_co_u32_e32 v20, vcc, s2, v20
	v_addc_co_u32_e32 v21, vcc, v1, v21, vcc
	global_store_dword v[20:21], v3, off
.LBB253_89:
	s_or_b64 exec, exec, s[0:1]
	v_cmp_ge_u64_e32 vcc, v[42:43], v[12:13]
	s_and_b64 s[0:1], s[30:31], vcc
	s_xor_b64 s[4:5], s[34:35], -1
	s_or_b64 s[0:1], s[0:1], s[4:5]
	s_xor_b64 s[4:5], s[0:1], -1
	s_and_saveexec_b64 s[0:1], s[4:5]
	s_cbranch_execz .LBB253_91
; %bb.90:
	v_lshlrev_b64 v[20:21], 2, v[42:43]
	v_mov_b32_e32 v1, s3
	v_add_co_u32_e32 v20, vcc, s2, v20
	v_addc_co_u32_e32 v21, vcc, v1, v21, vcc
	global_store_dword v[20:21], v4, off
.LBB253_91:
	s_or_b64 exec, exec, s[0:1]
	v_cmp_ge_u64_e32 vcc, v[40:41], v[12:13]
	s_and_b64 s[0:1], s[30:31], vcc
	s_xor_b64 s[4:5], s[16:17], -1
	s_or_b64 s[0:1], s[0:1], s[4:5]
	s_xor_b64 s[4:5], s[0:1], -1
	s_and_saveexec_b64 s[0:1], s[4:5]
	s_cbranch_execz .LBB253_93
; %bb.92:
	v_lshlrev_b64 v[20:21], 2, v[40:41]
	v_mov_b32_e32 v1, s3
	v_add_co_u32_e32 v20, vcc, s2, v20
	v_addc_co_u32_e32 v21, vcc, v1, v21, vcc
	global_store_dword v[20:21], v5, off
.LBB253_93:
	s_or_b64 exec, exec, s[0:1]
	v_cmp_ge_u64_e32 vcc, v[14:15], v[12:13]
	s_and_b64 s[0:1], s[30:31], vcc
	s_xor_b64 s[4:5], s[18:19], -1
	s_or_b64 s[0:1], s[0:1], s[4:5]
	s_xor_b64 s[4:5], s[0:1], -1
	s_and_saveexec_b64 s[0:1], s[4:5]
	s_cbranch_execz .LBB253_95
; %bb.94:
	v_lshlrev_b64 v[20:21], 2, v[14:15]
	v_mov_b32_e32 v1, s3
	v_add_co_u32_e32 v20, vcc, s2, v20
	v_addc_co_u32_e32 v21, vcc, v1, v21, vcc
	global_store_dword v[20:21], v18, off
.LBB253_95:
	s_or_b64 exec, exec, s[0:1]
	v_cmp_ge_u64_e32 vcc, v[16:17], v[12:13]
	s_and_b64 s[0:1], s[30:31], vcc
	s_xor_b64 s[4:5], s[20:21], -1
	s_or_b64 s[0:1], s[0:1], s[4:5]
	s_xor_b64 s[4:5], s[0:1], -1
	s_and_saveexec_b64 s[0:1], s[4:5]
	s_cbranch_execz .LBB253_97
; %bb.96:
	v_lshlrev_b64 v[12:13], 2, v[16:17]
	v_mov_b32_e32 v1, s3
	v_add_co_u32_e32 v12, vcc, s2, v12
	v_addc_co_u32_e32 v13, vcc, v1, v13, vcc
	global_store_dword v[12:13], v19, off
.LBB253_97:
	s_or_b64 exec, exec, s[0:1]
	s_branch .LBB253_75
.LBB253_98:
	s_and_saveexec_b64 s[0:1], s[44:45]
	s_cbranch_execnz .LBB253_121
; %bb.99:
	s_or_b64 exec, exec, s[0:1]
	s_and_saveexec_b64 s[0:1], s[42:43]
	s_cbranch_execnz .LBB253_122
.LBB253_100:
	s_or_b64 exec, exec, s[0:1]
	s_and_saveexec_b64 s[0:1], s[22:23]
	s_cbranch_execnz .LBB253_123
.LBB253_101:
	s_or_b64 exec, exec, s[0:1]
	s_and_saveexec_b64 s[0:1], s[40:41]
	s_cbranch_execnz .LBB253_124
.LBB253_102:
	s_or_b64 exec, exec, s[0:1]
	s_and_saveexec_b64 s[0:1], s[38:39]
	s_cbranch_execnz .LBB253_125
.LBB253_103:
	s_or_b64 exec, exec, s[0:1]
	s_and_saveexec_b64 s[0:1], s[36:37]
	s_cbranch_execnz .LBB253_126
.LBB253_104:
	s_or_b64 exec, exec, s[0:1]
	s_and_saveexec_b64 s[0:1], s[34:35]
	s_cbranch_execnz .LBB253_127
.LBB253_105:
	s_or_b64 exec, exec, s[0:1]
	s_and_saveexec_b64 s[0:1], s[16:17]
	s_cbranch_execnz .LBB253_128
.LBB253_106:
	s_or_b64 exec, exec, s[0:1]
	s_and_saveexec_b64 s[0:1], s[18:19]
	s_cbranch_execnz .LBB253_129
.LBB253_107:
	s_or_b64 exec, exec, s[0:1]
	s_and_saveexec_b64 s[0:1], s[20:21]
	s_cbranch_execz .LBB253_109
.LBB253_108:
	v_subrev_u32_e32 v1, s8, v16
	v_lshlrev_b32_e32 v1, 2, v1
	ds_write_b32 v1, v19
.LBB253_109:
	s_or_b64 exec, exec, s[0:1]
	v_mov_b32_e32 v1, 0
	v_cmp_gt_u64_e32 vcc, v[10:11], v[0:1]
	s_waitcnt lgkmcnt(0)
	s_barrier
	s_and_saveexec_b64 s[10:11], vcc
	s_cbranch_execz .LBB253_119
; %bb.110:
	v_not_b32_e32 v3, v0
	v_not_b32_e32 v2, 0
	v_add_co_u32_e32 v4, vcc, v10, v3
	v_addc_co_u32_e32 v5, vcc, v11, v2, vcc
	s_mov_b64 s[0:1], 0x5e00
	s_mov_b64 s[2:3], 0x5dff
	v_cmp_gt_u64_e64 s[0:1], s[0:1], v[4:5]
	v_cmp_lt_u64_e32 vcc, s[2:3], v[4:5]
	v_mov_b32_e32 v12, v0
	v_pk_mov_b32 v[2:3], v[0:1], v[0:1] op_sel:[0,1]
	s_and_saveexec_b64 s[12:13], vcc
	s_cbranch_execz .LBB253_116
; %bb.111:
	v_alignbit_b32 v2, v5, v4, 9
	s_mov_b32 s2, 0x7fffff
	s_mov_b32 s4, -1
	v_lshlrev_b32_e32 v3, 9, v2
	v_cmp_lt_u32_e32 vcc, s2, v2
	v_not_b32_e32 v2, v0
	s_movk_i32 s5, 0x1ff
	v_cmp_gt_u32_e64 s[2:3], v3, v2
	v_xor_b32_e32 v2, 0xfffffdff, v0
	v_cmp_lt_u64_e64 s[4:5], s[4:5], v[4:5]
	s_or_b64 s[14:15], s[2:3], vcc
	v_cmp_lt_u32_e64 s[2:3], v2, v3
	s_or_b64 s[4:5], vcc, s[4:5]
	s_or_b64 s[2:3], s[4:5], s[2:3]
	s_or_b64 s[4:5], s[14:15], s[2:3]
	s_mov_b64 s[2:3], -1
	s_xor_b64 s[14:15], s[4:5], -1
	v_mov_b32_e32 v12, v0
	v_pk_mov_b32 v[2:3], v[0:1], v[0:1] op_sel:[0,1]
	s_and_saveexec_b64 s[4:5], s[14:15]
	s_cbranch_execz .LBB253_115
; %bb.112:
	s_lshl_b64 s[2:3], s[8:9], 2
	s_lshl_b64 s[14:15], s[26:27], 2
	s_add_u32 s2, s2, s14
	v_lshrrev_b64 v[2:3], 9, v[4:5]
	s_addc_u32 s3, s3, s15
	v_add_co_u32_e32 v6, vcc, 1, v2
	s_add_u32 s2, s6, s2
	v_addc_co_u32_e32 v7, vcc, 0, v3, vcc
	v_lshlrev_b32_e32 v4, 2, v0
	s_addc_u32 s3, s7, s3
	v_mov_b32_e32 v5, s3
	v_add_co_u32_e32 v4, vcc, s2, v4
	v_addc_co_u32_e32 v5, vcc, 0, v5, vcc
	s_movk_i32 s2, 0x800
	v_or_b32_e32 v2, 0x200, v0
	v_mov_b32_e32 v3, v1
	v_add_co_u32_e32 v12, vcc, s2, v4
	v_and_b32_e32 v8, -2, v6
	v_mov_b32_e32 v9, v7
	v_addc_co_u32_e32 v13, vcc, 0, v5, vcc
	v_pk_mov_b32 v[4:5], v[2:3], v[2:3] op_sel:[0,1]
	s_mov_b64 s[14:15], 0
	v_pk_mov_b32 v[14:15], v[8:9], v[8:9] op_sel:[0,1]
	v_pk_mov_b32 v[2:3], v[0:1], v[0:1] op_sel:[0,1]
.LBB253_113:                            ; =>This Inner Loop Header: Depth=1
	v_lshlrev_b32_e32 v1, 2, v2
	v_lshlrev_b32_e32 v16, 2, v4
	ds_read_b32 v1, v1
	ds_read_b32 v16, v16
	v_add_co_u32_e32 v4, vcc, 0x400, v4
	v_addc_co_u32_e32 v5, vcc, 0, v5, vcc
	v_add_co_u32_e64 v14, s[2:3], -2, v14
	v_add_co_u32_e32 v2, vcc, 0x400, v2
	v_addc_co_u32_e64 v15, s[2:3], -1, v15, s[2:3]
	v_addc_co_u32_e32 v3, vcc, 0, v3, vcc
	v_cmp_eq_u64_e64 s[2:3], 0, v[14:15]
	s_waitcnt lgkmcnt(1)
	global_store_dword v[12:13], v1, off offset:-2048
	s_waitcnt lgkmcnt(0)
	global_store_dword v[12:13], v16, off
	v_add_co_u32_e32 v12, vcc, 0x1000, v12
	s_or_b64 s[14:15], s[2:3], s[14:15]
	v_addc_co_u32_e32 v13, vcc, 0, v13, vcc
	s_andn2_b64 exec, exec, s[14:15]
	s_cbranch_execnz .LBB253_113
; %bb.114:
	s_or_b64 exec, exec, s[14:15]
	v_lshlrev_b64 v[2:3], 9, v[8:9]
	v_cmp_ne_u64_e32 vcc, v[6:7], v[8:9]
	v_or_b32_e32 v3, 0, v3
	v_or_b32_e32 v2, v2, v0
	v_lshl_or_b32 v12, v8, 9, v0
	s_orn2_b64 s[2:3], vcc, exec
.LBB253_115:
	s_or_b64 exec, exec, s[4:5]
	s_andn2_b64 s[0:1], s[0:1], exec
	s_and_b64 s[2:3], s[2:3], exec
	s_or_b64 s[0:1], s[0:1], s[2:3]
.LBB253_116:
	s_or_b64 exec, exec, s[12:13]
	s_and_b64 exec, exec, s[0:1]
	s_cbranch_execz .LBB253_119
; %bb.117:
	s_lshl_b64 s[0:1], s[8:9], 2
	s_add_u32 s2, s6, s0
	s_addc_u32 s3, s7, s1
	s_lshl_b64 s[0:1], s[26:27], 2
	s_add_u32 s4, s2, s0
	s_addc_u32 s0, s3, s1
	v_add_u32_e32 v4, 0x200, v12
	s_mov_b64 s[2:3], 0
	v_mov_b32_e32 v1, s0
	v_mov_b32_e32 v5, 0
.LBB253_118:                            ; =>This Inner Loop Header: Depth=1
	v_lshlrev_b32_e32 v8, 2, v2
	ds_read_b32 v8, v8
	v_lshlrev_b64 v[6:7], 2, v[2:3]
	v_cmp_le_u64_e32 vcc, v[10:11], v[4:5]
	v_add_co_u32_e64 v6, s[0:1], s4, v6
	v_pk_mov_b32 v[2:3], v[4:5], v[4:5] op_sel:[0,1]
	v_add_u32_e32 v4, 0x200, v4
	v_addc_co_u32_e64 v7, s[0:1], v1, v7, s[0:1]
	s_or_b64 s[2:3], vcc, s[2:3]
	s_waitcnt lgkmcnt(0)
	global_store_dword v[6:7], v8, off
	s_andn2_b64 exec, exec, s[2:3]
	s_cbranch_execnz .LBB253_118
.LBB253_119:
	s_or_b64 exec, exec, s[10:11]
	v_cmp_eq_u32_e32 vcc, 0, v0
	s_and_b64 s[0:1], vcc, s[28:29]
	s_and_saveexec_b64 s[2:3], s[0:1]
	s_cbranch_execz .LBB253_76
.LBB253_120:
	v_mov_b32_e32 v0, s9
	v_add_co_u32_e32 v1, vcc, s8, v10
	v_addc_co_u32_e32 v3, vcc, v0, v11, vcc
	v_mov_b32_e32 v4, s27
	v_add_co_u32_e32 v0, vcc, s26, v1
	v_mov_b32_e32 v2, 0
	v_addc_co_u32_e32 v1, vcc, v3, v4, vcc
	global_store_dwordx2 v2, v[0:1], s[24:25]
	s_endpgm
.LBB253_121:
	v_subrev_u32_e32 v1, s8, v54
	v_lshlrev_b32_e32 v1, 2, v1
	ds_write_b32 v1, v6
	s_or_b64 exec, exec, s[0:1]
	s_and_saveexec_b64 s[0:1], s[42:43]
	s_cbranch_execz .LBB253_100
.LBB253_122:
	v_subrev_u32_e32 v1, s8, v52
	v_lshlrev_b32_e32 v1, 2, v1
	ds_write_b32 v1, v7
	s_or_b64 exec, exec, s[0:1]
	s_and_saveexec_b64 s[0:1], s[22:23]
	s_cbranch_execz .LBB253_101
.LBB253_123:
	v_subrev_u32_e32 v1, s8, v50
	v_lshlrev_b32_e32 v1, 2, v1
	ds_write_b32 v1, v8
	s_or_b64 exec, exec, s[0:1]
	s_and_saveexec_b64 s[0:1], s[40:41]
	s_cbranch_execz .LBB253_102
.LBB253_124:
	v_subrev_u32_e32 v1, s8, v48
	v_lshlrev_b32_e32 v1, 2, v1
	ds_write_b32 v1, v9
	s_or_b64 exec, exec, s[0:1]
	s_and_saveexec_b64 s[0:1], s[38:39]
	s_cbranch_execz .LBB253_103
.LBB253_125:
	v_subrev_u32_e32 v1, s8, v46
	v_lshlrev_b32_e32 v1, 2, v1
	ds_write_b32 v1, v2
	s_or_b64 exec, exec, s[0:1]
	s_and_saveexec_b64 s[0:1], s[36:37]
	s_cbranch_execz .LBB253_104
.LBB253_126:
	v_subrev_u32_e32 v1, s8, v44
	v_lshlrev_b32_e32 v1, 2, v1
	ds_write_b32 v1, v3
	s_or_b64 exec, exec, s[0:1]
	s_and_saveexec_b64 s[0:1], s[34:35]
	s_cbranch_execz .LBB253_105
.LBB253_127:
	v_subrev_u32_e32 v1, s8, v42
	v_lshlrev_b32_e32 v1, 2, v1
	ds_write_b32 v1, v4
	s_or_b64 exec, exec, s[0:1]
	s_and_saveexec_b64 s[0:1], s[16:17]
	s_cbranch_execz .LBB253_106
.LBB253_128:
	v_subrev_u32_e32 v1, s8, v40
	v_lshlrev_b32_e32 v1, 2, v1
	ds_write_b32 v1, v5
	s_or_b64 exec, exec, s[0:1]
	s_and_saveexec_b64 s[0:1], s[18:19]
	s_cbranch_execz .LBB253_107
.LBB253_129:
	v_subrev_u32_e32 v1, s8, v14
	v_lshlrev_b32_e32 v1, 2, v1
	ds_write_b32 v1, v18
	s_or_b64 exec, exec, s[0:1]
	s_and_saveexec_b64 s[0:1], s[20:21]
	s_cbranch_execnz .LBB253_108
	s_branch .LBB253_109
	.section	.rodata,"a",@progbits
	.p2align	6, 0x0
	.amdhsa_kernel _ZN7rocprim17ROCPRIM_400000_NS6detail17trampoline_kernelINS0_14default_configENS1_25partition_config_selectorILNS1_17partition_subalgoE6EiNS0_10empty_typeEbEEZZNS1_14partition_implILS5_6ELb0ES3_mPiPS6_SA_NS0_5tupleIJS9_S6_EEENSB_IJSA_SA_EEES6_PlJN6thrust23THRUST_200600_302600_NS6detail9not_fun_tINSH_10functional5actorINSJ_9compositeIJNSJ_27transparent_binary_operatorINSG_8equal_toIvEEEENSK_INSJ_8argumentILj0EEEEENSJ_5valueIiEEEEEEEEEEEE10hipError_tPvRmT3_T4_T5_T6_T7_T9_mT8_P12ihipStream_tbDpT10_ENKUlT_T0_E_clISt17integral_constantIbLb0EES1H_EEDaS1C_S1D_EUlS1C_E_NS1_11comp_targetILNS1_3genE4ELNS1_11target_archE910ELNS1_3gpuE8ELNS1_3repE0EEENS1_30default_config_static_selectorELNS0_4arch9wavefront6targetE1EEEvT1_
		.amdhsa_group_segment_fixed_size 20496
		.amdhsa_private_segment_fixed_size 0
		.amdhsa_kernarg_size 120
		.amdhsa_user_sgpr_count 6
		.amdhsa_user_sgpr_private_segment_buffer 1
		.amdhsa_user_sgpr_dispatch_ptr 0
		.amdhsa_user_sgpr_queue_ptr 0
		.amdhsa_user_sgpr_kernarg_segment_ptr 1
		.amdhsa_user_sgpr_dispatch_id 0
		.amdhsa_user_sgpr_flat_scratch_init 0
		.amdhsa_user_sgpr_kernarg_preload_length 0
		.amdhsa_user_sgpr_kernarg_preload_offset 0
		.amdhsa_user_sgpr_private_segment_size 0
		.amdhsa_uses_dynamic_stack 0
		.amdhsa_system_sgpr_private_segment_wavefront_offset 0
		.amdhsa_system_sgpr_workgroup_id_x 1
		.amdhsa_system_sgpr_workgroup_id_y 0
		.amdhsa_system_sgpr_workgroup_id_z 0
		.amdhsa_system_sgpr_workgroup_info 0
		.amdhsa_system_vgpr_workitem_id 0
		.amdhsa_next_free_vgpr 61
		.amdhsa_next_free_sgpr 56
		.amdhsa_accum_offset 64
		.amdhsa_reserve_vcc 1
		.amdhsa_reserve_flat_scratch 0
		.amdhsa_float_round_mode_32 0
		.amdhsa_float_round_mode_16_64 0
		.amdhsa_float_denorm_mode_32 3
		.amdhsa_float_denorm_mode_16_64 3
		.amdhsa_dx10_clamp 1
		.amdhsa_ieee_mode 1
		.amdhsa_fp16_overflow 0
		.amdhsa_tg_split 0
		.amdhsa_exception_fp_ieee_invalid_op 0
		.amdhsa_exception_fp_denorm_src 0
		.amdhsa_exception_fp_ieee_div_zero 0
		.amdhsa_exception_fp_ieee_overflow 0
		.amdhsa_exception_fp_ieee_underflow 0
		.amdhsa_exception_fp_ieee_inexact 0
		.amdhsa_exception_int_div_zero 0
	.end_amdhsa_kernel
	.section	.text._ZN7rocprim17ROCPRIM_400000_NS6detail17trampoline_kernelINS0_14default_configENS1_25partition_config_selectorILNS1_17partition_subalgoE6EiNS0_10empty_typeEbEEZZNS1_14partition_implILS5_6ELb0ES3_mPiPS6_SA_NS0_5tupleIJS9_S6_EEENSB_IJSA_SA_EEES6_PlJN6thrust23THRUST_200600_302600_NS6detail9not_fun_tINSH_10functional5actorINSJ_9compositeIJNSJ_27transparent_binary_operatorINSG_8equal_toIvEEEENSK_INSJ_8argumentILj0EEEEENSJ_5valueIiEEEEEEEEEEEE10hipError_tPvRmT3_T4_T5_T6_T7_T9_mT8_P12ihipStream_tbDpT10_ENKUlT_T0_E_clISt17integral_constantIbLb0EES1H_EEDaS1C_S1D_EUlS1C_E_NS1_11comp_targetILNS1_3genE4ELNS1_11target_archE910ELNS1_3gpuE8ELNS1_3repE0EEENS1_30default_config_static_selectorELNS0_4arch9wavefront6targetE1EEEvT1_,"axG",@progbits,_ZN7rocprim17ROCPRIM_400000_NS6detail17trampoline_kernelINS0_14default_configENS1_25partition_config_selectorILNS1_17partition_subalgoE6EiNS0_10empty_typeEbEEZZNS1_14partition_implILS5_6ELb0ES3_mPiPS6_SA_NS0_5tupleIJS9_S6_EEENSB_IJSA_SA_EEES6_PlJN6thrust23THRUST_200600_302600_NS6detail9not_fun_tINSH_10functional5actorINSJ_9compositeIJNSJ_27transparent_binary_operatorINSG_8equal_toIvEEEENSK_INSJ_8argumentILj0EEEEENSJ_5valueIiEEEEEEEEEEEE10hipError_tPvRmT3_T4_T5_T6_T7_T9_mT8_P12ihipStream_tbDpT10_ENKUlT_T0_E_clISt17integral_constantIbLb0EES1H_EEDaS1C_S1D_EUlS1C_E_NS1_11comp_targetILNS1_3genE4ELNS1_11target_archE910ELNS1_3gpuE8ELNS1_3repE0EEENS1_30default_config_static_selectorELNS0_4arch9wavefront6targetE1EEEvT1_,comdat
.Lfunc_end253:
	.size	_ZN7rocprim17ROCPRIM_400000_NS6detail17trampoline_kernelINS0_14default_configENS1_25partition_config_selectorILNS1_17partition_subalgoE6EiNS0_10empty_typeEbEEZZNS1_14partition_implILS5_6ELb0ES3_mPiPS6_SA_NS0_5tupleIJS9_S6_EEENSB_IJSA_SA_EEES6_PlJN6thrust23THRUST_200600_302600_NS6detail9not_fun_tINSH_10functional5actorINSJ_9compositeIJNSJ_27transparent_binary_operatorINSG_8equal_toIvEEEENSK_INSJ_8argumentILj0EEEEENSJ_5valueIiEEEEEEEEEEEE10hipError_tPvRmT3_T4_T5_T6_T7_T9_mT8_P12ihipStream_tbDpT10_ENKUlT_T0_E_clISt17integral_constantIbLb0EES1H_EEDaS1C_S1D_EUlS1C_E_NS1_11comp_targetILNS1_3genE4ELNS1_11target_archE910ELNS1_3gpuE8ELNS1_3repE0EEENS1_30default_config_static_selectorELNS0_4arch9wavefront6targetE1EEEvT1_, .Lfunc_end253-_ZN7rocprim17ROCPRIM_400000_NS6detail17trampoline_kernelINS0_14default_configENS1_25partition_config_selectorILNS1_17partition_subalgoE6EiNS0_10empty_typeEbEEZZNS1_14partition_implILS5_6ELb0ES3_mPiPS6_SA_NS0_5tupleIJS9_S6_EEENSB_IJSA_SA_EEES6_PlJN6thrust23THRUST_200600_302600_NS6detail9not_fun_tINSH_10functional5actorINSJ_9compositeIJNSJ_27transparent_binary_operatorINSG_8equal_toIvEEEENSK_INSJ_8argumentILj0EEEEENSJ_5valueIiEEEEEEEEEEEE10hipError_tPvRmT3_T4_T5_T6_T7_T9_mT8_P12ihipStream_tbDpT10_ENKUlT_T0_E_clISt17integral_constantIbLb0EES1H_EEDaS1C_S1D_EUlS1C_E_NS1_11comp_targetILNS1_3genE4ELNS1_11target_archE910ELNS1_3gpuE8ELNS1_3repE0EEENS1_30default_config_static_selectorELNS0_4arch9wavefront6targetE1EEEvT1_
                                        ; -- End function
	.section	.AMDGPU.csdata,"",@progbits
; Kernel info:
; codeLenInByte = 6920
; NumSgprs: 60
; NumVgprs: 61
; NumAgprs: 0
; TotalNumVgprs: 61
; ScratchSize: 0
; MemoryBound: 0
; FloatMode: 240
; IeeeMode: 1
; LDSByteSize: 20496 bytes/workgroup (compile time only)
; SGPRBlocks: 7
; VGPRBlocks: 7
; NumSGPRsForWavesPerEU: 60
; NumVGPRsForWavesPerEU: 61
; AccumOffset: 64
; Occupancy: 6
; WaveLimiterHint : 1
; COMPUTE_PGM_RSRC2:SCRATCH_EN: 0
; COMPUTE_PGM_RSRC2:USER_SGPR: 6
; COMPUTE_PGM_RSRC2:TRAP_HANDLER: 0
; COMPUTE_PGM_RSRC2:TGID_X_EN: 1
; COMPUTE_PGM_RSRC2:TGID_Y_EN: 0
; COMPUTE_PGM_RSRC2:TGID_Z_EN: 0
; COMPUTE_PGM_RSRC2:TIDIG_COMP_CNT: 0
; COMPUTE_PGM_RSRC3_GFX90A:ACCUM_OFFSET: 15
; COMPUTE_PGM_RSRC3_GFX90A:TG_SPLIT: 0
	.section	.text._ZN7rocprim17ROCPRIM_400000_NS6detail17trampoline_kernelINS0_14default_configENS1_25partition_config_selectorILNS1_17partition_subalgoE6EiNS0_10empty_typeEbEEZZNS1_14partition_implILS5_6ELb0ES3_mPiPS6_SA_NS0_5tupleIJS9_S6_EEENSB_IJSA_SA_EEES6_PlJN6thrust23THRUST_200600_302600_NS6detail9not_fun_tINSH_10functional5actorINSJ_9compositeIJNSJ_27transparent_binary_operatorINSG_8equal_toIvEEEENSK_INSJ_8argumentILj0EEEEENSJ_5valueIiEEEEEEEEEEEE10hipError_tPvRmT3_T4_T5_T6_T7_T9_mT8_P12ihipStream_tbDpT10_ENKUlT_T0_E_clISt17integral_constantIbLb0EES1H_EEDaS1C_S1D_EUlS1C_E_NS1_11comp_targetILNS1_3genE3ELNS1_11target_archE908ELNS1_3gpuE7ELNS1_3repE0EEENS1_30default_config_static_selectorELNS0_4arch9wavefront6targetE1EEEvT1_,"axG",@progbits,_ZN7rocprim17ROCPRIM_400000_NS6detail17trampoline_kernelINS0_14default_configENS1_25partition_config_selectorILNS1_17partition_subalgoE6EiNS0_10empty_typeEbEEZZNS1_14partition_implILS5_6ELb0ES3_mPiPS6_SA_NS0_5tupleIJS9_S6_EEENSB_IJSA_SA_EEES6_PlJN6thrust23THRUST_200600_302600_NS6detail9not_fun_tINSH_10functional5actorINSJ_9compositeIJNSJ_27transparent_binary_operatorINSG_8equal_toIvEEEENSK_INSJ_8argumentILj0EEEEENSJ_5valueIiEEEEEEEEEEEE10hipError_tPvRmT3_T4_T5_T6_T7_T9_mT8_P12ihipStream_tbDpT10_ENKUlT_T0_E_clISt17integral_constantIbLb0EES1H_EEDaS1C_S1D_EUlS1C_E_NS1_11comp_targetILNS1_3genE3ELNS1_11target_archE908ELNS1_3gpuE7ELNS1_3repE0EEENS1_30default_config_static_selectorELNS0_4arch9wavefront6targetE1EEEvT1_,comdat
	.protected	_ZN7rocprim17ROCPRIM_400000_NS6detail17trampoline_kernelINS0_14default_configENS1_25partition_config_selectorILNS1_17partition_subalgoE6EiNS0_10empty_typeEbEEZZNS1_14partition_implILS5_6ELb0ES3_mPiPS6_SA_NS0_5tupleIJS9_S6_EEENSB_IJSA_SA_EEES6_PlJN6thrust23THRUST_200600_302600_NS6detail9not_fun_tINSH_10functional5actorINSJ_9compositeIJNSJ_27transparent_binary_operatorINSG_8equal_toIvEEEENSK_INSJ_8argumentILj0EEEEENSJ_5valueIiEEEEEEEEEEEE10hipError_tPvRmT3_T4_T5_T6_T7_T9_mT8_P12ihipStream_tbDpT10_ENKUlT_T0_E_clISt17integral_constantIbLb0EES1H_EEDaS1C_S1D_EUlS1C_E_NS1_11comp_targetILNS1_3genE3ELNS1_11target_archE908ELNS1_3gpuE7ELNS1_3repE0EEENS1_30default_config_static_selectorELNS0_4arch9wavefront6targetE1EEEvT1_ ; -- Begin function _ZN7rocprim17ROCPRIM_400000_NS6detail17trampoline_kernelINS0_14default_configENS1_25partition_config_selectorILNS1_17partition_subalgoE6EiNS0_10empty_typeEbEEZZNS1_14partition_implILS5_6ELb0ES3_mPiPS6_SA_NS0_5tupleIJS9_S6_EEENSB_IJSA_SA_EEES6_PlJN6thrust23THRUST_200600_302600_NS6detail9not_fun_tINSH_10functional5actorINSJ_9compositeIJNSJ_27transparent_binary_operatorINSG_8equal_toIvEEEENSK_INSJ_8argumentILj0EEEEENSJ_5valueIiEEEEEEEEEEEE10hipError_tPvRmT3_T4_T5_T6_T7_T9_mT8_P12ihipStream_tbDpT10_ENKUlT_T0_E_clISt17integral_constantIbLb0EES1H_EEDaS1C_S1D_EUlS1C_E_NS1_11comp_targetILNS1_3genE3ELNS1_11target_archE908ELNS1_3gpuE7ELNS1_3repE0EEENS1_30default_config_static_selectorELNS0_4arch9wavefront6targetE1EEEvT1_
	.globl	_ZN7rocprim17ROCPRIM_400000_NS6detail17trampoline_kernelINS0_14default_configENS1_25partition_config_selectorILNS1_17partition_subalgoE6EiNS0_10empty_typeEbEEZZNS1_14partition_implILS5_6ELb0ES3_mPiPS6_SA_NS0_5tupleIJS9_S6_EEENSB_IJSA_SA_EEES6_PlJN6thrust23THRUST_200600_302600_NS6detail9not_fun_tINSH_10functional5actorINSJ_9compositeIJNSJ_27transparent_binary_operatorINSG_8equal_toIvEEEENSK_INSJ_8argumentILj0EEEEENSJ_5valueIiEEEEEEEEEEEE10hipError_tPvRmT3_T4_T5_T6_T7_T9_mT8_P12ihipStream_tbDpT10_ENKUlT_T0_E_clISt17integral_constantIbLb0EES1H_EEDaS1C_S1D_EUlS1C_E_NS1_11comp_targetILNS1_3genE3ELNS1_11target_archE908ELNS1_3gpuE7ELNS1_3repE0EEENS1_30default_config_static_selectorELNS0_4arch9wavefront6targetE1EEEvT1_
	.p2align	8
	.type	_ZN7rocprim17ROCPRIM_400000_NS6detail17trampoline_kernelINS0_14default_configENS1_25partition_config_selectorILNS1_17partition_subalgoE6EiNS0_10empty_typeEbEEZZNS1_14partition_implILS5_6ELb0ES3_mPiPS6_SA_NS0_5tupleIJS9_S6_EEENSB_IJSA_SA_EEES6_PlJN6thrust23THRUST_200600_302600_NS6detail9not_fun_tINSH_10functional5actorINSJ_9compositeIJNSJ_27transparent_binary_operatorINSG_8equal_toIvEEEENSK_INSJ_8argumentILj0EEEEENSJ_5valueIiEEEEEEEEEEEE10hipError_tPvRmT3_T4_T5_T6_T7_T9_mT8_P12ihipStream_tbDpT10_ENKUlT_T0_E_clISt17integral_constantIbLb0EES1H_EEDaS1C_S1D_EUlS1C_E_NS1_11comp_targetILNS1_3genE3ELNS1_11target_archE908ELNS1_3gpuE7ELNS1_3repE0EEENS1_30default_config_static_selectorELNS0_4arch9wavefront6targetE1EEEvT1_,@function
_ZN7rocprim17ROCPRIM_400000_NS6detail17trampoline_kernelINS0_14default_configENS1_25partition_config_selectorILNS1_17partition_subalgoE6EiNS0_10empty_typeEbEEZZNS1_14partition_implILS5_6ELb0ES3_mPiPS6_SA_NS0_5tupleIJS9_S6_EEENSB_IJSA_SA_EEES6_PlJN6thrust23THRUST_200600_302600_NS6detail9not_fun_tINSH_10functional5actorINSJ_9compositeIJNSJ_27transparent_binary_operatorINSG_8equal_toIvEEEENSK_INSJ_8argumentILj0EEEEENSJ_5valueIiEEEEEEEEEEEE10hipError_tPvRmT3_T4_T5_T6_T7_T9_mT8_P12ihipStream_tbDpT10_ENKUlT_T0_E_clISt17integral_constantIbLb0EES1H_EEDaS1C_S1D_EUlS1C_E_NS1_11comp_targetILNS1_3genE3ELNS1_11target_archE908ELNS1_3gpuE7ELNS1_3repE0EEENS1_30default_config_static_selectorELNS0_4arch9wavefront6targetE1EEEvT1_: ; @_ZN7rocprim17ROCPRIM_400000_NS6detail17trampoline_kernelINS0_14default_configENS1_25partition_config_selectorILNS1_17partition_subalgoE6EiNS0_10empty_typeEbEEZZNS1_14partition_implILS5_6ELb0ES3_mPiPS6_SA_NS0_5tupleIJS9_S6_EEENSB_IJSA_SA_EEES6_PlJN6thrust23THRUST_200600_302600_NS6detail9not_fun_tINSH_10functional5actorINSJ_9compositeIJNSJ_27transparent_binary_operatorINSG_8equal_toIvEEEENSK_INSJ_8argumentILj0EEEEENSJ_5valueIiEEEEEEEEEEEE10hipError_tPvRmT3_T4_T5_T6_T7_T9_mT8_P12ihipStream_tbDpT10_ENKUlT_T0_E_clISt17integral_constantIbLb0EES1H_EEDaS1C_S1D_EUlS1C_E_NS1_11comp_targetILNS1_3genE3ELNS1_11target_archE908ELNS1_3gpuE7ELNS1_3repE0EEENS1_30default_config_static_selectorELNS0_4arch9wavefront6targetE1EEEvT1_
; %bb.0:
	.section	.rodata,"a",@progbits
	.p2align	6, 0x0
	.amdhsa_kernel _ZN7rocprim17ROCPRIM_400000_NS6detail17trampoline_kernelINS0_14default_configENS1_25partition_config_selectorILNS1_17partition_subalgoE6EiNS0_10empty_typeEbEEZZNS1_14partition_implILS5_6ELb0ES3_mPiPS6_SA_NS0_5tupleIJS9_S6_EEENSB_IJSA_SA_EEES6_PlJN6thrust23THRUST_200600_302600_NS6detail9not_fun_tINSH_10functional5actorINSJ_9compositeIJNSJ_27transparent_binary_operatorINSG_8equal_toIvEEEENSK_INSJ_8argumentILj0EEEEENSJ_5valueIiEEEEEEEEEEEE10hipError_tPvRmT3_T4_T5_T6_T7_T9_mT8_P12ihipStream_tbDpT10_ENKUlT_T0_E_clISt17integral_constantIbLb0EES1H_EEDaS1C_S1D_EUlS1C_E_NS1_11comp_targetILNS1_3genE3ELNS1_11target_archE908ELNS1_3gpuE7ELNS1_3repE0EEENS1_30default_config_static_selectorELNS0_4arch9wavefront6targetE1EEEvT1_
		.amdhsa_group_segment_fixed_size 0
		.amdhsa_private_segment_fixed_size 0
		.amdhsa_kernarg_size 120
		.amdhsa_user_sgpr_count 6
		.amdhsa_user_sgpr_private_segment_buffer 1
		.amdhsa_user_sgpr_dispatch_ptr 0
		.amdhsa_user_sgpr_queue_ptr 0
		.amdhsa_user_sgpr_kernarg_segment_ptr 1
		.amdhsa_user_sgpr_dispatch_id 0
		.amdhsa_user_sgpr_flat_scratch_init 0
		.amdhsa_user_sgpr_kernarg_preload_length 0
		.amdhsa_user_sgpr_kernarg_preload_offset 0
		.amdhsa_user_sgpr_private_segment_size 0
		.amdhsa_uses_dynamic_stack 0
		.amdhsa_system_sgpr_private_segment_wavefront_offset 0
		.amdhsa_system_sgpr_workgroup_id_x 1
		.amdhsa_system_sgpr_workgroup_id_y 0
		.amdhsa_system_sgpr_workgroup_id_z 0
		.amdhsa_system_sgpr_workgroup_info 0
		.amdhsa_system_vgpr_workitem_id 0
		.amdhsa_next_free_vgpr 1
		.amdhsa_next_free_sgpr 0
		.amdhsa_accum_offset 4
		.amdhsa_reserve_vcc 0
		.amdhsa_reserve_flat_scratch 0
		.amdhsa_float_round_mode_32 0
		.amdhsa_float_round_mode_16_64 0
		.amdhsa_float_denorm_mode_32 3
		.amdhsa_float_denorm_mode_16_64 3
		.amdhsa_dx10_clamp 1
		.amdhsa_ieee_mode 1
		.amdhsa_fp16_overflow 0
		.amdhsa_tg_split 0
		.amdhsa_exception_fp_ieee_invalid_op 0
		.amdhsa_exception_fp_denorm_src 0
		.amdhsa_exception_fp_ieee_div_zero 0
		.amdhsa_exception_fp_ieee_overflow 0
		.amdhsa_exception_fp_ieee_underflow 0
		.amdhsa_exception_fp_ieee_inexact 0
		.amdhsa_exception_int_div_zero 0
	.end_amdhsa_kernel
	.section	.text._ZN7rocprim17ROCPRIM_400000_NS6detail17trampoline_kernelINS0_14default_configENS1_25partition_config_selectorILNS1_17partition_subalgoE6EiNS0_10empty_typeEbEEZZNS1_14partition_implILS5_6ELb0ES3_mPiPS6_SA_NS0_5tupleIJS9_S6_EEENSB_IJSA_SA_EEES6_PlJN6thrust23THRUST_200600_302600_NS6detail9not_fun_tINSH_10functional5actorINSJ_9compositeIJNSJ_27transparent_binary_operatorINSG_8equal_toIvEEEENSK_INSJ_8argumentILj0EEEEENSJ_5valueIiEEEEEEEEEEEE10hipError_tPvRmT3_T4_T5_T6_T7_T9_mT8_P12ihipStream_tbDpT10_ENKUlT_T0_E_clISt17integral_constantIbLb0EES1H_EEDaS1C_S1D_EUlS1C_E_NS1_11comp_targetILNS1_3genE3ELNS1_11target_archE908ELNS1_3gpuE7ELNS1_3repE0EEENS1_30default_config_static_selectorELNS0_4arch9wavefront6targetE1EEEvT1_,"axG",@progbits,_ZN7rocprim17ROCPRIM_400000_NS6detail17trampoline_kernelINS0_14default_configENS1_25partition_config_selectorILNS1_17partition_subalgoE6EiNS0_10empty_typeEbEEZZNS1_14partition_implILS5_6ELb0ES3_mPiPS6_SA_NS0_5tupleIJS9_S6_EEENSB_IJSA_SA_EEES6_PlJN6thrust23THRUST_200600_302600_NS6detail9not_fun_tINSH_10functional5actorINSJ_9compositeIJNSJ_27transparent_binary_operatorINSG_8equal_toIvEEEENSK_INSJ_8argumentILj0EEEEENSJ_5valueIiEEEEEEEEEEEE10hipError_tPvRmT3_T4_T5_T6_T7_T9_mT8_P12ihipStream_tbDpT10_ENKUlT_T0_E_clISt17integral_constantIbLb0EES1H_EEDaS1C_S1D_EUlS1C_E_NS1_11comp_targetILNS1_3genE3ELNS1_11target_archE908ELNS1_3gpuE7ELNS1_3repE0EEENS1_30default_config_static_selectorELNS0_4arch9wavefront6targetE1EEEvT1_,comdat
.Lfunc_end254:
	.size	_ZN7rocprim17ROCPRIM_400000_NS6detail17trampoline_kernelINS0_14default_configENS1_25partition_config_selectorILNS1_17partition_subalgoE6EiNS0_10empty_typeEbEEZZNS1_14partition_implILS5_6ELb0ES3_mPiPS6_SA_NS0_5tupleIJS9_S6_EEENSB_IJSA_SA_EEES6_PlJN6thrust23THRUST_200600_302600_NS6detail9not_fun_tINSH_10functional5actorINSJ_9compositeIJNSJ_27transparent_binary_operatorINSG_8equal_toIvEEEENSK_INSJ_8argumentILj0EEEEENSJ_5valueIiEEEEEEEEEEEE10hipError_tPvRmT3_T4_T5_T6_T7_T9_mT8_P12ihipStream_tbDpT10_ENKUlT_T0_E_clISt17integral_constantIbLb0EES1H_EEDaS1C_S1D_EUlS1C_E_NS1_11comp_targetILNS1_3genE3ELNS1_11target_archE908ELNS1_3gpuE7ELNS1_3repE0EEENS1_30default_config_static_selectorELNS0_4arch9wavefront6targetE1EEEvT1_, .Lfunc_end254-_ZN7rocprim17ROCPRIM_400000_NS6detail17trampoline_kernelINS0_14default_configENS1_25partition_config_selectorILNS1_17partition_subalgoE6EiNS0_10empty_typeEbEEZZNS1_14partition_implILS5_6ELb0ES3_mPiPS6_SA_NS0_5tupleIJS9_S6_EEENSB_IJSA_SA_EEES6_PlJN6thrust23THRUST_200600_302600_NS6detail9not_fun_tINSH_10functional5actorINSJ_9compositeIJNSJ_27transparent_binary_operatorINSG_8equal_toIvEEEENSK_INSJ_8argumentILj0EEEEENSJ_5valueIiEEEEEEEEEEEE10hipError_tPvRmT3_T4_T5_T6_T7_T9_mT8_P12ihipStream_tbDpT10_ENKUlT_T0_E_clISt17integral_constantIbLb0EES1H_EEDaS1C_S1D_EUlS1C_E_NS1_11comp_targetILNS1_3genE3ELNS1_11target_archE908ELNS1_3gpuE7ELNS1_3repE0EEENS1_30default_config_static_selectorELNS0_4arch9wavefront6targetE1EEEvT1_
                                        ; -- End function
	.section	.AMDGPU.csdata,"",@progbits
; Kernel info:
; codeLenInByte = 0
; NumSgprs: 4
; NumVgprs: 0
; NumAgprs: 0
; TotalNumVgprs: 0
; ScratchSize: 0
; MemoryBound: 0
; FloatMode: 240
; IeeeMode: 1
; LDSByteSize: 0 bytes/workgroup (compile time only)
; SGPRBlocks: 0
; VGPRBlocks: 0
; NumSGPRsForWavesPerEU: 4
; NumVGPRsForWavesPerEU: 1
; AccumOffset: 4
; Occupancy: 8
; WaveLimiterHint : 0
; COMPUTE_PGM_RSRC2:SCRATCH_EN: 0
; COMPUTE_PGM_RSRC2:USER_SGPR: 6
; COMPUTE_PGM_RSRC2:TRAP_HANDLER: 0
; COMPUTE_PGM_RSRC2:TGID_X_EN: 1
; COMPUTE_PGM_RSRC2:TGID_Y_EN: 0
; COMPUTE_PGM_RSRC2:TGID_Z_EN: 0
; COMPUTE_PGM_RSRC2:TIDIG_COMP_CNT: 0
; COMPUTE_PGM_RSRC3_GFX90A:ACCUM_OFFSET: 0
; COMPUTE_PGM_RSRC3_GFX90A:TG_SPLIT: 0
	.section	.text._ZN7rocprim17ROCPRIM_400000_NS6detail17trampoline_kernelINS0_14default_configENS1_25partition_config_selectorILNS1_17partition_subalgoE6EiNS0_10empty_typeEbEEZZNS1_14partition_implILS5_6ELb0ES3_mPiPS6_SA_NS0_5tupleIJS9_S6_EEENSB_IJSA_SA_EEES6_PlJN6thrust23THRUST_200600_302600_NS6detail9not_fun_tINSH_10functional5actorINSJ_9compositeIJNSJ_27transparent_binary_operatorINSG_8equal_toIvEEEENSK_INSJ_8argumentILj0EEEEENSJ_5valueIiEEEEEEEEEEEE10hipError_tPvRmT3_T4_T5_T6_T7_T9_mT8_P12ihipStream_tbDpT10_ENKUlT_T0_E_clISt17integral_constantIbLb0EES1H_EEDaS1C_S1D_EUlS1C_E_NS1_11comp_targetILNS1_3genE2ELNS1_11target_archE906ELNS1_3gpuE6ELNS1_3repE0EEENS1_30default_config_static_selectorELNS0_4arch9wavefront6targetE1EEEvT1_,"axG",@progbits,_ZN7rocprim17ROCPRIM_400000_NS6detail17trampoline_kernelINS0_14default_configENS1_25partition_config_selectorILNS1_17partition_subalgoE6EiNS0_10empty_typeEbEEZZNS1_14partition_implILS5_6ELb0ES3_mPiPS6_SA_NS0_5tupleIJS9_S6_EEENSB_IJSA_SA_EEES6_PlJN6thrust23THRUST_200600_302600_NS6detail9not_fun_tINSH_10functional5actorINSJ_9compositeIJNSJ_27transparent_binary_operatorINSG_8equal_toIvEEEENSK_INSJ_8argumentILj0EEEEENSJ_5valueIiEEEEEEEEEEEE10hipError_tPvRmT3_T4_T5_T6_T7_T9_mT8_P12ihipStream_tbDpT10_ENKUlT_T0_E_clISt17integral_constantIbLb0EES1H_EEDaS1C_S1D_EUlS1C_E_NS1_11comp_targetILNS1_3genE2ELNS1_11target_archE906ELNS1_3gpuE6ELNS1_3repE0EEENS1_30default_config_static_selectorELNS0_4arch9wavefront6targetE1EEEvT1_,comdat
	.protected	_ZN7rocprim17ROCPRIM_400000_NS6detail17trampoline_kernelINS0_14default_configENS1_25partition_config_selectorILNS1_17partition_subalgoE6EiNS0_10empty_typeEbEEZZNS1_14partition_implILS5_6ELb0ES3_mPiPS6_SA_NS0_5tupleIJS9_S6_EEENSB_IJSA_SA_EEES6_PlJN6thrust23THRUST_200600_302600_NS6detail9not_fun_tINSH_10functional5actorINSJ_9compositeIJNSJ_27transparent_binary_operatorINSG_8equal_toIvEEEENSK_INSJ_8argumentILj0EEEEENSJ_5valueIiEEEEEEEEEEEE10hipError_tPvRmT3_T4_T5_T6_T7_T9_mT8_P12ihipStream_tbDpT10_ENKUlT_T0_E_clISt17integral_constantIbLb0EES1H_EEDaS1C_S1D_EUlS1C_E_NS1_11comp_targetILNS1_3genE2ELNS1_11target_archE906ELNS1_3gpuE6ELNS1_3repE0EEENS1_30default_config_static_selectorELNS0_4arch9wavefront6targetE1EEEvT1_ ; -- Begin function _ZN7rocprim17ROCPRIM_400000_NS6detail17trampoline_kernelINS0_14default_configENS1_25partition_config_selectorILNS1_17partition_subalgoE6EiNS0_10empty_typeEbEEZZNS1_14partition_implILS5_6ELb0ES3_mPiPS6_SA_NS0_5tupleIJS9_S6_EEENSB_IJSA_SA_EEES6_PlJN6thrust23THRUST_200600_302600_NS6detail9not_fun_tINSH_10functional5actorINSJ_9compositeIJNSJ_27transparent_binary_operatorINSG_8equal_toIvEEEENSK_INSJ_8argumentILj0EEEEENSJ_5valueIiEEEEEEEEEEEE10hipError_tPvRmT3_T4_T5_T6_T7_T9_mT8_P12ihipStream_tbDpT10_ENKUlT_T0_E_clISt17integral_constantIbLb0EES1H_EEDaS1C_S1D_EUlS1C_E_NS1_11comp_targetILNS1_3genE2ELNS1_11target_archE906ELNS1_3gpuE6ELNS1_3repE0EEENS1_30default_config_static_selectorELNS0_4arch9wavefront6targetE1EEEvT1_
	.globl	_ZN7rocprim17ROCPRIM_400000_NS6detail17trampoline_kernelINS0_14default_configENS1_25partition_config_selectorILNS1_17partition_subalgoE6EiNS0_10empty_typeEbEEZZNS1_14partition_implILS5_6ELb0ES3_mPiPS6_SA_NS0_5tupleIJS9_S6_EEENSB_IJSA_SA_EEES6_PlJN6thrust23THRUST_200600_302600_NS6detail9not_fun_tINSH_10functional5actorINSJ_9compositeIJNSJ_27transparent_binary_operatorINSG_8equal_toIvEEEENSK_INSJ_8argumentILj0EEEEENSJ_5valueIiEEEEEEEEEEEE10hipError_tPvRmT3_T4_T5_T6_T7_T9_mT8_P12ihipStream_tbDpT10_ENKUlT_T0_E_clISt17integral_constantIbLb0EES1H_EEDaS1C_S1D_EUlS1C_E_NS1_11comp_targetILNS1_3genE2ELNS1_11target_archE906ELNS1_3gpuE6ELNS1_3repE0EEENS1_30default_config_static_selectorELNS0_4arch9wavefront6targetE1EEEvT1_
	.p2align	8
	.type	_ZN7rocprim17ROCPRIM_400000_NS6detail17trampoline_kernelINS0_14default_configENS1_25partition_config_selectorILNS1_17partition_subalgoE6EiNS0_10empty_typeEbEEZZNS1_14partition_implILS5_6ELb0ES3_mPiPS6_SA_NS0_5tupleIJS9_S6_EEENSB_IJSA_SA_EEES6_PlJN6thrust23THRUST_200600_302600_NS6detail9not_fun_tINSH_10functional5actorINSJ_9compositeIJNSJ_27transparent_binary_operatorINSG_8equal_toIvEEEENSK_INSJ_8argumentILj0EEEEENSJ_5valueIiEEEEEEEEEEEE10hipError_tPvRmT3_T4_T5_T6_T7_T9_mT8_P12ihipStream_tbDpT10_ENKUlT_T0_E_clISt17integral_constantIbLb0EES1H_EEDaS1C_S1D_EUlS1C_E_NS1_11comp_targetILNS1_3genE2ELNS1_11target_archE906ELNS1_3gpuE6ELNS1_3repE0EEENS1_30default_config_static_selectorELNS0_4arch9wavefront6targetE1EEEvT1_,@function
_ZN7rocprim17ROCPRIM_400000_NS6detail17trampoline_kernelINS0_14default_configENS1_25partition_config_selectorILNS1_17partition_subalgoE6EiNS0_10empty_typeEbEEZZNS1_14partition_implILS5_6ELb0ES3_mPiPS6_SA_NS0_5tupleIJS9_S6_EEENSB_IJSA_SA_EEES6_PlJN6thrust23THRUST_200600_302600_NS6detail9not_fun_tINSH_10functional5actorINSJ_9compositeIJNSJ_27transparent_binary_operatorINSG_8equal_toIvEEEENSK_INSJ_8argumentILj0EEEEENSJ_5valueIiEEEEEEEEEEEE10hipError_tPvRmT3_T4_T5_T6_T7_T9_mT8_P12ihipStream_tbDpT10_ENKUlT_T0_E_clISt17integral_constantIbLb0EES1H_EEDaS1C_S1D_EUlS1C_E_NS1_11comp_targetILNS1_3genE2ELNS1_11target_archE906ELNS1_3gpuE6ELNS1_3repE0EEENS1_30default_config_static_selectorELNS0_4arch9wavefront6targetE1EEEvT1_: ; @_ZN7rocprim17ROCPRIM_400000_NS6detail17trampoline_kernelINS0_14default_configENS1_25partition_config_selectorILNS1_17partition_subalgoE6EiNS0_10empty_typeEbEEZZNS1_14partition_implILS5_6ELb0ES3_mPiPS6_SA_NS0_5tupleIJS9_S6_EEENSB_IJSA_SA_EEES6_PlJN6thrust23THRUST_200600_302600_NS6detail9not_fun_tINSH_10functional5actorINSJ_9compositeIJNSJ_27transparent_binary_operatorINSG_8equal_toIvEEEENSK_INSJ_8argumentILj0EEEEENSJ_5valueIiEEEEEEEEEEEE10hipError_tPvRmT3_T4_T5_T6_T7_T9_mT8_P12ihipStream_tbDpT10_ENKUlT_T0_E_clISt17integral_constantIbLb0EES1H_EEDaS1C_S1D_EUlS1C_E_NS1_11comp_targetILNS1_3genE2ELNS1_11target_archE906ELNS1_3gpuE6ELNS1_3repE0EEENS1_30default_config_static_selectorELNS0_4arch9wavefront6targetE1EEEvT1_
; %bb.0:
	.section	.rodata,"a",@progbits
	.p2align	6, 0x0
	.amdhsa_kernel _ZN7rocprim17ROCPRIM_400000_NS6detail17trampoline_kernelINS0_14default_configENS1_25partition_config_selectorILNS1_17partition_subalgoE6EiNS0_10empty_typeEbEEZZNS1_14partition_implILS5_6ELb0ES3_mPiPS6_SA_NS0_5tupleIJS9_S6_EEENSB_IJSA_SA_EEES6_PlJN6thrust23THRUST_200600_302600_NS6detail9not_fun_tINSH_10functional5actorINSJ_9compositeIJNSJ_27transparent_binary_operatorINSG_8equal_toIvEEEENSK_INSJ_8argumentILj0EEEEENSJ_5valueIiEEEEEEEEEEEE10hipError_tPvRmT3_T4_T5_T6_T7_T9_mT8_P12ihipStream_tbDpT10_ENKUlT_T0_E_clISt17integral_constantIbLb0EES1H_EEDaS1C_S1D_EUlS1C_E_NS1_11comp_targetILNS1_3genE2ELNS1_11target_archE906ELNS1_3gpuE6ELNS1_3repE0EEENS1_30default_config_static_selectorELNS0_4arch9wavefront6targetE1EEEvT1_
		.amdhsa_group_segment_fixed_size 0
		.amdhsa_private_segment_fixed_size 0
		.amdhsa_kernarg_size 120
		.amdhsa_user_sgpr_count 6
		.amdhsa_user_sgpr_private_segment_buffer 1
		.amdhsa_user_sgpr_dispatch_ptr 0
		.amdhsa_user_sgpr_queue_ptr 0
		.amdhsa_user_sgpr_kernarg_segment_ptr 1
		.amdhsa_user_sgpr_dispatch_id 0
		.amdhsa_user_sgpr_flat_scratch_init 0
		.amdhsa_user_sgpr_kernarg_preload_length 0
		.amdhsa_user_sgpr_kernarg_preload_offset 0
		.amdhsa_user_sgpr_private_segment_size 0
		.amdhsa_uses_dynamic_stack 0
		.amdhsa_system_sgpr_private_segment_wavefront_offset 0
		.amdhsa_system_sgpr_workgroup_id_x 1
		.amdhsa_system_sgpr_workgroup_id_y 0
		.amdhsa_system_sgpr_workgroup_id_z 0
		.amdhsa_system_sgpr_workgroup_info 0
		.amdhsa_system_vgpr_workitem_id 0
		.amdhsa_next_free_vgpr 1
		.amdhsa_next_free_sgpr 0
		.amdhsa_accum_offset 4
		.amdhsa_reserve_vcc 0
		.amdhsa_reserve_flat_scratch 0
		.amdhsa_float_round_mode_32 0
		.amdhsa_float_round_mode_16_64 0
		.amdhsa_float_denorm_mode_32 3
		.amdhsa_float_denorm_mode_16_64 3
		.amdhsa_dx10_clamp 1
		.amdhsa_ieee_mode 1
		.amdhsa_fp16_overflow 0
		.amdhsa_tg_split 0
		.amdhsa_exception_fp_ieee_invalid_op 0
		.amdhsa_exception_fp_denorm_src 0
		.amdhsa_exception_fp_ieee_div_zero 0
		.amdhsa_exception_fp_ieee_overflow 0
		.amdhsa_exception_fp_ieee_underflow 0
		.amdhsa_exception_fp_ieee_inexact 0
		.amdhsa_exception_int_div_zero 0
	.end_amdhsa_kernel
	.section	.text._ZN7rocprim17ROCPRIM_400000_NS6detail17trampoline_kernelINS0_14default_configENS1_25partition_config_selectorILNS1_17partition_subalgoE6EiNS0_10empty_typeEbEEZZNS1_14partition_implILS5_6ELb0ES3_mPiPS6_SA_NS0_5tupleIJS9_S6_EEENSB_IJSA_SA_EEES6_PlJN6thrust23THRUST_200600_302600_NS6detail9not_fun_tINSH_10functional5actorINSJ_9compositeIJNSJ_27transparent_binary_operatorINSG_8equal_toIvEEEENSK_INSJ_8argumentILj0EEEEENSJ_5valueIiEEEEEEEEEEEE10hipError_tPvRmT3_T4_T5_T6_T7_T9_mT8_P12ihipStream_tbDpT10_ENKUlT_T0_E_clISt17integral_constantIbLb0EES1H_EEDaS1C_S1D_EUlS1C_E_NS1_11comp_targetILNS1_3genE2ELNS1_11target_archE906ELNS1_3gpuE6ELNS1_3repE0EEENS1_30default_config_static_selectorELNS0_4arch9wavefront6targetE1EEEvT1_,"axG",@progbits,_ZN7rocprim17ROCPRIM_400000_NS6detail17trampoline_kernelINS0_14default_configENS1_25partition_config_selectorILNS1_17partition_subalgoE6EiNS0_10empty_typeEbEEZZNS1_14partition_implILS5_6ELb0ES3_mPiPS6_SA_NS0_5tupleIJS9_S6_EEENSB_IJSA_SA_EEES6_PlJN6thrust23THRUST_200600_302600_NS6detail9not_fun_tINSH_10functional5actorINSJ_9compositeIJNSJ_27transparent_binary_operatorINSG_8equal_toIvEEEENSK_INSJ_8argumentILj0EEEEENSJ_5valueIiEEEEEEEEEEEE10hipError_tPvRmT3_T4_T5_T6_T7_T9_mT8_P12ihipStream_tbDpT10_ENKUlT_T0_E_clISt17integral_constantIbLb0EES1H_EEDaS1C_S1D_EUlS1C_E_NS1_11comp_targetILNS1_3genE2ELNS1_11target_archE906ELNS1_3gpuE6ELNS1_3repE0EEENS1_30default_config_static_selectorELNS0_4arch9wavefront6targetE1EEEvT1_,comdat
.Lfunc_end255:
	.size	_ZN7rocprim17ROCPRIM_400000_NS6detail17trampoline_kernelINS0_14default_configENS1_25partition_config_selectorILNS1_17partition_subalgoE6EiNS0_10empty_typeEbEEZZNS1_14partition_implILS5_6ELb0ES3_mPiPS6_SA_NS0_5tupleIJS9_S6_EEENSB_IJSA_SA_EEES6_PlJN6thrust23THRUST_200600_302600_NS6detail9not_fun_tINSH_10functional5actorINSJ_9compositeIJNSJ_27transparent_binary_operatorINSG_8equal_toIvEEEENSK_INSJ_8argumentILj0EEEEENSJ_5valueIiEEEEEEEEEEEE10hipError_tPvRmT3_T4_T5_T6_T7_T9_mT8_P12ihipStream_tbDpT10_ENKUlT_T0_E_clISt17integral_constantIbLb0EES1H_EEDaS1C_S1D_EUlS1C_E_NS1_11comp_targetILNS1_3genE2ELNS1_11target_archE906ELNS1_3gpuE6ELNS1_3repE0EEENS1_30default_config_static_selectorELNS0_4arch9wavefront6targetE1EEEvT1_, .Lfunc_end255-_ZN7rocprim17ROCPRIM_400000_NS6detail17trampoline_kernelINS0_14default_configENS1_25partition_config_selectorILNS1_17partition_subalgoE6EiNS0_10empty_typeEbEEZZNS1_14partition_implILS5_6ELb0ES3_mPiPS6_SA_NS0_5tupleIJS9_S6_EEENSB_IJSA_SA_EEES6_PlJN6thrust23THRUST_200600_302600_NS6detail9not_fun_tINSH_10functional5actorINSJ_9compositeIJNSJ_27transparent_binary_operatorINSG_8equal_toIvEEEENSK_INSJ_8argumentILj0EEEEENSJ_5valueIiEEEEEEEEEEEE10hipError_tPvRmT3_T4_T5_T6_T7_T9_mT8_P12ihipStream_tbDpT10_ENKUlT_T0_E_clISt17integral_constantIbLb0EES1H_EEDaS1C_S1D_EUlS1C_E_NS1_11comp_targetILNS1_3genE2ELNS1_11target_archE906ELNS1_3gpuE6ELNS1_3repE0EEENS1_30default_config_static_selectorELNS0_4arch9wavefront6targetE1EEEvT1_
                                        ; -- End function
	.section	.AMDGPU.csdata,"",@progbits
; Kernel info:
; codeLenInByte = 0
; NumSgprs: 4
; NumVgprs: 0
; NumAgprs: 0
; TotalNumVgprs: 0
; ScratchSize: 0
; MemoryBound: 0
; FloatMode: 240
; IeeeMode: 1
; LDSByteSize: 0 bytes/workgroup (compile time only)
; SGPRBlocks: 0
; VGPRBlocks: 0
; NumSGPRsForWavesPerEU: 4
; NumVGPRsForWavesPerEU: 1
; AccumOffset: 4
; Occupancy: 8
; WaveLimiterHint : 0
; COMPUTE_PGM_RSRC2:SCRATCH_EN: 0
; COMPUTE_PGM_RSRC2:USER_SGPR: 6
; COMPUTE_PGM_RSRC2:TRAP_HANDLER: 0
; COMPUTE_PGM_RSRC2:TGID_X_EN: 1
; COMPUTE_PGM_RSRC2:TGID_Y_EN: 0
; COMPUTE_PGM_RSRC2:TGID_Z_EN: 0
; COMPUTE_PGM_RSRC2:TIDIG_COMP_CNT: 0
; COMPUTE_PGM_RSRC3_GFX90A:ACCUM_OFFSET: 0
; COMPUTE_PGM_RSRC3_GFX90A:TG_SPLIT: 0
	.section	.text._ZN7rocprim17ROCPRIM_400000_NS6detail17trampoline_kernelINS0_14default_configENS1_25partition_config_selectorILNS1_17partition_subalgoE6EiNS0_10empty_typeEbEEZZNS1_14partition_implILS5_6ELb0ES3_mPiPS6_SA_NS0_5tupleIJS9_S6_EEENSB_IJSA_SA_EEES6_PlJN6thrust23THRUST_200600_302600_NS6detail9not_fun_tINSH_10functional5actorINSJ_9compositeIJNSJ_27transparent_binary_operatorINSG_8equal_toIvEEEENSK_INSJ_8argumentILj0EEEEENSJ_5valueIiEEEEEEEEEEEE10hipError_tPvRmT3_T4_T5_T6_T7_T9_mT8_P12ihipStream_tbDpT10_ENKUlT_T0_E_clISt17integral_constantIbLb0EES1H_EEDaS1C_S1D_EUlS1C_E_NS1_11comp_targetILNS1_3genE10ELNS1_11target_archE1200ELNS1_3gpuE4ELNS1_3repE0EEENS1_30default_config_static_selectorELNS0_4arch9wavefront6targetE1EEEvT1_,"axG",@progbits,_ZN7rocprim17ROCPRIM_400000_NS6detail17trampoline_kernelINS0_14default_configENS1_25partition_config_selectorILNS1_17partition_subalgoE6EiNS0_10empty_typeEbEEZZNS1_14partition_implILS5_6ELb0ES3_mPiPS6_SA_NS0_5tupleIJS9_S6_EEENSB_IJSA_SA_EEES6_PlJN6thrust23THRUST_200600_302600_NS6detail9not_fun_tINSH_10functional5actorINSJ_9compositeIJNSJ_27transparent_binary_operatorINSG_8equal_toIvEEEENSK_INSJ_8argumentILj0EEEEENSJ_5valueIiEEEEEEEEEEEE10hipError_tPvRmT3_T4_T5_T6_T7_T9_mT8_P12ihipStream_tbDpT10_ENKUlT_T0_E_clISt17integral_constantIbLb0EES1H_EEDaS1C_S1D_EUlS1C_E_NS1_11comp_targetILNS1_3genE10ELNS1_11target_archE1200ELNS1_3gpuE4ELNS1_3repE0EEENS1_30default_config_static_selectorELNS0_4arch9wavefront6targetE1EEEvT1_,comdat
	.protected	_ZN7rocprim17ROCPRIM_400000_NS6detail17trampoline_kernelINS0_14default_configENS1_25partition_config_selectorILNS1_17partition_subalgoE6EiNS0_10empty_typeEbEEZZNS1_14partition_implILS5_6ELb0ES3_mPiPS6_SA_NS0_5tupleIJS9_S6_EEENSB_IJSA_SA_EEES6_PlJN6thrust23THRUST_200600_302600_NS6detail9not_fun_tINSH_10functional5actorINSJ_9compositeIJNSJ_27transparent_binary_operatorINSG_8equal_toIvEEEENSK_INSJ_8argumentILj0EEEEENSJ_5valueIiEEEEEEEEEEEE10hipError_tPvRmT3_T4_T5_T6_T7_T9_mT8_P12ihipStream_tbDpT10_ENKUlT_T0_E_clISt17integral_constantIbLb0EES1H_EEDaS1C_S1D_EUlS1C_E_NS1_11comp_targetILNS1_3genE10ELNS1_11target_archE1200ELNS1_3gpuE4ELNS1_3repE0EEENS1_30default_config_static_selectorELNS0_4arch9wavefront6targetE1EEEvT1_ ; -- Begin function _ZN7rocprim17ROCPRIM_400000_NS6detail17trampoline_kernelINS0_14default_configENS1_25partition_config_selectorILNS1_17partition_subalgoE6EiNS0_10empty_typeEbEEZZNS1_14partition_implILS5_6ELb0ES3_mPiPS6_SA_NS0_5tupleIJS9_S6_EEENSB_IJSA_SA_EEES6_PlJN6thrust23THRUST_200600_302600_NS6detail9not_fun_tINSH_10functional5actorINSJ_9compositeIJNSJ_27transparent_binary_operatorINSG_8equal_toIvEEEENSK_INSJ_8argumentILj0EEEEENSJ_5valueIiEEEEEEEEEEEE10hipError_tPvRmT3_T4_T5_T6_T7_T9_mT8_P12ihipStream_tbDpT10_ENKUlT_T0_E_clISt17integral_constantIbLb0EES1H_EEDaS1C_S1D_EUlS1C_E_NS1_11comp_targetILNS1_3genE10ELNS1_11target_archE1200ELNS1_3gpuE4ELNS1_3repE0EEENS1_30default_config_static_selectorELNS0_4arch9wavefront6targetE1EEEvT1_
	.globl	_ZN7rocprim17ROCPRIM_400000_NS6detail17trampoline_kernelINS0_14default_configENS1_25partition_config_selectorILNS1_17partition_subalgoE6EiNS0_10empty_typeEbEEZZNS1_14partition_implILS5_6ELb0ES3_mPiPS6_SA_NS0_5tupleIJS9_S6_EEENSB_IJSA_SA_EEES6_PlJN6thrust23THRUST_200600_302600_NS6detail9not_fun_tINSH_10functional5actorINSJ_9compositeIJNSJ_27transparent_binary_operatorINSG_8equal_toIvEEEENSK_INSJ_8argumentILj0EEEEENSJ_5valueIiEEEEEEEEEEEE10hipError_tPvRmT3_T4_T5_T6_T7_T9_mT8_P12ihipStream_tbDpT10_ENKUlT_T0_E_clISt17integral_constantIbLb0EES1H_EEDaS1C_S1D_EUlS1C_E_NS1_11comp_targetILNS1_3genE10ELNS1_11target_archE1200ELNS1_3gpuE4ELNS1_3repE0EEENS1_30default_config_static_selectorELNS0_4arch9wavefront6targetE1EEEvT1_
	.p2align	8
	.type	_ZN7rocprim17ROCPRIM_400000_NS6detail17trampoline_kernelINS0_14default_configENS1_25partition_config_selectorILNS1_17partition_subalgoE6EiNS0_10empty_typeEbEEZZNS1_14partition_implILS5_6ELb0ES3_mPiPS6_SA_NS0_5tupleIJS9_S6_EEENSB_IJSA_SA_EEES6_PlJN6thrust23THRUST_200600_302600_NS6detail9not_fun_tINSH_10functional5actorINSJ_9compositeIJNSJ_27transparent_binary_operatorINSG_8equal_toIvEEEENSK_INSJ_8argumentILj0EEEEENSJ_5valueIiEEEEEEEEEEEE10hipError_tPvRmT3_T4_T5_T6_T7_T9_mT8_P12ihipStream_tbDpT10_ENKUlT_T0_E_clISt17integral_constantIbLb0EES1H_EEDaS1C_S1D_EUlS1C_E_NS1_11comp_targetILNS1_3genE10ELNS1_11target_archE1200ELNS1_3gpuE4ELNS1_3repE0EEENS1_30default_config_static_selectorELNS0_4arch9wavefront6targetE1EEEvT1_,@function
_ZN7rocprim17ROCPRIM_400000_NS6detail17trampoline_kernelINS0_14default_configENS1_25partition_config_selectorILNS1_17partition_subalgoE6EiNS0_10empty_typeEbEEZZNS1_14partition_implILS5_6ELb0ES3_mPiPS6_SA_NS0_5tupleIJS9_S6_EEENSB_IJSA_SA_EEES6_PlJN6thrust23THRUST_200600_302600_NS6detail9not_fun_tINSH_10functional5actorINSJ_9compositeIJNSJ_27transparent_binary_operatorINSG_8equal_toIvEEEENSK_INSJ_8argumentILj0EEEEENSJ_5valueIiEEEEEEEEEEEE10hipError_tPvRmT3_T4_T5_T6_T7_T9_mT8_P12ihipStream_tbDpT10_ENKUlT_T0_E_clISt17integral_constantIbLb0EES1H_EEDaS1C_S1D_EUlS1C_E_NS1_11comp_targetILNS1_3genE10ELNS1_11target_archE1200ELNS1_3gpuE4ELNS1_3repE0EEENS1_30default_config_static_selectorELNS0_4arch9wavefront6targetE1EEEvT1_: ; @_ZN7rocprim17ROCPRIM_400000_NS6detail17trampoline_kernelINS0_14default_configENS1_25partition_config_selectorILNS1_17partition_subalgoE6EiNS0_10empty_typeEbEEZZNS1_14partition_implILS5_6ELb0ES3_mPiPS6_SA_NS0_5tupleIJS9_S6_EEENSB_IJSA_SA_EEES6_PlJN6thrust23THRUST_200600_302600_NS6detail9not_fun_tINSH_10functional5actorINSJ_9compositeIJNSJ_27transparent_binary_operatorINSG_8equal_toIvEEEENSK_INSJ_8argumentILj0EEEEENSJ_5valueIiEEEEEEEEEEEE10hipError_tPvRmT3_T4_T5_T6_T7_T9_mT8_P12ihipStream_tbDpT10_ENKUlT_T0_E_clISt17integral_constantIbLb0EES1H_EEDaS1C_S1D_EUlS1C_E_NS1_11comp_targetILNS1_3genE10ELNS1_11target_archE1200ELNS1_3gpuE4ELNS1_3repE0EEENS1_30default_config_static_selectorELNS0_4arch9wavefront6targetE1EEEvT1_
; %bb.0:
	.section	.rodata,"a",@progbits
	.p2align	6, 0x0
	.amdhsa_kernel _ZN7rocprim17ROCPRIM_400000_NS6detail17trampoline_kernelINS0_14default_configENS1_25partition_config_selectorILNS1_17partition_subalgoE6EiNS0_10empty_typeEbEEZZNS1_14partition_implILS5_6ELb0ES3_mPiPS6_SA_NS0_5tupleIJS9_S6_EEENSB_IJSA_SA_EEES6_PlJN6thrust23THRUST_200600_302600_NS6detail9not_fun_tINSH_10functional5actorINSJ_9compositeIJNSJ_27transparent_binary_operatorINSG_8equal_toIvEEEENSK_INSJ_8argumentILj0EEEEENSJ_5valueIiEEEEEEEEEEEE10hipError_tPvRmT3_T4_T5_T6_T7_T9_mT8_P12ihipStream_tbDpT10_ENKUlT_T0_E_clISt17integral_constantIbLb0EES1H_EEDaS1C_S1D_EUlS1C_E_NS1_11comp_targetILNS1_3genE10ELNS1_11target_archE1200ELNS1_3gpuE4ELNS1_3repE0EEENS1_30default_config_static_selectorELNS0_4arch9wavefront6targetE1EEEvT1_
		.amdhsa_group_segment_fixed_size 0
		.amdhsa_private_segment_fixed_size 0
		.amdhsa_kernarg_size 120
		.amdhsa_user_sgpr_count 6
		.amdhsa_user_sgpr_private_segment_buffer 1
		.amdhsa_user_sgpr_dispatch_ptr 0
		.amdhsa_user_sgpr_queue_ptr 0
		.amdhsa_user_sgpr_kernarg_segment_ptr 1
		.amdhsa_user_sgpr_dispatch_id 0
		.amdhsa_user_sgpr_flat_scratch_init 0
		.amdhsa_user_sgpr_kernarg_preload_length 0
		.amdhsa_user_sgpr_kernarg_preload_offset 0
		.amdhsa_user_sgpr_private_segment_size 0
		.amdhsa_uses_dynamic_stack 0
		.amdhsa_system_sgpr_private_segment_wavefront_offset 0
		.amdhsa_system_sgpr_workgroup_id_x 1
		.amdhsa_system_sgpr_workgroup_id_y 0
		.amdhsa_system_sgpr_workgroup_id_z 0
		.amdhsa_system_sgpr_workgroup_info 0
		.amdhsa_system_vgpr_workitem_id 0
		.amdhsa_next_free_vgpr 1
		.amdhsa_next_free_sgpr 0
		.amdhsa_accum_offset 4
		.amdhsa_reserve_vcc 0
		.amdhsa_reserve_flat_scratch 0
		.amdhsa_float_round_mode_32 0
		.amdhsa_float_round_mode_16_64 0
		.amdhsa_float_denorm_mode_32 3
		.amdhsa_float_denorm_mode_16_64 3
		.amdhsa_dx10_clamp 1
		.amdhsa_ieee_mode 1
		.amdhsa_fp16_overflow 0
		.amdhsa_tg_split 0
		.amdhsa_exception_fp_ieee_invalid_op 0
		.amdhsa_exception_fp_denorm_src 0
		.amdhsa_exception_fp_ieee_div_zero 0
		.amdhsa_exception_fp_ieee_overflow 0
		.amdhsa_exception_fp_ieee_underflow 0
		.amdhsa_exception_fp_ieee_inexact 0
		.amdhsa_exception_int_div_zero 0
	.end_amdhsa_kernel
	.section	.text._ZN7rocprim17ROCPRIM_400000_NS6detail17trampoline_kernelINS0_14default_configENS1_25partition_config_selectorILNS1_17partition_subalgoE6EiNS0_10empty_typeEbEEZZNS1_14partition_implILS5_6ELb0ES3_mPiPS6_SA_NS0_5tupleIJS9_S6_EEENSB_IJSA_SA_EEES6_PlJN6thrust23THRUST_200600_302600_NS6detail9not_fun_tINSH_10functional5actorINSJ_9compositeIJNSJ_27transparent_binary_operatorINSG_8equal_toIvEEEENSK_INSJ_8argumentILj0EEEEENSJ_5valueIiEEEEEEEEEEEE10hipError_tPvRmT3_T4_T5_T6_T7_T9_mT8_P12ihipStream_tbDpT10_ENKUlT_T0_E_clISt17integral_constantIbLb0EES1H_EEDaS1C_S1D_EUlS1C_E_NS1_11comp_targetILNS1_3genE10ELNS1_11target_archE1200ELNS1_3gpuE4ELNS1_3repE0EEENS1_30default_config_static_selectorELNS0_4arch9wavefront6targetE1EEEvT1_,"axG",@progbits,_ZN7rocprim17ROCPRIM_400000_NS6detail17trampoline_kernelINS0_14default_configENS1_25partition_config_selectorILNS1_17partition_subalgoE6EiNS0_10empty_typeEbEEZZNS1_14partition_implILS5_6ELb0ES3_mPiPS6_SA_NS0_5tupleIJS9_S6_EEENSB_IJSA_SA_EEES6_PlJN6thrust23THRUST_200600_302600_NS6detail9not_fun_tINSH_10functional5actorINSJ_9compositeIJNSJ_27transparent_binary_operatorINSG_8equal_toIvEEEENSK_INSJ_8argumentILj0EEEEENSJ_5valueIiEEEEEEEEEEEE10hipError_tPvRmT3_T4_T5_T6_T7_T9_mT8_P12ihipStream_tbDpT10_ENKUlT_T0_E_clISt17integral_constantIbLb0EES1H_EEDaS1C_S1D_EUlS1C_E_NS1_11comp_targetILNS1_3genE10ELNS1_11target_archE1200ELNS1_3gpuE4ELNS1_3repE0EEENS1_30default_config_static_selectorELNS0_4arch9wavefront6targetE1EEEvT1_,comdat
.Lfunc_end256:
	.size	_ZN7rocprim17ROCPRIM_400000_NS6detail17trampoline_kernelINS0_14default_configENS1_25partition_config_selectorILNS1_17partition_subalgoE6EiNS0_10empty_typeEbEEZZNS1_14partition_implILS5_6ELb0ES3_mPiPS6_SA_NS0_5tupleIJS9_S6_EEENSB_IJSA_SA_EEES6_PlJN6thrust23THRUST_200600_302600_NS6detail9not_fun_tINSH_10functional5actorINSJ_9compositeIJNSJ_27transparent_binary_operatorINSG_8equal_toIvEEEENSK_INSJ_8argumentILj0EEEEENSJ_5valueIiEEEEEEEEEEEE10hipError_tPvRmT3_T4_T5_T6_T7_T9_mT8_P12ihipStream_tbDpT10_ENKUlT_T0_E_clISt17integral_constantIbLb0EES1H_EEDaS1C_S1D_EUlS1C_E_NS1_11comp_targetILNS1_3genE10ELNS1_11target_archE1200ELNS1_3gpuE4ELNS1_3repE0EEENS1_30default_config_static_selectorELNS0_4arch9wavefront6targetE1EEEvT1_, .Lfunc_end256-_ZN7rocprim17ROCPRIM_400000_NS6detail17trampoline_kernelINS0_14default_configENS1_25partition_config_selectorILNS1_17partition_subalgoE6EiNS0_10empty_typeEbEEZZNS1_14partition_implILS5_6ELb0ES3_mPiPS6_SA_NS0_5tupleIJS9_S6_EEENSB_IJSA_SA_EEES6_PlJN6thrust23THRUST_200600_302600_NS6detail9not_fun_tINSH_10functional5actorINSJ_9compositeIJNSJ_27transparent_binary_operatorINSG_8equal_toIvEEEENSK_INSJ_8argumentILj0EEEEENSJ_5valueIiEEEEEEEEEEEE10hipError_tPvRmT3_T4_T5_T6_T7_T9_mT8_P12ihipStream_tbDpT10_ENKUlT_T0_E_clISt17integral_constantIbLb0EES1H_EEDaS1C_S1D_EUlS1C_E_NS1_11comp_targetILNS1_3genE10ELNS1_11target_archE1200ELNS1_3gpuE4ELNS1_3repE0EEENS1_30default_config_static_selectorELNS0_4arch9wavefront6targetE1EEEvT1_
                                        ; -- End function
	.section	.AMDGPU.csdata,"",@progbits
; Kernel info:
; codeLenInByte = 0
; NumSgprs: 4
; NumVgprs: 0
; NumAgprs: 0
; TotalNumVgprs: 0
; ScratchSize: 0
; MemoryBound: 0
; FloatMode: 240
; IeeeMode: 1
; LDSByteSize: 0 bytes/workgroup (compile time only)
; SGPRBlocks: 0
; VGPRBlocks: 0
; NumSGPRsForWavesPerEU: 4
; NumVGPRsForWavesPerEU: 1
; AccumOffset: 4
; Occupancy: 8
; WaveLimiterHint : 0
; COMPUTE_PGM_RSRC2:SCRATCH_EN: 0
; COMPUTE_PGM_RSRC2:USER_SGPR: 6
; COMPUTE_PGM_RSRC2:TRAP_HANDLER: 0
; COMPUTE_PGM_RSRC2:TGID_X_EN: 1
; COMPUTE_PGM_RSRC2:TGID_Y_EN: 0
; COMPUTE_PGM_RSRC2:TGID_Z_EN: 0
; COMPUTE_PGM_RSRC2:TIDIG_COMP_CNT: 0
; COMPUTE_PGM_RSRC3_GFX90A:ACCUM_OFFSET: 0
; COMPUTE_PGM_RSRC3_GFX90A:TG_SPLIT: 0
	.section	.text._ZN7rocprim17ROCPRIM_400000_NS6detail17trampoline_kernelINS0_14default_configENS1_25partition_config_selectorILNS1_17partition_subalgoE6EiNS0_10empty_typeEbEEZZNS1_14partition_implILS5_6ELb0ES3_mPiPS6_SA_NS0_5tupleIJS9_S6_EEENSB_IJSA_SA_EEES6_PlJN6thrust23THRUST_200600_302600_NS6detail9not_fun_tINSH_10functional5actorINSJ_9compositeIJNSJ_27transparent_binary_operatorINSG_8equal_toIvEEEENSK_INSJ_8argumentILj0EEEEENSJ_5valueIiEEEEEEEEEEEE10hipError_tPvRmT3_T4_T5_T6_T7_T9_mT8_P12ihipStream_tbDpT10_ENKUlT_T0_E_clISt17integral_constantIbLb0EES1H_EEDaS1C_S1D_EUlS1C_E_NS1_11comp_targetILNS1_3genE9ELNS1_11target_archE1100ELNS1_3gpuE3ELNS1_3repE0EEENS1_30default_config_static_selectorELNS0_4arch9wavefront6targetE1EEEvT1_,"axG",@progbits,_ZN7rocprim17ROCPRIM_400000_NS6detail17trampoline_kernelINS0_14default_configENS1_25partition_config_selectorILNS1_17partition_subalgoE6EiNS0_10empty_typeEbEEZZNS1_14partition_implILS5_6ELb0ES3_mPiPS6_SA_NS0_5tupleIJS9_S6_EEENSB_IJSA_SA_EEES6_PlJN6thrust23THRUST_200600_302600_NS6detail9not_fun_tINSH_10functional5actorINSJ_9compositeIJNSJ_27transparent_binary_operatorINSG_8equal_toIvEEEENSK_INSJ_8argumentILj0EEEEENSJ_5valueIiEEEEEEEEEEEE10hipError_tPvRmT3_T4_T5_T6_T7_T9_mT8_P12ihipStream_tbDpT10_ENKUlT_T0_E_clISt17integral_constantIbLb0EES1H_EEDaS1C_S1D_EUlS1C_E_NS1_11comp_targetILNS1_3genE9ELNS1_11target_archE1100ELNS1_3gpuE3ELNS1_3repE0EEENS1_30default_config_static_selectorELNS0_4arch9wavefront6targetE1EEEvT1_,comdat
	.protected	_ZN7rocprim17ROCPRIM_400000_NS6detail17trampoline_kernelINS0_14default_configENS1_25partition_config_selectorILNS1_17partition_subalgoE6EiNS0_10empty_typeEbEEZZNS1_14partition_implILS5_6ELb0ES3_mPiPS6_SA_NS0_5tupleIJS9_S6_EEENSB_IJSA_SA_EEES6_PlJN6thrust23THRUST_200600_302600_NS6detail9not_fun_tINSH_10functional5actorINSJ_9compositeIJNSJ_27transparent_binary_operatorINSG_8equal_toIvEEEENSK_INSJ_8argumentILj0EEEEENSJ_5valueIiEEEEEEEEEEEE10hipError_tPvRmT3_T4_T5_T6_T7_T9_mT8_P12ihipStream_tbDpT10_ENKUlT_T0_E_clISt17integral_constantIbLb0EES1H_EEDaS1C_S1D_EUlS1C_E_NS1_11comp_targetILNS1_3genE9ELNS1_11target_archE1100ELNS1_3gpuE3ELNS1_3repE0EEENS1_30default_config_static_selectorELNS0_4arch9wavefront6targetE1EEEvT1_ ; -- Begin function _ZN7rocprim17ROCPRIM_400000_NS6detail17trampoline_kernelINS0_14default_configENS1_25partition_config_selectorILNS1_17partition_subalgoE6EiNS0_10empty_typeEbEEZZNS1_14partition_implILS5_6ELb0ES3_mPiPS6_SA_NS0_5tupleIJS9_S6_EEENSB_IJSA_SA_EEES6_PlJN6thrust23THRUST_200600_302600_NS6detail9not_fun_tINSH_10functional5actorINSJ_9compositeIJNSJ_27transparent_binary_operatorINSG_8equal_toIvEEEENSK_INSJ_8argumentILj0EEEEENSJ_5valueIiEEEEEEEEEEEE10hipError_tPvRmT3_T4_T5_T6_T7_T9_mT8_P12ihipStream_tbDpT10_ENKUlT_T0_E_clISt17integral_constantIbLb0EES1H_EEDaS1C_S1D_EUlS1C_E_NS1_11comp_targetILNS1_3genE9ELNS1_11target_archE1100ELNS1_3gpuE3ELNS1_3repE0EEENS1_30default_config_static_selectorELNS0_4arch9wavefront6targetE1EEEvT1_
	.globl	_ZN7rocprim17ROCPRIM_400000_NS6detail17trampoline_kernelINS0_14default_configENS1_25partition_config_selectorILNS1_17partition_subalgoE6EiNS0_10empty_typeEbEEZZNS1_14partition_implILS5_6ELb0ES3_mPiPS6_SA_NS0_5tupleIJS9_S6_EEENSB_IJSA_SA_EEES6_PlJN6thrust23THRUST_200600_302600_NS6detail9not_fun_tINSH_10functional5actorINSJ_9compositeIJNSJ_27transparent_binary_operatorINSG_8equal_toIvEEEENSK_INSJ_8argumentILj0EEEEENSJ_5valueIiEEEEEEEEEEEE10hipError_tPvRmT3_T4_T5_T6_T7_T9_mT8_P12ihipStream_tbDpT10_ENKUlT_T0_E_clISt17integral_constantIbLb0EES1H_EEDaS1C_S1D_EUlS1C_E_NS1_11comp_targetILNS1_3genE9ELNS1_11target_archE1100ELNS1_3gpuE3ELNS1_3repE0EEENS1_30default_config_static_selectorELNS0_4arch9wavefront6targetE1EEEvT1_
	.p2align	8
	.type	_ZN7rocprim17ROCPRIM_400000_NS6detail17trampoline_kernelINS0_14default_configENS1_25partition_config_selectorILNS1_17partition_subalgoE6EiNS0_10empty_typeEbEEZZNS1_14partition_implILS5_6ELb0ES3_mPiPS6_SA_NS0_5tupleIJS9_S6_EEENSB_IJSA_SA_EEES6_PlJN6thrust23THRUST_200600_302600_NS6detail9not_fun_tINSH_10functional5actorINSJ_9compositeIJNSJ_27transparent_binary_operatorINSG_8equal_toIvEEEENSK_INSJ_8argumentILj0EEEEENSJ_5valueIiEEEEEEEEEEEE10hipError_tPvRmT3_T4_T5_T6_T7_T9_mT8_P12ihipStream_tbDpT10_ENKUlT_T0_E_clISt17integral_constantIbLb0EES1H_EEDaS1C_S1D_EUlS1C_E_NS1_11comp_targetILNS1_3genE9ELNS1_11target_archE1100ELNS1_3gpuE3ELNS1_3repE0EEENS1_30default_config_static_selectorELNS0_4arch9wavefront6targetE1EEEvT1_,@function
_ZN7rocprim17ROCPRIM_400000_NS6detail17trampoline_kernelINS0_14default_configENS1_25partition_config_selectorILNS1_17partition_subalgoE6EiNS0_10empty_typeEbEEZZNS1_14partition_implILS5_6ELb0ES3_mPiPS6_SA_NS0_5tupleIJS9_S6_EEENSB_IJSA_SA_EEES6_PlJN6thrust23THRUST_200600_302600_NS6detail9not_fun_tINSH_10functional5actorINSJ_9compositeIJNSJ_27transparent_binary_operatorINSG_8equal_toIvEEEENSK_INSJ_8argumentILj0EEEEENSJ_5valueIiEEEEEEEEEEEE10hipError_tPvRmT3_T4_T5_T6_T7_T9_mT8_P12ihipStream_tbDpT10_ENKUlT_T0_E_clISt17integral_constantIbLb0EES1H_EEDaS1C_S1D_EUlS1C_E_NS1_11comp_targetILNS1_3genE9ELNS1_11target_archE1100ELNS1_3gpuE3ELNS1_3repE0EEENS1_30default_config_static_selectorELNS0_4arch9wavefront6targetE1EEEvT1_: ; @_ZN7rocprim17ROCPRIM_400000_NS6detail17trampoline_kernelINS0_14default_configENS1_25partition_config_selectorILNS1_17partition_subalgoE6EiNS0_10empty_typeEbEEZZNS1_14partition_implILS5_6ELb0ES3_mPiPS6_SA_NS0_5tupleIJS9_S6_EEENSB_IJSA_SA_EEES6_PlJN6thrust23THRUST_200600_302600_NS6detail9not_fun_tINSH_10functional5actorINSJ_9compositeIJNSJ_27transparent_binary_operatorINSG_8equal_toIvEEEENSK_INSJ_8argumentILj0EEEEENSJ_5valueIiEEEEEEEEEEEE10hipError_tPvRmT3_T4_T5_T6_T7_T9_mT8_P12ihipStream_tbDpT10_ENKUlT_T0_E_clISt17integral_constantIbLb0EES1H_EEDaS1C_S1D_EUlS1C_E_NS1_11comp_targetILNS1_3genE9ELNS1_11target_archE1100ELNS1_3gpuE3ELNS1_3repE0EEENS1_30default_config_static_selectorELNS0_4arch9wavefront6targetE1EEEvT1_
; %bb.0:
	.section	.rodata,"a",@progbits
	.p2align	6, 0x0
	.amdhsa_kernel _ZN7rocprim17ROCPRIM_400000_NS6detail17trampoline_kernelINS0_14default_configENS1_25partition_config_selectorILNS1_17partition_subalgoE6EiNS0_10empty_typeEbEEZZNS1_14partition_implILS5_6ELb0ES3_mPiPS6_SA_NS0_5tupleIJS9_S6_EEENSB_IJSA_SA_EEES6_PlJN6thrust23THRUST_200600_302600_NS6detail9not_fun_tINSH_10functional5actorINSJ_9compositeIJNSJ_27transparent_binary_operatorINSG_8equal_toIvEEEENSK_INSJ_8argumentILj0EEEEENSJ_5valueIiEEEEEEEEEEEE10hipError_tPvRmT3_T4_T5_T6_T7_T9_mT8_P12ihipStream_tbDpT10_ENKUlT_T0_E_clISt17integral_constantIbLb0EES1H_EEDaS1C_S1D_EUlS1C_E_NS1_11comp_targetILNS1_3genE9ELNS1_11target_archE1100ELNS1_3gpuE3ELNS1_3repE0EEENS1_30default_config_static_selectorELNS0_4arch9wavefront6targetE1EEEvT1_
		.amdhsa_group_segment_fixed_size 0
		.amdhsa_private_segment_fixed_size 0
		.amdhsa_kernarg_size 120
		.amdhsa_user_sgpr_count 6
		.amdhsa_user_sgpr_private_segment_buffer 1
		.amdhsa_user_sgpr_dispatch_ptr 0
		.amdhsa_user_sgpr_queue_ptr 0
		.amdhsa_user_sgpr_kernarg_segment_ptr 1
		.amdhsa_user_sgpr_dispatch_id 0
		.amdhsa_user_sgpr_flat_scratch_init 0
		.amdhsa_user_sgpr_kernarg_preload_length 0
		.amdhsa_user_sgpr_kernarg_preload_offset 0
		.amdhsa_user_sgpr_private_segment_size 0
		.amdhsa_uses_dynamic_stack 0
		.amdhsa_system_sgpr_private_segment_wavefront_offset 0
		.amdhsa_system_sgpr_workgroup_id_x 1
		.amdhsa_system_sgpr_workgroup_id_y 0
		.amdhsa_system_sgpr_workgroup_id_z 0
		.amdhsa_system_sgpr_workgroup_info 0
		.amdhsa_system_vgpr_workitem_id 0
		.amdhsa_next_free_vgpr 1
		.amdhsa_next_free_sgpr 0
		.amdhsa_accum_offset 4
		.amdhsa_reserve_vcc 0
		.amdhsa_reserve_flat_scratch 0
		.amdhsa_float_round_mode_32 0
		.amdhsa_float_round_mode_16_64 0
		.amdhsa_float_denorm_mode_32 3
		.amdhsa_float_denorm_mode_16_64 3
		.amdhsa_dx10_clamp 1
		.amdhsa_ieee_mode 1
		.amdhsa_fp16_overflow 0
		.amdhsa_tg_split 0
		.amdhsa_exception_fp_ieee_invalid_op 0
		.amdhsa_exception_fp_denorm_src 0
		.amdhsa_exception_fp_ieee_div_zero 0
		.amdhsa_exception_fp_ieee_overflow 0
		.amdhsa_exception_fp_ieee_underflow 0
		.amdhsa_exception_fp_ieee_inexact 0
		.amdhsa_exception_int_div_zero 0
	.end_amdhsa_kernel
	.section	.text._ZN7rocprim17ROCPRIM_400000_NS6detail17trampoline_kernelINS0_14default_configENS1_25partition_config_selectorILNS1_17partition_subalgoE6EiNS0_10empty_typeEbEEZZNS1_14partition_implILS5_6ELb0ES3_mPiPS6_SA_NS0_5tupleIJS9_S6_EEENSB_IJSA_SA_EEES6_PlJN6thrust23THRUST_200600_302600_NS6detail9not_fun_tINSH_10functional5actorINSJ_9compositeIJNSJ_27transparent_binary_operatorINSG_8equal_toIvEEEENSK_INSJ_8argumentILj0EEEEENSJ_5valueIiEEEEEEEEEEEE10hipError_tPvRmT3_T4_T5_T6_T7_T9_mT8_P12ihipStream_tbDpT10_ENKUlT_T0_E_clISt17integral_constantIbLb0EES1H_EEDaS1C_S1D_EUlS1C_E_NS1_11comp_targetILNS1_3genE9ELNS1_11target_archE1100ELNS1_3gpuE3ELNS1_3repE0EEENS1_30default_config_static_selectorELNS0_4arch9wavefront6targetE1EEEvT1_,"axG",@progbits,_ZN7rocprim17ROCPRIM_400000_NS6detail17trampoline_kernelINS0_14default_configENS1_25partition_config_selectorILNS1_17partition_subalgoE6EiNS0_10empty_typeEbEEZZNS1_14partition_implILS5_6ELb0ES3_mPiPS6_SA_NS0_5tupleIJS9_S6_EEENSB_IJSA_SA_EEES6_PlJN6thrust23THRUST_200600_302600_NS6detail9not_fun_tINSH_10functional5actorINSJ_9compositeIJNSJ_27transparent_binary_operatorINSG_8equal_toIvEEEENSK_INSJ_8argumentILj0EEEEENSJ_5valueIiEEEEEEEEEEEE10hipError_tPvRmT3_T4_T5_T6_T7_T9_mT8_P12ihipStream_tbDpT10_ENKUlT_T0_E_clISt17integral_constantIbLb0EES1H_EEDaS1C_S1D_EUlS1C_E_NS1_11comp_targetILNS1_3genE9ELNS1_11target_archE1100ELNS1_3gpuE3ELNS1_3repE0EEENS1_30default_config_static_selectorELNS0_4arch9wavefront6targetE1EEEvT1_,comdat
.Lfunc_end257:
	.size	_ZN7rocprim17ROCPRIM_400000_NS6detail17trampoline_kernelINS0_14default_configENS1_25partition_config_selectorILNS1_17partition_subalgoE6EiNS0_10empty_typeEbEEZZNS1_14partition_implILS5_6ELb0ES3_mPiPS6_SA_NS0_5tupleIJS9_S6_EEENSB_IJSA_SA_EEES6_PlJN6thrust23THRUST_200600_302600_NS6detail9not_fun_tINSH_10functional5actorINSJ_9compositeIJNSJ_27transparent_binary_operatorINSG_8equal_toIvEEEENSK_INSJ_8argumentILj0EEEEENSJ_5valueIiEEEEEEEEEEEE10hipError_tPvRmT3_T4_T5_T6_T7_T9_mT8_P12ihipStream_tbDpT10_ENKUlT_T0_E_clISt17integral_constantIbLb0EES1H_EEDaS1C_S1D_EUlS1C_E_NS1_11comp_targetILNS1_3genE9ELNS1_11target_archE1100ELNS1_3gpuE3ELNS1_3repE0EEENS1_30default_config_static_selectorELNS0_4arch9wavefront6targetE1EEEvT1_, .Lfunc_end257-_ZN7rocprim17ROCPRIM_400000_NS6detail17trampoline_kernelINS0_14default_configENS1_25partition_config_selectorILNS1_17partition_subalgoE6EiNS0_10empty_typeEbEEZZNS1_14partition_implILS5_6ELb0ES3_mPiPS6_SA_NS0_5tupleIJS9_S6_EEENSB_IJSA_SA_EEES6_PlJN6thrust23THRUST_200600_302600_NS6detail9not_fun_tINSH_10functional5actorINSJ_9compositeIJNSJ_27transparent_binary_operatorINSG_8equal_toIvEEEENSK_INSJ_8argumentILj0EEEEENSJ_5valueIiEEEEEEEEEEEE10hipError_tPvRmT3_T4_T5_T6_T7_T9_mT8_P12ihipStream_tbDpT10_ENKUlT_T0_E_clISt17integral_constantIbLb0EES1H_EEDaS1C_S1D_EUlS1C_E_NS1_11comp_targetILNS1_3genE9ELNS1_11target_archE1100ELNS1_3gpuE3ELNS1_3repE0EEENS1_30default_config_static_selectorELNS0_4arch9wavefront6targetE1EEEvT1_
                                        ; -- End function
	.section	.AMDGPU.csdata,"",@progbits
; Kernel info:
; codeLenInByte = 0
; NumSgprs: 4
; NumVgprs: 0
; NumAgprs: 0
; TotalNumVgprs: 0
; ScratchSize: 0
; MemoryBound: 0
; FloatMode: 240
; IeeeMode: 1
; LDSByteSize: 0 bytes/workgroup (compile time only)
; SGPRBlocks: 0
; VGPRBlocks: 0
; NumSGPRsForWavesPerEU: 4
; NumVGPRsForWavesPerEU: 1
; AccumOffset: 4
; Occupancy: 8
; WaveLimiterHint : 0
; COMPUTE_PGM_RSRC2:SCRATCH_EN: 0
; COMPUTE_PGM_RSRC2:USER_SGPR: 6
; COMPUTE_PGM_RSRC2:TRAP_HANDLER: 0
; COMPUTE_PGM_RSRC2:TGID_X_EN: 1
; COMPUTE_PGM_RSRC2:TGID_Y_EN: 0
; COMPUTE_PGM_RSRC2:TGID_Z_EN: 0
; COMPUTE_PGM_RSRC2:TIDIG_COMP_CNT: 0
; COMPUTE_PGM_RSRC3_GFX90A:ACCUM_OFFSET: 0
; COMPUTE_PGM_RSRC3_GFX90A:TG_SPLIT: 0
	.section	.text._ZN7rocprim17ROCPRIM_400000_NS6detail17trampoline_kernelINS0_14default_configENS1_25partition_config_selectorILNS1_17partition_subalgoE6EiNS0_10empty_typeEbEEZZNS1_14partition_implILS5_6ELb0ES3_mPiPS6_SA_NS0_5tupleIJS9_S6_EEENSB_IJSA_SA_EEES6_PlJN6thrust23THRUST_200600_302600_NS6detail9not_fun_tINSH_10functional5actorINSJ_9compositeIJNSJ_27transparent_binary_operatorINSG_8equal_toIvEEEENSK_INSJ_8argumentILj0EEEEENSJ_5valueIiEEEEEEEEEEEE10hipError_tPvRmT3_T4_T5_T6_T7_T9_mT8_P12ihipStream_tbDpT10_ENKUlT_T0_E_clISt17integral_constantIbLb0EES1H_EEDaS1C_S1D_EUlS1C_E_NS1_11comp_targetILNS1_3genE8ELNS1_11target_archE1030ELNS1_3gpuE2ELNS1_3repE0EEENS1_30default_config_static_selectorELNS0_4arch9wavefront6targetE1EEEvT1_,"axG",@progbits,_ZN7rocprim17ROCPRIM_400000_NS6detail17trampoline_kernelINS0_14default_configENS1_25partition_config_selectorILNS1_17partition_subalgoE6EiNS0_10empty_typeEbEEZZNS1_14partition_implILS5_6ELb0ES3_mPiPS6_SA_NS0_5tupleIJS9_S6_EEENSB_IJSA_SA_EEES6_PlJN6thrust23THRUST_200600_302600_NS6detail9not_fun_tINSH_10functional5actorINSJ_9compositeIJNSJ_27transparent_binary_operatorINSG_8equal_toIvEEEENSK_INSJ_8argumentILj0EEEEENSJ_5valueIiEEEEEEEEEEEE10hipError_tPvRmT3_T4_T5_T6_T7_T9_mT8_P12ihipStream_tbDpT10_ENKUlT_T0_E_clISt17integral_constantIbLb0EES1H_EEDaS1C_S1D_EUlS1C_E_NS1_11comp_targetILNS1_3genE8ELNS1_11target_archE1030ELNS1_3gpuE2ELNS1_3repE0EEENS1_30default_config_static_selectorELNS0_4arch9wavefront6targetE1EEEvT1_,comdat
	.protected	_ZN7rocprim17ROCPRIM_400000_NS6detail17trampoline_kernelINS0_14default_configENS1_25partition_config_selectorILNS1_17partition_subalgoE6EiNS0_10empty_typeEbEEZZNS1_14partition_implILS5_6ELb0ES3_mPiPS6_SA_NS0_5tupleIJS9_S6_EEENSB_IJSA_SA_EEES6_PlJN6thrust23THRUST_200600_302600_NS6detail9not_fun_tINSH_10functional5actorINSJ_9compositeIJNSJ_27transparent_binary_operatorINSG_8equal_toIvEEEENSK_INSJ_8argumentILj0EEEEENSJ_5valueIiEEEEEEEEEEEE10hipError_tPvRmT3_T4_T5_T6_T7_T9_mT8_P12ihipStream_tbDpT10_ENKUlT_T0_E_clISt17integral_constantIbLb0EES1H_EEDaS1C_S1D_EUlS1C_E_NS1_11comp_targetILNS1_3genE8ELNS1_11target_archE1030ELNS1_3gpuE2ELNS1_3repE0EEENS1_30default_config_static_selectorELNS0_4arch9wavefront6targetE1EEEvT1_ ; -- Begin function _ZN7rocprim17ROCPRIM_400000_NS6detail17trampoline_kernelINS0_14default_configENS1_25partition_config_selectorILNS1_17partition_subalgoE6EiNS0_10empty_typeEbEEZZNS1_14partition_implILS5_6ELb0ES3_mPiPS6_SA_NS0_5tupleIJS9_S6_EEENSB_IJSA_SA_EEES6_PlJN6thrust23THRUST_200600_302600_NS6detail9not_fun_tINSH_10functional5actorINSJ_9compositeIJNSJ_27transparent_binary_operatorINSG_8equal_toIvEEEENSK_INSJ_8argumentILj0EEEEENSJ_5valueIiEEEEEEEEEEEE10hipError_tPvRmT3_T4_T5_T6_T7_T9_mT8_P12ihipStream_tbDpT10_ENKUlT_T0_E_clISt17integral_constantIbLb0EES1H_EEDaS1C_S1D_EUlS1C_E_NS1_11comp_targetILNS1_3genE8ELNS1_11target_archE1030ELNS1_3gpuE2ELNS1_3repE0EEENS1_30default_config_static_selectorELNS0_4arch9wavefront6targetE1EEEvT1_
	.globl	_ZN7rocprim17ROCPRIM_400000_NS6detail17trampoline_kernelINS0_14default_configENS1_25partition_config_selectorILNS1_17partition_subalgoE6EiNS0_10empty_typeEbEEZZNS1_14partition_implILS5_6ELb0ES3_mPiPS6_SA_NS0_5tupleIJS9_S6_EEENSB_IJSA_SA_EEES6_PlJN6thrust23THRUST_200600_302600_NS6detail9not_fun_tINSH_10functional5actorINSJ_9compositeIJNSJ_27transparent_binary_operatorINSG_8equal_toIvEEEENSK_INSJ_8argumentILj0EEEEENSJ_5valueIiEEEEEEEEEEEE10hipError_tPvRmT3_T4_T5_T6_T7_T9_mT8_P12ihipStream_tbDpT10_ENKUlT_T0_E_clISt17integral_constantIbLb0EES1H_EEDaS1C_S1D_EUlS1C_E_NS1_11comp_targetILNS1_3genE8ELNS1_11target_archE1030ELNS1_3gpuE2ELNS1_3repE0EEENS1_30default_config_static_selectorELNS0_4arch9wavefront6targetE1EEEvT1_
	.p2align	8
	.type	_ZN7rocprim17ROCPRIM_400000_NS6detail17trampoline_kernelINS0_14default_configENS1_25partition_config_selectorILNS1_17partition_subalgoE6EiNS0_10empty_typeEbEEZZNS1_14partition_implILS5_6ELb0ES3_mPiPS6_SA_NS0_5tupleIJS9_S6_EEENSB_IJSA_SA_EEES6_PlJN6thrust23THRUST_200600_302600_NS6detail9not_fun_tINSH_10functional5actorINSJ_9compositeIJNSJ_27transparent_binary_operatorINSG_8equal_toIvEEEENSK_INSJ_8argumentILj0EEEEENSJ_5valueIiEEEEEEEEEEEE10hipError_tPvRmT3_T4_T5_T6_T7_T9_mT8_P12ihipStream_tbDpT10_ENKUlT_T0_E_clISt17integral_constantIbLb0EES1H_EEDaS1C_S1D_EUlS1C_E_NS1_11comp_targetILNS1_3genE8ELNS1_11target_archE1030ELNS1_3gpuE2ELNS1_3repE0EEENS1_30default_config_static_selectorELNS0_4arch9wavefront6targetE1EEEvT1_,@function
_ZN7rocprim17ROCPRIM_400000_NS6detail17trampoline_kernelINS0_14default_configENS1_25partition_config_selectorILNS1_17partition_subalgoE6EiNS0_10empty_typeEbEEZZNS1_14partition_implILS5_6ELb0ES3_mPiPS6_SA_NS0_5tupleIJS9_S6_EEENSB_IJSA_SA_EEES6_PlJN6thrust23THRUST_200600_302600_NS6detail9not_fun_tINSH_10functional5actorINSJ_9compositeIJNSJ_27transparent_binary_operatorINSG_8equal_toIvEEEENSK_INSJ_8argumentILj0EEEEENSJ_5valueIiEEEEEEEEEEEE10hipError_tPvRmT3_T4_T5_T6_T7_T9_mT8_P12ihipStream_tbDpT10_ENKUlT_T0_E_clISt17integral_constantIbLb0EES1H_EEDaS1C_S1D_EUlS1C_E_NS1_11comp_targetILNS1_3genE8ELNS1_11target_archE1030ELNS1_3gpuE2ELNS1_3repE0EEENS1_30default_config_static_selectorELNS0_4arch9wavefront6targetE1EEEvT1_: ; @_ZN7rocprim17ROCPRIM_400000_NS6detail17trampoline_kernelINS0_14default_configENS1_25partition_config_selectorILNS1_17partition_subalgoE6EiNS0_10empty_typeEbEEZZNS1_14partition_implILS5_6ELb0ES3_mPiPS6_SA_NS0_5tupleIJS9_S6_EEENSB_IJSA_SA_EEES6_PlJN6thrust23THRUST_200600_302600_NS6detail9not_fun_tINSH_10functional5actorINSJ_9compositeIJNSJ_27transparent_binary_operatorINSG_8equal_toIvEEEENSK_INSJ_8argumentILj0EEEEENSJ_5valueIiEEEEEEEEEEEE10hipError_tPvRmT3_T4_T5_T6_T7_T9_mT8_P12ihipStream_tbDpT10_ENKUlT_T0_E_clISt17integral_constantIbLb0EES1H_EEDaS1C_S1D_EUlS1C_E_NS1_11comp_targetILNS1_3genE8ELNS1_11target_archE1030ELNS1_3gpuE2ELNS1_3repE0EEENS1_30default_config_static_selectorELNS0_4arch9wavefront6targetE1EEEvT1_
; %bb.0:
	.section	.rodata,"a",@progbits
	.p2align	6, 0x0
	.amdhsa_kernel _ZN7rocprim17ROCPRIM_400000_NS6detail17trampoline_kernelINS0_14default_configENS1_25partition_config_selectorILNS1_17partition_subalgoE6EiNS0_10empty_typeEbEEZZNS1_14partition_implILS5_6ELb0ES3_mPiPS6_SA_NS0_5tupleIJS9_S6_EEENSB_IJSA_SA_EEES6_PlJN6thrust23THRUST_200600_302600_NS6detail9not_fun_tINSH_10functional5actorINSJ_9compositeIJNSJ_27transparent_binary_operatorINSG_8equal_toIvEEEENSK_INSJ_8argumentILj0EEEEENSJ_5valueIiEEEEEEEEEEEE10hipError_tPvRmT3_T4_T5_T6_T7_T9_mT8_P12ihipStream_tbDpT10_ENKUlT_T0_E_clISt17integral_constantIbLb0EES1H_EEDaS1C_S1D_EUlS1C_E_NS1_11comp_targetILNS1_3genE8ELNS1_11target_archE1030ELNS1_3gpuE2ELNS1_3repE0EEENS1_30default_config_static_selectorELNS0_4arch9wavefront6targetE1EEEvT1_
		.amdhsa_group_segment_fixed_size 0
		.amdhsa_private_segment_fixed_size 0
		.amdhsa_kernarg_size 120
		.amdhsa_user_sgpr_count 6
		.amdhsa_user_sgpr_private_segment_buffer 1
		.amdhsa_user_sgpr_dispatch_ptr 0
		.amdhsa_user_sgpr_queue_ptr 0
		.amdhsa_user_sgpr_kernarg_segment_ptr 1
		.amdhsa_user_sgpr_dispatch_id 0
		.amdhsa_user_sgpr_flat_scratch_init 0
		.amdhsa_user_sgpr_kernarg_preload_length 0
		.amdhsa_user_sgpr_kernarg_preload_offset 0
		.amdhsa_user_sgpr_private_segment_size 0
		.amdhsa_uses_dynamic_stack 0
		.amdhsa_system_sgpr_private_segment_wavefront_offset 0
		.amdhsa_system_sgpr_workgroup_id_x 1
		.amdhsa_system_sgpr_workgroup_id_y 0
		.amdhsa_system_sgpr_workgroup_id_z 0
		.amdhsa_system_sgpr_workgroup_info 0
		.amdhsa_system_vgpr_workitem_id 0
		.amdhsa_next_free_vgpr 1
		.amdhsa_next_free_sgpr 0
		.amdhsa_accum_offset 4
		.amdhsa_reserve_vcc 0
		.amdhsa_reserve_flat_scratch 0
		.amdhsa_float_round_mode_32 0
		.amdhsa_float_round_mode_16_64 0
		.amdhsa_float_denorm_mode_32 3
		.amdhsa_float_denorm_mode_16_64 3
		.amdhsa_dx10_clamp 1
		.amdhsa_ieee_mode 1
		.amdhsa_fp16_overflow 0
		.amdhsa_tg_split 0
		.amdhsa_exception_fp_ieee_invalid_op 0
		.amdhsa_exception_fp_denorm_src 0
		.amdhsa_exception_fp_ieee_div_zero 0
		.amdhsa_exception_fp_ieee_overflow 0
		.amdhsa_exception_fp_ieee_underflow 0
		.amdhsa_exception_fp_ieee_inexact 0
		.amdhsa_exception_int_div_zero 0
	.end_amdhsa_kernel
	.section	.text._ZN7rocprim17ROCPRIM_400000_NS6detail17trampoline_kernelINS0_14default_configENS1_25partition_config_selectorILNS1_17partition_subalgoE6EiNS0_10empty_typeEbEEZZNS1_14partition_implILS5_6ELb0ES3_mPiPS6_SA_NS0_5tupleIJS9_S6_EEENSB_IJSA_SA_EEES6_PlJN6thrust23THRUST_200600_302600_NS6detail9not_fun_tINSH_10functional5actorINSJ_9compositeIJNSJ_27transparent_binary_operatorINSG_8equal_toIvEEEENSK_INSJ_8argumentILj0EEEEENSJ_5valueIiEEEEEEEEEEEE10hipError_tPvRmT3_T4_T5_T6_T7_T9_mT8_P12ihipStream_tbDpT10_ENKUlT_T0_E_clISt17integral_constantIbLb0EES1H_EEDaS1C_S1D_EUlS1C_E_NS1_11comp_targetILNS1_3genE8ELNS1_11target_archE1030ELNS1_3gpuE2ELNS1_3repE0EEENS1_30default_config_static_selectorELNS0_4arch9wavefront6targetE1EEEvT1_,"axG",@progbits,_ZN7rocprim17ROCPRIM_400000_NS6detail17trampoline_kernelINS0_14default_configENS1_25partition_config_selectorILNS1_17partition_subalgoE6EiNS0_10empty_typeEbEEZZNS1_14partition_implILS5_6ELb0ES3_mPiPS6_SA_NS0_5tupleIJS9_S6_EEENSB_IJSA_SA_EEES6_PlJN6thrust23THRUST_200600_302600_NS6detail9not_fun_tINSH_10functional5actorINSJ_9compositeIJNSJ_27transparent_binary_operatorINSG_8equal_toIvEEEENSK_INSJ_8argumentILj0EEEEENSJ_5valueIiEEEEEEEEEEEE10hipError_tPvRmT3_T4_T5_T6_T7_T9_mT8_P12ihipStream_tbDpT10_ENKUlT_T0_E_clISt17integral_constantIbLb0EES1H_EEDaS1C_S1D_EUlS1C_E_NS1_11comp_targetILNS1_3genE8ELNS1_11target_archE1030ELNS1_3gpuE2ELNS1_3repE0EEENS1_30default_config_static_selectorELNS0_4arch9wavefront6targetE1EEEvT1_,comdat
.Lfunc_end258:
	.size	_ZN7rocprim17ROCPRIM_400000_NS6detail17trampoline_kernelINS0_14default_configENS1_25partition_config_selectorILNS1_17partition_subalgoE6EiNS0_10empty_typeEbEEZZNS1_14partition_implILS5_6ELb0ES3_mPiPS6_SA_NS0_5tupleIJS9_S6_EEENSB_IJSA_SA_EEES6_PlJN6thrust23THRUST_200600_302600_NS6detail9not_fun_tINSH_10functional5actorINSJ_9compositeIJNSJ_27transparent_binary_operatorINSG_8equal_toIvEEEENSK_INSJ_8argumentILj0EEEEENSJ_5valueIiEEEEEEEEEEEE10hipError_tPvRmT3_T4_T5_T6_T7_T9_mT8_P12ihipStream_tbDpT10_ENKUlT_T0_E_clISt17integral_constantIbLb0EES1H_EEDaS1C_S1D_EUlS1C_E_NS1_11comp_targetILNS1_3genE8ELNS1_11target_archE1030ELNS1_3gpuE2ELNS1_3repE0EEENS1_30default_config_static_selectorELNS0_4arch9wavefront6targetE1EEEvT1_, .Lfunc_end258-_ZN7rocprim17ROCPRIM_400000_NS6detail17trampoline_kernelINS0_14default_configENS1_25partition_config_selectorILNS1_17partition_subalgoE6EiNS0_10empty_typeEbEEZZNS1_14partition_implILS5_6ELb0ES3_mPiPS6_SA_NS0_5tupleIJS9_S6_EEENSB_IJSA_SA_EEES6_PlJN6thrust23THRUST_200600_302600_NS6detail9not_fun_tINSH_10functional5actorINSJ_9compositeIJNSJ_27transparent_binary_operatorINSG_8equal_toIvEEEENSK_INSJ_8argumentILj0EEEEENSJ_5valueIiEEEEEEEEEEEE10hipError_tPvRmT3_T4_T5_T6_T7_T9_mT8_P12ihipStream_tbDpT10_ENKUlT_T0_E_clISt17integral_constantIbLb0EES1H_EEDaS1C_S1D_EUlS1C_E_NS1_11comp_targetILNS1_3genE8ELNS1_11target_archE1030ELNS1_3gpuE2ELNS1_3repE0EEENS1_30default_config_static_selectorELNS0_4arch9wavefront6targetE1EEEvT1_
                                        ; -- End function
	.section	.AMDGPU.csdata,"",@progbits
; Kernel info:
; codeLenInByte = 0
; NumSgprs: 4
; NumVgprs: 0
; NumAgprs: 0
; TotalNumVgprs: 0
; ScratchSize: 0
; MemoryBound: 0
; FloatMode: 240
; IeeeMode: 1
; LDSByteSize: 0 bytes/workgroup (compile time only)
; SGPRBlocks: 0
; VGPRBlocks: 0
; NumSGPRsForWavesPerEU: 4
; NumVGPRsForWavesPerEU: 1
; AccumOffset: 4
; Occupancy: 8
; WaveLimiterHint : 0
; COMPUTE_PGM_RSRC2:SCRATCH_EN: 0
; COMPUTE_PGM_RSRC2:USER_SGPR: 6
; COMPUTE_PGM_RSRC2:TRAP_HANDLER: 0
; COMPUTE_PGM_RSRC2:TGID_X_EN: 1
; COMPUTE_PGM_RSRC2:TGID_Y_EN: 0
; COMPUTE_PGM_RSRC2:TGID_Z_EN: 0
; COMPUTE_PGM_RSRC2:TIDIG_COMP_CNT: 0
; COMPUTE_PGM_RSRC3_GFX90A:ACCUM_OFFSET: 0
; COMPUTE_PGM_RSRC3_GFX90A:TG_SPLIT: 0
	.section	.text._ZN7rocprim17ROCPRIM_400000_NS6detail17trampoline_kernelINS0_14default_configENS1_25partition_config_selectorILNS1_17partition_subalgoE6EiNS0_10empty_typeEbEEZZNS1_14partition_implILS5_6ELb0ES3_mPiPS6_SA_NS0_5tupleIJS9_S6_EEENSB_IJSA_SA_EEES6_PlJN6thrust23THRUST_200600_302600_NS6detail9not_fun_tINSH_10functional5actorINSJ_9compositeIJNSJ_27transparent_binary_operatorINSG_8equal_toIvEEEENSK_INSJ_8argumentILj0EEEEENSJ_5valueIiEEEEEEEEEEEE10hipError_tPvRmT3_T4_T5_T6_T7_T9_mT8_P12ihipStream_tbDpT10_ENKUlT_T0_E_clISt17integral_constantIbLb1EES1H_EEDaS1C_S1D_EUlS1C_E_NS1_11comp_targetILNS1_3genE0ELNS1_11target_archE4294967295ELNS1_3gpuE0ELNS1_3repE0EEENS1_30default_config_static_selectorELNS0_4arch9wavefront6targetE1EEEvT1_,"axG",@progbits,_ZN7rocprim17ROCPRIM_400000_NS6detail17trampoline_kernelINS0_14default_configENS1_25partition_config_selectorILNS1_17partition_subalgoE6EiNS0_10empty_typeEbEEZZNS1_14partition_implILS5_6ELb0ES3_mPiPS6_SA_NS0_5tupleIJS9_S6_EEENSB_IJSA_SA_EEES6_PlJN6thrust23THRUST_200600_302600_NS6detail9not_fun_tINSH_10functional5actorINSJ_9compositeIJNSJ_27transparent_binary_operatorINSG_8equal_toIvEEEENSK_INSJ_8argumentILj0EEEEENSJ_5valueIiEEEEEEEEEEEE10hipError_tPvRmT3_T4_T5_T6_T7_T9_mT8_P12ihipStream_tbDpT10_ENKUlT_T0_E_clISt17integral_constantIbLb1EES1H_EEDaS1C_S1D_EUlS1C_E_NS1_11comp_targetILNS1_3genE0ELNS1_11target_archE4294967295ELNS1_3gpuE0ELNS1_3repE0EEENS1_30default_config_static_selectorELNS0_4arch9wavefront6targetE1EEEvT1_,comdat
	.protected	_ZN7rocprim17ROCPRIM_400000_NS6detail17trampoline_kernelINS0_14default_configENS1_25partition_config_selectorILNS1_17partition_subalgoE6EiNS0_10empty_typeEbEEZZNS1_14partition_implILS5_6ELb0ES3_mPiPS6_SA_NS0_5tupleIJS9_S6_EEENSB_IJSA_SA_EEES6_PlJN6thrust23THRUST_200600_302600_NS6detail9not_fun_tINSH_10functional5actorINSJ_9compositeIJNSJ_27transparent_binary_operatorINSG_8equal_toIvEEEENSK_INSJ_8argumentILj0EEEEENSJ_5valueIiEEEEEEEEEEEE10hipError_tPvRmT3_T4_T5_T6_T7_T9_mT8_P12ihipStream_tbDpT10_ENKUlT_T0_E_clISt17integral_constantIbLb1EES1H_EEDaS1C_S1D_EUlS1C_E_NS1_11comp_targetILNS1_3genE0ELNS1_11target_archE4294967295ELNS1_3gpuE0ELNS1_3repE0EEENS1_30default_config_static_selectorELNS0_4arch9wavefront6targetE1EEEvT1_ ; -- Begin function _ZN7rocprim17ROCPRIM_400000_NS6detail17trampoline_kernelINS0_14default_configENS1_25partition_config_selectorILNS1_17partition_subalgoE6EiNS0_10empty_typeEbEEZZNS1_14partition_implILS5_6ELb0ES3_mPiPS6_SA_NS0_5tupleIJS9_S6_EEENSB_IJSA_SA_EEES6_PlJN6thrust23THRUST_200600_302600_NS6detail9not_fun_tINSH_10functional5actorINSJ_9compositeIJNSJ_27transparent_binary_operatorINSG_8equal_toIvEEEENSK_INSJ_8argumentILj0EEEEENSJ_5valueIiEEEEEEEEEEEE10hipError_tPvRmT3_T4_T5_T6_T7_T9_mT8_P12ihipStream_tbDpT10_ENKUlT_T0_E_clISt17integral_constantIbLb1EES1H_EEDaS1C_S1D_EUlS1C_E_NS1_11comp_targetILNS1_3genE0ELNS1_11target_archE4294967295ELNS1_3gpuE0ELNS1_3repE0EEENS1_30default_config_static_selectorELNS0_4arch9wavefront6targetE1EEEvT1_
	.globl	_ZN7rocprim17ROCPRIM_400000_NS6detail17trampoline_kernelINS0_14default_configENS1_25partition_config_selectorILNS1_17partition_subalgoE6EiNS0_10empty_typeEbEEZZNS1_14partition_implILS5_6ELb0ES3_mPiPS6_SA_NS0_5tupleIJS9_S6_EEENSB_IJSA_SA_EEES6_PlJN6thrust23THRUST_200600_302600_NS6detail9not_fun_tINSH_10functional5actorINSJ_9compositeIJNSJ_27transparent_binary_operatorINSG_8equal_toIvEEEENSK_INSJ_8argumentILj0EEEEENSJ_5valueIiEEEEEEEEEEEE10hipError_tPvRmT3_T4_T5_T6_T7_T9_mT8_P12ihipStream_tbDpT10_ENKUlT_T0_E_clISt17integral_constantIbLb1EES1H_EEDaS1C_S1D_EUlS1C_E_NS1_11comp_targetILNS1_3genE0ELNS1_11target_archE4294967295ELNS1_3gpuE0ELNS1_3repE0EEENS1_30default_config_static_selectorELNS0_4arch9wavefront6targetE1EEEvT1_
	.p2align	8
	.type	_ZN7rocprim17ROCPRIM_400000_NS6detail17trampoline_kernelINS0_14default_configENS1_25partition_config_selectorILNS1_17partition_subalgoE6EiNS0_10empty_typeEbEEZZNS1_14partition_implILS5_6ELb0ES3_mPiPS6_SA_NS0_5tupleIJS9_S6_EEENSB_IJSA_SA_EEES6_PlJN6thrust23THRUST_200600_302600_NS6detail9not_fun_tINSH_10functional5actorINSJ_9compositeIJNSJ_27transparent_binary_operatorINSG_8equal_toIvEEEENSK_INSJ_8argumentILj0EEEEENSJ_5valueIiEEEEEEEEEEEE10hipError_tPvRmT3_T4_T5_T6_T7_T9_mT8_P12ihipStream_tbDpT10_ENKUlT_T0_E_clISt17integral_constantIbLb1EES1H_EEDaS1C_S1D_EUlS1C_E_NS1_11comp_targetILNS1_3genE0ELNS1_11target_archE4294967295ELNS1_3gpuE0ELNS1_3repE0EEENS1_30default_config_static_selectorELNS0_4arch9wavefront6targetE1EEEvT1_,@function
_ZN7rocprim17ROCPRIM_400000_NS6detail17trampoline_kernelINS0_14default_configENS1_25partition_config_selectorILNS1_17partition_subalgoE6EiNS0_10empty_typeEbEEZZNS1_14partition_implILS5_6ELb0ES3_mPiPS6_SA_NS0_5tupleIJS9_S6_EEENSB_IJSA_SA_EEES6_PlJN6thrust23THRUST_200600_302600_NS6detail9not_fun_tINSH_10functional5actorINSJ_9compositeIJNSJ_27transparent_binary_operatorINSG_8equal_toIvEEEENSK_INSJ_8argumentILj0EEEEENSJ_5valueIiEEEEEEEEEEEE10hipError_tPvRmT3_T4_T5_T6_T7_T9_mT8_P12ihipStream_tbDpT10_ENKUlT_T0_E_clISt17integral_constantIbLb1EES1H_EEDaS1C_S1D_EUlS1C_E_NS1_11comp_targetILNS1_3genE0ELNS1_11target_archE4294967295ELNS1_3gpuE0ELNS1_3repE0EEENS1_30default_config_static_selectorELNS0_4arch9wavefront6targetE1EEEvT1_: ; @_ZN7rocprim17ROCPRIM_400000_NS6detail17trampoline_kernelINS0_14default_configENS1_25partition_config_selectorILNS1_17partition_subalgoE6EiNS0_10empty_typeEbEEZZNS1_14partition_implILS5_6ELb0ES3_mPiPS6_SA_NS0_5tupleIJS9_S6_EEENSB_IJSA_SA_EEES6_PlJN6thrust23THRUST_200600_302600_NS6detail9not_fun_tINSH_10functional5actorINSJ_9compositeIJNSJ_27transparent_binary_operatorINSG_8equal_toIvEEEENSK_INSJ_8argumentILj0EEEEENSJ_5valueIiEEEEEEEEEEEE10hipError_tPvRmT3_T4_T5_T6_T7_T9_mT8_P12ihipStream_tbDpT10_ENKUlT_T0_E_clISt17integral_constantIbLb1EES1H_EEDaS1C_S1D_EUlS1C_E_NS1_11comp_targetILNS1_3genE0ELNS1_11target_archE4294967295ELNS1_3gpuE0ELNS1_3repE0EEENS1_30default_config_static_selectorELNS0_4arch9wavefront6targetE1EEEvT1_
; %bb.0:
	.section	.rodata,"a",@progbits
	.p2align	6, 0x0
	.amdhsa_kernel _ZN7rocprim17ROCPRIM_400000_NS6detail17trampoline_kernelINS0_14default_configENS1_25partition_config_selectorILNS1_17partition_subalgoE6EiNS0_10empty_typeEbEEZZNS1_14partition_implILS5_6ELb0ES3_mPiPS6_SA_NS0_5tupleIJS9_S6_EEENSB_IJSA_SA_EEES6_PlJN6thrust23THRUST_200600_302600_NS6detail9not_fun_tINSH_10functional5actorINSJ_9compositeIJNSJ_27transparent_binary_operatorINSG_8equal_toIvEEEENSK_INSJ_8argumentILj0EEEEENSJ_5valueIiEEEEEEEEEEEE10hipError_tPvRmT3_T4_T5_T6_T7_T9_mT8_P12ihipStream_tbDpT10_ENKUlT_T0_E_clISt17integral_constantIbLb1EES1H_EEDaS1C_S1D_EUlS1C_E_NS1_11comp_targetILNS1_3genE0ELNS1_11target_archE4294967295ELNS1_3gpuE0ELNS1_3repE0EEENS1_30default_config_static_selectorELNS0_4arch9wavefront6targetE1EEEvT1_
		.amdhsa_group_segment_fixed_size 0
		.amdhsa_private_segment_fixed_size 0
		.amdhsa_kernarg_size 128
		.amdhsa_user_sgpr_count 6
		.amdhsa_user_sgpr_private_segment_buffer 1
		.amdhsa_user_sgpr_dispatch_ptr 0
		.amdhsa_user_sgpr_queue_ptr 0
		.amdhsa_user_sgpr_kernarg_segment_ptr 1
		.amdhsa_user_sgpr_dispatch_id 0
		.amdhsa_user_sgpr_flat_scratch_init 0
		.amdhsa_user_sgpr_kernarg_preload_length 0
		.amdhsa_user_sgpr_kernarg_preload_offset 0
		.amdhsa_user_sgpr_private_segment_size 0
		.amdhsa_uses_dynamic_stack 0
		.amdhsa_system_sgpr_private_segment_wavefront_offset 0
		.amdhsa_system_sgpr_workgroup_id_x 1
		.amdhsa_system_sgpr_workgroup_id_y 0
		.amdhsa_system_sgpr_workgroup_id_z 0
		.amdhsa_system_sgpr_workgroup_info 0
		.amdhsa_system_vgpr_workitem_id 0
		.amdhsa_next_free_vgpr 1
		.amdhsa_next_free_sgpr 0
		.amdhsa_accum_offset 4
		.amdhsa_reserve_vcc 0
		.amdhsa_reserve_flat_scratch 0
		.amdhsa_float_round_mode_32 0
		.amdhsa_float_round_mode_16_64 0
		.amdhsa_float_denorm_mode_32 3
		.amdhsa_float_denorm_mode_16_64 3
		.amdhsa_dx10_clamp 1
		.amdhsa_ieee_mode 1
		.amdhsa_fp16_overflow 0
		.amdhsa_tg_split 0
		.amdhsa_exception_fp_ieee_invalid_op 0
		.amdhsa_exception_fp_denorm_src 0
		.amdhsa_exception_fp_ieee_div_zero 0
		.amdhsa_exception_fp_ieee_overflow 0
		.amdhsa_exception_fp_ieee_underflow 0
		.amdhsa_exception_fp_ieee_inexact 0
		.amdhsa_exception_int_div_zero 0
	.end_amdhsa_kernel
	.section	.text._ZN7rocprim17ROCPRIM_400000_NS6detail17trampoline_kernelINS0_14default_configENS1_25partition_config_selectorILNS1_17partition_subalgoE6EiNS0_10empty_typeEbEEZZNS1_14partition_implILS5_6ELb0ES3_mPiPS6_SA_NS0_5tupleIJS9_S6_EEENSB_IJSA_SA_EEES6_PlJN6thrust23THRUST_200600_302600_NS6detail9not_fun_tINSH_10functional5actorINSJ_9compositeIJNSJ_27transparent_binary_operatorINSG_8equal_toIvEEEENSK_INSJ_8argumentILj0EEEEENSJ_5valueIiEEEEEEEEEEEE10hipError_tPvRmT3_T4_T5_T6_T7_T9_mT8_P12ihipStream_tbDpT10_ENKUlT_T0_E_clISt17integral_constantIbLb1EES1H_EEDaS1C_S1D_EUlS1C_E_NS1_11comp_targetILNS1_3genE0ELNS1_11target_archE4294967295ELNS1_3gpuE0ELNS1_3repE0EEENS1_30default_config_static_selectorELNS0_4arch9wavefront6targetE1EEEvT1_,"axG",@progbits,_ZN7rocprim17ROCPRIM_400000_NS6detail17trampoline_kernelINS0_14default_configENS1_25partition_config_selectorILNS1_17partition_subalgoE6EiNS0_10empty_typeEbEEZZNS1_14partition_implILS5_6ELb0ES3_mPiPS6_SA_NS0_5tupleIJS9_S6_EEENSB_IJSA_SA_EEES6_PlJN6thrust23THRUST_200600_302600_NS6detail9not_fun_tINSH_10functional5actorINSJ_9compositeIJNSJ_27transparent_binary_operatorINSG_8equal_toIvEEEENSK_INSJ_8argumentILj0EEEEENSJ_5valueIiEEEEEEEEEEEE10hipError_tPvRmT3_T4_T5_T6_T7_T9_mT8_P12ihipStream_tbDpT10_ENKUlT_T0_E_clISt17integral_constantIbLb1EES1H_EEDaS1C_S1D_EUlS1C_E_NS1_11comp_targetILNS1_3genE0ELNS1_11target_archE4294967295ELNS1_3gpuE0ELNS1_3repE0EEENS1_30default_config_static_selectorELNS0_4arch9wavefront6targetE1EEEvT1_,comdat
.Lfunc_end259:
	.size	_ZN7rocprim17ROCPRIM_400000_NS6detail17trampoline_kernelINS0_14default_configENS1_25partition_config_selectorILNS1_17partition_subalgoE6EiNS0_10empty_typeEbEEZZNS1_14partition_implILS5_6ELb0ES3_mPiPS6_SA_NS0_5tupleIJS9_S6_EEENSB_IJSA_SA_EEES6_PlJN6thrust23THRUST_200600_302600_NS6detail9not_fun_tINSH_10functional5actorINSJ_9compositeIJNSJ_27transparent_binary_operatorINSG_8equal_toIvEEEENSK_INSJ_8argumentILj0EEEEENSJ_5valueIiEEEEEEEEEEEE10hipError_tPvRmT3_T4_T5_T6_T7_T9_mT8_P12ihipStream_tbDpT10_ENKUlT_T0_E_clISt17integral_constantIbLb1EES1H_EEDaS1C_S1D_EUlS1C_E_NS1_11comp_targetILNS1_3genE0ELNS1_11target_archE4294967295ELNS1_3gpuE0ELNS1_3repE0EEENS1_30default_config_static_selectorELNS0_4arch9wavefront6targetE1EEEvT1_, .Lfunc_end259-_ZN7rocprim17ROCPRIM_400000_NS6detail17trampoline_kernelINS0_14default_configENS1_25partition_config_selectorILNS1_17partition_subalgoE6EiNS0_10empty_typeEbEEZZNS1_14partition_implILS5_6ELb0ES3_mPiPS6_SA_NS0_5tupleIJS9_S6_EEENSB_IJSA_SA_EEES6_PlJN6thrust23THRUST_200600_302600_NS6detail9not_fun_tINSH_10functional5actorINSJ_9compositeIJNSJ_27transparent_binary_operatorINSG_8equal_toIvEEEENSK_INSJ_8argumentILj0EEEEENSJ_5valueIiEEEEEEEEEEEE10hipError_tPvRmT3_T4_T5_T6_T7_T9_mT8_P12ihipStream_tbDpT10_ENKUlT_T0_E_clISt17integral_constantIbLb1EES1H_EEDaS1C_S1D_EUlS1C_E_NS1_11comp_targetILNS1_3genE0ELNS1_11target_archE4294967295ELNS1_3gpuE0ELNS1_3repE0EEENS1_30default_config_static_selectorELNS0_4arch9wavefront6targetE1EEEvT1_
                                        ; -- End function
	.section	.AMDGPU.csdata,"",@progbits
; Kernel info:
; codeLenInByte = 0
; NumSgprs: 4
; NumVgprs: 0
; NumAgprs: 0
; TotalNumVgprs: 0
; ScratchSize: 0
; MemoryBound: 0
; FloatMode: 240
; IeeeMode: 1
; LDSByteSize: 0 bytes/workgroup (compile time only)
; SGPRBlocks: 0
; VGPRBlocks: 0
; NumSGPRsForWavesPerEU: 4
; NumVGPRsForWavesPerEU: 1
; AccumOffset: 4
; Occupancy: 8
; WaveLimiterHint : 0
; COMPUTE_PGM_RSRC2:SCRATCH_EN: 0
; COMPUTE_PGM_RSRC2:USER_SGPR: 6
; COMPUTE_PGM_RSRC2:TRAP_HANDLER: 0
; COMPUTE_PGM_RSRC2:TGID_X_EN: 1
; COMPUTE_PGM_RSRC2:TGID_Y_EN: 0
; COMPUTE_PGM_RSRC2:TGID_Z_EN: 0
; COMPUTE_PGM_RSRC2:TIDIG_COMP_CNT: 0
; COMPUTE_PGM_RSRC3_GFX90A:ACCUM_OFFSET: 0
; COMPUTE_PGM_RSRC3_GFX90A:TG_SPLIT: 0
	.section	.text._ZN7rocprim17ROCPRIM_400000_NS6detail17trampoline_kernelINS0_14default_configENS1_25partition_config_selectorILNS1_17partition_subalgoE6EiNS0_10empty_typeEbEEZZNS1_14partition_implILS5_6ELb0ES3_mPiPS6_SA_NS0_5tupleIJS9_S6_EEENSB_IJSA_SA_EEES6_PlJN6thrust23THRUST_200600_302600_NS6detail9not_fun_tINSH_10functional5actorINSJ_9compositeIJNSJ_27transparent_binary_operatorINSG_8equal_toIvEEEENSK_INSJ_8argumentILj0EEEEENSJ_5valueIiEEEEEEEEEEEE10hipError_tPvRmT3_T4_T5_T6_T7_T9_mT8_P12ihipStream_tbDpT10_ENKUlT_T0_E_clISt17integral_constantIbLb1EES1H_EEDaS1C_S1D_EUlS1C_E_NS1_11comp_targetILNS1_3genE5ELNS1_11target_archE942ELNS1_3gpuE9ELNS1_3repE0EEENS1_30default_config_static_selectorELNS0_4arch9wavefront6targetE1EEEvT1_,"axG",@progbits,_ZN7rocprim17ROCPRIM_400000_NS6detail17trampoline_kernelINS0_14default_configENS1_25partition_config_selectorILNS1_17partition_subalgoE6EiNS0_10empty_typeEbEEZZNS1_14partition_implILS5_6ELb0ES3_mPiPS6_SA_NS0_5tupleIJS9_S6_EEENSB_IJSA_SA_EEES6_PlJN6thrust23THRUST_200600_302600_NS6detail9not_fun_tINSH_10functional5actorINSJ_9compositeIJNSJ_27transparent_binary_operatorINSG_8equal_toIvEEEENSK_INSJ_8argumentILj0EEEEENSJ_5valueIiEEEEEEEEEEEE10hipError_tPvRmT3_T4_T5_T6_T7_T9_mT8_P12ihipStream_tbDpT10_ENKUlT_T0_E_clISt17integral_constantIbLb1EES1H_EEDaS1C_S1D_EUlS1C_E_NS1_11comp_targetILNS1_3genE5ELNS1_11target_archE942ELNS1_3gpuE9ELNS1_3repE0EEENS1_30default_config_static_selectorELNS0_4arch9wavefront6targetE1EEEvT1_,comdat
	.protected	_ZN7rocprim17ROCPRIM_400000_NS6detail17trampoline_kernelINS0_14default_configENS1_25partition_config_selectorILNS1_17partition_subalgoE6EiNS0_10empty_typeEbEEZZNS1_14partition_implILS5_6ELb0ES3_mPiPS6_SA_NS0_5tupleIJS9_S6_EEENSB_IJSA_SA_EEES6_PlJN6thrust23THRUST_200600_302600_NS6detail9not_fun_tINSH_10functional5actorINSJ_9compositeIJNSJ_27transparent_binary_operatorINSG_8equal_toIvEEEENSK_INSJ_8argumentILj0EEEEENSJ_5valueIiEEEEEEEEEEEE10hipError_tPvRmT3_T4_T5_T6_T7_T9_mT8_P12ihipStream_tbDpT10_ENKUlT_T0_E_clISt17integral_constantIbLb1EES1H_EEDaS1C_S1D_EUlS1C_E_NS1_11comp_targetILNS1_3genE5ELNS1_11target_archE942ELNS1_3gpuE9ELNS1_3repE0EEENS1_30default_config_static_selectorELNS0_4arch9wavefront6targetE1EEEvT1_ ; -- Begin function _ZN7rocprim17ROCPRIM_400000_NS6detail17trampoline_kernelINS0_14default_configENS1_25partition_config_selectorILNS1_17partition_subalgoE6EiNS0_10empty_typeEbEEZZNS1_14partition_implILS5_6ELb0ES3_mPiPS6_SA_NS0_5tupleIJS9_S6_EEENSB_IJSA_SA_EEES6_PlJN6thrust23THRUST_200600_302600_NS6detail9not_fun_tINSH_10functional5actorINSJ_9compositeIJNSJ_27transparent_binary_operatorINSG_8equal_toIvEEEENSK_INSJ_8argumentILj0EEEEENSJ_5valueIiEEEEEEEEEEEE10hipError_tPvRmT3_T4_T5_T6_T7_T9_mT8_P12ihipStream_tbDpT10_ENKUlT_T0_E_clISt17integral_constantIbLb1EES1H_EEDaS1C_S1D_EUlS1C_E_NS1_11comp_targetILNS1_3genE5ELNS1_11target_archE942ELNS1_3gpuE9ELNS1_3repE0EEENS1_30default_config_static_selectorELNS0_4arch9wavefront6targetE1EEEvT1_
	.globl	_ZN7rocprim17ROCPRIM_400000_NS6detail17trampoline_kernelINS0_14default_configENS1_25partition_config_selectorILNS1_17partition_subalgoE6EiNS0_10empty_typeEbEEZZNS1_14partition_implILS5_6ELb0ES3_mPiPS6_SA_NS0_5tupleIJS9_S6_EEENSB_IJSA_SA_EEES6_PlJN6thrust23THRUST_200600_302600_NS6detail9not_fun_tINSH_10functional5actorINSJ_9compositeIJNSJ_27transparent_binary_operatorINSG_8equal_toIvEEEENSK_INSJ_8argumentILj0EEEEENSJ_5valueIiEEEEEEEEEEEE10hipError_tPvRmT3_T4_T5_T6_T7_T9_mT8_P12ihipStream_tbDpT10_ENKUlT_T0_E_clISt17integral_constantIbLb1EES1H_EEDaS1C_S1D_EUlS1C_E_NS1_11comp_targetILNS1_3genE5ELNS1_11target_archE942ELNS1_3gpuE9ELNS1_3repE0EEENS1_30default_config_static_selectorELNS0_4arch9wavefront6targetE1EEEvT1_
	.p2align	8
	.type	_ZN7rocprim17ROCPRIM_400000_NS6detail17trampoline_kernelINS0_14default_configENS1_25partition_config_selectorILNS1_17partition_subalgoE6EiNS0_10empty_typeEbEEZZNS1_14partition_implILS5_6ELb0ES3_mPiPS6_SA_NS0_5tupleIJS9_S6_EEENSB_IJSA_SA_EEES6_PlJN6thrust23THRUST_200600_302600_NS6detail9not_fun_tINSH_10functional5actorINSJ_9compositeIJNSJ_27transparent_binary_operatorINSG_8equal_toIvEEEENSK_INSJ_8argumentILj0EEEEENSJ_5valueIiEEEEEEEEEEEE10hipError_tPvRmT3_T4_T5_T6_T7_T9_mT8_P12ihipStream_tbDpT10_ENKUlT_T0_E_clISt17integral_constantIbLb1EES1H_EEDaS1C_S1D_EUlS1C_E_NS1_11comp_targetILNS1_3genE5ELNS1_11target_archE942ELNS1_3gpuE9ELNS1_3repE0EEENS1_30default_config_static_selectorELNS0_4arch9wavefront6targetE1EEEvT1_,@function
_ZN7rocprim17ROCPRIM_400000_NS6detail17trampoline_kernelINS0_14default_configENS1_25partition_config_selectorILNS1_17partition_subalgoE6EiNS0_10empty_typeEbEEZZNS1_14partition_implILS5_6ELb0ES3_mPiPS6_SA_NS0_5tupleIJS9_S6_EEENSB_IJSA_SA_EEES6_PlJN6thrust23THRUST_200600_302600_NS6detail9not_fun_tINSH_10functional5actorINSJ_9compositeIJNSJ_27transparent_binary_operatorINSG_8equal_toIvEEEENSK_INSJ_8argumentILj0EEEEENSJ_5valueIiEEEEEEEEEEEE10hipError_tPvRmT3_T4_T5_T6_T7_T9_mT8_P12ihipStream_tbDpT10_ENKUlT_T0_E_clISt17integral_constantIbLb1EES1H_EEDaS1C_S1D_EUlS1C_E_NS1_11comp_targetILNS1_3genE5ELNS1_11target_archE942ELNS1_3gpuE9ELNS1_3repE0EEENS1_30default_config_static_selectorELNS0_4arch9wavefront6targetE1EEEvT1_: ; @_ZN7rocprim17ROCPRIM_400000_NS6detail17trampoline_kernelINS0_14default_configENS1_25partition_config_selectorILNS1_17partition_subalgoE6EiNS0_10empty_typeEbEEZZNS1_14partition_implILS5_6ELb0ES3_mPiPS6_SA_NS0_5tupleIJS9_S6_EEENSB_IJSA_SA_EEES6_PlJN6thrust23THRUST_200600_302600_NS6detail9not_fun_tINSH_10functional5actorINSJ_9compositeIJNSJ_27transparent_binary_operatorINSG_8equal_toIvEEEENSK_INSJ_8argumentILj0EEEEENSJ_5valueIiEEEEEEEEEEEE10hipError_tPvRmT3_T4_T5_T6_T7_T9_mT8_P12ihipStream_tbDpT10_ENKUlT_T0_E_clISt17integral_constantIbLb1EES1H_EEDaS1C_S1D_EUlS1C_E_NS1_11comp_targetILNS1_3genE5ELNS1_11target_archE942ELNS1_3gpuE9ELNS1_3repE0EEENS1_30default_config_static_selectorELNS0_4arch9wavefront6targetE1EEEvT1_
; %bb.0:
	.section	.rodata,"a",@progbits
	.p2align	6, 0x0
	.amdhsa_kernel _ZN7rocprim17ROCPRIM_400000_NS6detail17trampoline_kernelINS0_14default_configENS1_25partition_config_selectorILNS1_17partition_subalgoE6EiNS0_10empty_typeEbEEZZNS1_14partition_implILS5_6ELb0ES3_mPiPS6_SA_NS0_5tupleIJS9_S6_EEENSB_IJSA_SA_EEES6_PlJN6thrust23THRUST_200600_302600_NS6detail9not_fun_tINSH_10functional5actorINSJ_9compositeIJNSJ_27transparent_binary_operatorINSG_8equal_toIvEEEENSK_INSJ_8argumentILj0EEEEENSJ_5valueIiEEEEEEEEEEEE10hipError_tPvRmT3_T4_T5_T6_T7_T9_mT8_P12ihipStream_tbDpT10_ENKUlT_T0_E_clISt17integral_constantIbLb1EES1H_EEDaS1C_S1D_EUlS1C_E_NS1_11comp_targetILNS1_3genE5ELNS1_11target_archE942ELNS1_3gpuE9ELNS1_3repE0EEENS1_30default_config_static_selectorELNS0_4arch9wavefront6targetE1EEEvT1_
		.amdhsa_group_segment_fixed_size 0
		.amdhsa_private_segment_fixed_size 0
		.amdhsa_kernarg_size 128
		.amdhsa_user_sgpr_count 6
		.amdhsa_user_sgpr_private_segment_buffer 1
		.amdhsa_user_sgpr_dispatch_ptr 0
		.amdhsa_user_sgpr_queue_ptr 0
		.amdhsa_user_sgpr_kernarg_segment_ptr 1
		.amdhsa_user_sgpr_dispatch_id 0
		.amdhsa_user_sgpr_flat_scratch_init 0
		.amdhsa_user_sgpr_kernarg_preload_length 0
		.amdhsa_user_sgpr_kernarg_preload_offset 0
		.amdhsa_user_sgpr_private_segment_size 0
		.amdhsa_uses_dynamic_stack 0
		.amdhsa_system_sgpr_private_segment_wavefront_offset 0
		.amdhsa_system_sgpr_workgroup_id_x 1
		.amdhsa_system_sgpr_workgroup_id_y 0
		.amdhsa_system_sgpr_workgroup_id_z 0
		.amdhsa_system_sgpr_workgroup_info 0
		.amdhsa_system_vgpr_workitem_id 0
		.amdhsa_next_free_vgpr 1
		.amdhsa_next_free_sgpr 0
		.amdhsa_accum_offset 4
		.amdhsa_reserve_vcc 0
		.amdhsa_reserve_flat_scratch 0
		.amdhsa_float_round_mode_32 0
		.amdhsa_float_round_mode_16_64 0
		.amdhsa_float_denorm_mode_32 3
		.amdhsa_float_denorm_mode_16_64 3
		.amdhsa_dx10_clamp 1
		.amdhsa_ieee_mode 1
		.amdhsa_fp16_overflow 0
		.amdhsa_tg_split 0
		.amdhsa_exception_fp_ieee_invalid_op 0
		.amdhsa_exception_fp_denorm_src 0
		.amdhsa_exception_fp_ieee_div_zero 0
		.amdhsa_exception_fp_ieee_overflow 0
		.amdhsa_exception_fp_ieee_underflow 0
		.amdhsa_exception_fp_ieee_inexact 0
		.amdhsa_exception_int_div_zero 0
	.end_amdhsa_kernel
	.section	.text._ZN7rocprim17ROCPRIM_400000_NS6detail17trampoline_kernelINS0_14default_configENS1_25partition_config_selectorILNS1_17partition_subalgoE6EiNS0_10empty_typeEbEEZZNS1_14partition_implILS5_6ELb0ES3_mPiPS6_SA_NS0_5tupleIJS9_S6_EEENSB_IJSA_SA_EEES6_PlJN6thrust23THRUST_200600_302600_NS6detail9not_fun_tINSH_10functional5actorINSJ_9compositeIJNSJ_27transparent_binary_operatorINSG_8equal_toIvEEEENSK_INSJ_8argumentILj0EEEEENSJ_5valueIiEEEEEEEEEEEE10hipError_tPvRmT3_T4_T5_T6_T7_T9_mT8_P12ihipStream_tbDpT10_ENKUlT_T0_E_clISt17integral_constantIbLb1EES1H_EEDaS1C_S1D_EUlS1C_E_NS1_11comp_targetILNS1_3genE5ELNS1_11target_archE942ELNS1_3gpuE9ELNS1_3repE0EEENS1_30default_config_static_selectorELNS0_4arch9wavefront6targetE1EEEvT1_,"axG",@progbits,_ZN7rocprim17ROCPRIM_400000_NS6detail17trampoline_kernelINS0_14default_configENS1_25partition_config_selectorILNS1_17partition_subalgoE6EiNS0_10empty_typeEbEEZZNS1_14partition_implILS5_6ELb0ES3_mPiPS6_SA_NS0_5tupleIJS9_S6_EEENSB_IJSA_SA_EEES6_PlJN6thrust23THRUST_200600_302600_NS6detail9not_fun_tINSH_10functional5actorINSJ_9compositeIJNSJ_27transparent_binary_operatorINSG_8equal_toIvEEEENSK_INSJ_8argumentILj0EEEEENSJ_5valueIiEEEEEEEEEEEE10hipError_tPvRmT3_T4_T5_T6_T7_T9_mT8_P12ihipStream_tbDpT10_ENKUlT_T0_E_clISt17integral_constantIbLb1EES1H_EEDaS1C_S1D_EUlS1C_E_NS1_11comp_targetILNS1_3genE5ELNS1_11target_archE942ELNS1_3gpuE9ELNS1_3repE0EEENS1_30default_config_static_selectorELNS0_4arch9wavefront6targetE1EEEvT1_,comdat
.Lfunc_end260:
	.size	_ZN7rocprim17ROCPRIM_400000_NS6detail17trampoline_kernelINS0_14default_configENS1_25partition_config_selectorILNS1_17partition_subalgoE6EiNS0_10empty_typeEbEEZZNS1_14partition_implILS5_6ELb0ES3_mPiPS6_SA_NS0_5tupleIJS9_S6_EEENSB_IJSA_SA_EEES6_PlJN6thrust23THRUST_200600_302600_NS6detail9not_fun_tINSH_10functional5actorINSJ_9compositeIJNSJ_27transparent_binary_operatorINSG_8equal_toIvEEEENSK_INSJ_8argumentILj0EEEEENSJ_5valueIiEEEEEEEEEEEE10hipError_tPvRmT3_T4_T5_T6_T7_T9_mT8_P12ihipStream_tbDpT10_ENKUlT_T0_E_clISt17integral_constantIbLb1EES1H_EEDaS1C_S1D_EUlS1C_E_NS1_11comp_targetILNS1_3genE5ELNS1_11target_archE942ELNS1_3gpuE9ELNS1_3repE0EEENS1_30default_config_static_selectorELNS0_4arch9wavefront6targetE1EEEvT1_, .Lfunc_end260-_ZN7rocprim17ROCPRIM_400000_NS6detail17trampoline_kernelINS0_14default_configENS1_25partition_config_selectorILNS1_17partition_subalgoE6EiNS0_10empty_typeEbEEZZNS1_14partition_implILS5_6ELb0ES3_mPiPS6_SA_NS0_5tupleIJS9_S6_EEENSB_IJSA_SA_EEES6_PlJN6thrust23THRUST_200600_302600_NS6detail9not_fun_tINSH_10functional5actorINSJ_9compositeIJNSJ_27transparent_binary_operatorINSG_8equal_toIvEEEENSK_INSJ_8argumentILj0EEEEENSJ_5valueIiEEEEEEEEEEEE10hipError_tPvRmT3_T4_T5_T6_T7_T9_mT8_P12ihipStream_tbDpT10_ENKUlT_T0_E_clISt17integral_constantIbLb1EES1H_EEDaS1C_S1D_EUlS1C_E_NS1_11comp_targetILNS1_3genE5ELNS1_11target_archE942ELNS1_3gpuE9ELNS1_3repE0EEENS1_30default_config_static_selectorELNS0_4arch9wavefront6targetE1EEEvT1_
                                        ; -- End function
	.section	.AMDGPU.csdata,"",@progbits
; Kernel info:
; codeLenInByte = 0
; NumSgprs: 4
; NumVgprs: 0
; NumAgprs: 0
; TotalNumVgprs: 0
; ScratchSize: 0
; MemoryBound: 0
; FloatMode: 240
; IeeeMode: 1
; LDSByteSize: 0 bytes/workgroup (compile time only)
; SGPRBlocks: 0
; VGPRBlocks: 0
; NumSGPRsForWavesPerEU: 4
; NumVGPRsForWavesPerEU: 1
; AccumOffset: 4
; Occupancy: 8
; WaveLimiterHint : 0
; COMPUTE_PGM_RSRC2:SCRATCH_EN: 0
; COMPUTE_PGM_RSRC2:USER_SGPR: 6
; COMPUTE_PGM_RSRC2:TRAP_HANDLER: 0
; COMPUTE_PGM_RSRC2:TGID_X_EN: 1
; COMPUTE_PGM_RSRC2:TGID_Y_EN: 0
; COMPUTE_PGM_RSRC2:TGID_Z_EN: 0
; COMPUTE_PGM_RSRC2:TIDIG_COMP_CNT: 0
; COMPUTE_PGM_RSRC3_GFX90A:ACCUM_OFFSET: 0
; COMPUTE_PGM_RSRC3_GFX90A:TG_SPLIT: 0
	.section	.text._ZN7rocprim17ROCPRIM_400000_NS6detail17trampoline_kernelINS0_14default_configENS1_25partition_config_selectorILNS1_17partition_subalgoE6EiNS0_10empty_typeEbEEZZNS1_14partition_implILS5_6ELb0ES3_mPiPS6_SA_NS0_5tupleIJS9_S6_EEENSB_IJSA_SA_EEES6_PlJN6thrust23THRUST_200600_302600_NS6detail9not_fun_tINSH_10functional5actorINSJ_9compositeIJNSJ_27transparent_binary_operatorINSG_8equal_toIvEEEENSK_INSJ_8argumentILj0EEEEENSJ_5valueIiEEEEEEEEEEEE10hipError_tPvRmT3_T4_T5_T6_T7_T9_mT8_P12ihipStream_tbDpT10_ENKUlT_T0_E_clISt17integral_constantIbLb1EES1H_EEDaS1C_S1D_EUlS1C_E_NS1_11comp_targetILNS1_3genE4ELNS1_11target_archE910ELNS1_3gpuE8ELNS1_3repE0EEENS1_30default_config_static_selectorELNS0_4arch9wavefront6targetE1EEEvT1_,"axG",@progbits,_ZN7rocprim17ROCPRIM_400000_NS6detail17trampoline_kernelINS0_14default_configENS1_25partition_config_selectorILNS1_17partition_subalgoE6EiNS0_10empty_typeEbEEZZNS1_14partition_implILS5_6ELb0ES3_mPiPS6_SA_NS0_5tupleIJS9_S6_EEENSB_IJSA_SA_EEES6_PlJN6thrust23THRUST_200600_302600_NS6detail9not_fun_tINSH_10functional5actorINSJ_9compositeIJNSJ_27transparent_binary_operatorINSG_8equal_toIvEEEENSK_INSJ_8argumentILj0EEEEENSJ_5valueIiEEEEEEEEEEEE10hipError_tPvRmT3_T4_T5_T6_T7_T9_mT8_P12ihipStream_tbDpT10_ENKUlT_T0_E_clISt17integral_constantIbLb1EES1H_EEDaS1C_S1D_EUlS1C_E_NS1_11comp_targetILNS1_3genE4ELNS1_11target_archE910ELNS1_3gpuE8ELNS1_3repE0EEENS1_30default_config_static_selectorELNS0_4arch9wavefront6targetE1EEEvT1_,comdat
	.protected	_ZN7rocprim17ROCPRIM_400000_NS6detail17trampoline_kernelINS0_14default_configENS1_25partition_config_selectorILNS1_17partition_subalgoE6EiNS0_10empty_typeEbEEZZNS1_14partition_implILS5_6ELb0ES3_mPiPS6_SA_NS0_5tupleIJS9_S6_EEENSB_IJSA_SA_EEES6_PlJN6thrust23THRUST_200600_302600_NS6detail9not_fun_tINSH_10functional5actorINSJ_9compositeIJNSJ_27transparent_binary_operatorINSG_8equal_toIvEEEENSK_INSJ_8argumentILj0EEEEENSJ_5valueIiEEEEEEEEEEEE10hipError_tPvRmT3_T4_T5_T6_T7_T9_mT8_P12ihipStream_tbDpT10_ENKUlT_T0_E_clISt17integral_constantIbLb1EES1H_EEDaS1C_S1D_EUlS1C_E_NS1_11comp_targetILNS1_3genE4ELNS1_11target_archE910ELNS1_3gpuE8ELNS1_3repE0EEENS1_30default_config_static_selectorELNS0_4arch9wavefront6targetE1EEEvT1_ ; -- Begin function _ZN7rocprim17ROCPRIM_400000_NS6detail17trampoline_kernelINS0_14default_configENS1_25partition_config_selectorILNS1_17partition_subalgoE6EiNS0_10empty_typeEbEEZZNS1_14partition_implILS5_6ELb0ES3_mPiPS6_SA_NS0_5tupleIJS9_S6_EEENSB_IJSA_SA_EEES6_PlJN6thrust23THRUST_200600_302600_NS6detail9not_fun_tINSH_10functional5actorINSJ_9compositeIJNSJ_27transparent_binary_operatorINSG_8equal_toIvEEEENSK_INSJ_8argumentILj0EEEEENSJ_5valueIiEEEEEEEEEEEE10hipError_tPvRmT3_T4_T5_T6_T7_T9_mT8_P12ihipStream_tbDpT10_ENKUlT_T0_E_clISt17integral_constantIbLb1EES1H_EEDaS1C_S1D_EUlS1C_E_NS1_11comp_targetILNS1_3genE4ELNS1_11target_archE910ELNS1_3gpuE8ELNS1_3repE0EEENS1_30default_config_static_selectorELNS0_4arch9wavefront6targetE1EEEvT1_
	.globl	_ZN7rocprim17ROCPRIM_400000_NS6detail17trampoline_kernelINS0_14default_configENS1_25partition_config_selectorILNS1_17partition_subalgoE6EiNS0_10empty_typeEbEEZZNS1_14partition_implILS5_6ELb0ES3_mPiPS6_SA_NS0_5tupleIJS9_S6_EEENSB_IJSA_SA_EEES6_PlJN6thrust23THRUST_200600_302600_NS6detail9not_fun_tINSH_10functional5actorINSJ_9compositeIJNSJ_27transparent_binary_operatorINSG_8equal_toIvEEEENSK_INSJ_8argumentILj0EEEEENSJ_5valueIiEEEEEEEEEEEE10hipError_tPvRmT3_T4_T5_T6_T7_T9_mT8_P12ihipStream_tbDpT10_ENKUlT_T0_E_clISt17integral_constantIbLb1EES1H_EEDaS1C_S1D_EUlS1C_E_NS1_11comp_targetILNS1_3genE4ELNS1_11target_archE910ELNS1_3gpuE8ELNS1_3repE0EEENS1_30default_config_static_selectorELNS0_4arch9wavefront6targetE1EEEvT1_
	.p2align	8
	.type	_ZN7rocprim17ROCPRIM_400000_NS6detail17trampoline_kernelINS0_14default_configENS1_25partition_config_selectorILNS1_17partition_subalgoE6EiNS0_10empty_typeEbEEZZNS1_14partition_implILS5_6ELb0ES3_mPiPS6_SA_NS0_5tupleIJS9_S6_EEENSB_IJSA_SA_EEES6_PlJN6thrust23THRUST_200600_302600_NS6detail9not_fun_tINSH_10functional5actorINSJ_9compositeIJNSJ_27transparent_binary_operatorINSG_8equal_toIvEEEENSK_INSJ_8argumentILj0EEEEENSJ_5valueIiEEEEEEEEEEEE10hipError_tPvRmT3_T4_T5_T6_T7_T9_mT8_P12ihipStream_tbDpT10_ENKUlT_T0_E_clISt17integral_constantIbLb1EES1H_EEDaS1C_S1D_EUlS1C_E_NS1_11comp_targetILNS1_3genE4ELNS1_11target_archE910ELNS1_3gpuE8ELNS1_3repE0EEENS1_30default_config_static_selectorELNS0_4arch9wavefront6targetE1EEEvT1_,@function
_ZN7rocprim17ROCPRIM_400000_NS6detail17trampoline_kernelINS0_14default_configENS1_25partition_config_selectorILNS1_17partition_subalgoE6EiNS0_10empty_typeEbEEZZNS1_14partition_implILS5_6ELb0ES3_mPiPS6_SA_NS0_5tupleIJS9_S6_EEENSB_IJSA_SA_EEES6_PlJN6thrust23THRUST_200600_302600_NS6detail9not_fun_tINSH_10functional5actorINSJ_9compositeIJNSJ_27transparent_binary_operatorINSG_8equal_toIvEEEENSK_INSJ_8argumentILj0EEEEENSJ_5valueIiEEEEEEEEEEEE10hipError_tPvRmT3_T4_T5_T6_T7_T9_mT8_P12ihipStream_tbDpT10_ENKUlT_T0_E_clISt17integral_constantIbLb1EES1H_EEDaS1C_S1D_EUlS1C_E_NS1_11comp_targetILNS1_3genE4ELNS1_11target_archE910ELNS1_3gpuE8ELNS1_3repE0EEENS1_30default_config_static_selectorELNS0_4arch9wavefront6targetE1EEEvT1_: ; @_ZN7rocprim17ROCPRIM_400000_NS6detail17trampoline_kernelINS0_14default_configENS1_25partition_config_selectorILNS1_17partition_subalgoE6EiNS0_10empty_typeEbEEZZNS1_14partition_implILS5_6ELb0ES3_mPiPS6_SA_NS0_5tupleIJS9_S6_EEENSB_IJSA_SA_EEES6_PlJN6thrust23THRUST_200600_302600_NS6detail9not_fun_tINSH_10functional5actorINSJ_9compositeIJNSJ_27transparent_binary_operatorINSG_8equal_toIvEEEENSK_INSJ_8argumentILj0EEEEENSJ_5valueIiEEEEEEEEEEEE10hipError_tPvRmT3_T4_T5_T6_T7_T9_mT8_P12ihipStream_tbDpT10_ENKUlT_T0_E_clISt17integral_constantIbLb1EES1H_EEDaS1C_S1D_EUlS1C_E_NS1_11comp_targetILNS1_3genE4ELNS1_11target_archE910ELNS1_3gpuE8ELNS1_3repE0EEENS1_30default_config_static_selectorELNS0_4arch9wavefront6targetE1EEEvT1_
; %bb.0:
	s_load_dwordx2 s[22:23], s[4:5], 0x28
	s_load_dwordx4 s[24:27], s[4:5], 0x40
	s_load_dwordx2 s[2:3], s[4:5], 0x50
	s_load_dwordx2 s[30:31], s[4:5], 0x60
	v_cmp_eq_u32_e64 s[0:1], 0, v0
	s_and_saveexec_b64 s[6:7], s[0:1]
	s_cbranch_execz .LBB261_4
; %bb.1:
	s_mov_b64 s[10:11], exec
	v_mbcnt_lo_u32_b32 v1, s10, 0
	v_mbcnt_hi_u32_b32 v1, s11, v1
	v_cmp_eq_u32_e32 vcc, 0, v1
                                        ; implicit-def: $vgpr2
	s_and_saveexec_b64 s[8:9], vcc
	s_cbranch_execz .LBB261_3
; %bb.2:
	s_load_dwordx2 s[12:13], s[4:5], 0x70
	s_bcnt1_i32_b64 s10, s[10:11]
	v_mov_b32_e32 v2, 0
	v_mov_b32_e32 v3, s10
	s_waitcnt lgkmcnt(0)
	global_atomic_add v2, v2, v3, s[12:13] glc
.LBB261_3:
	s_or_b64 exec, exec, s[8:9]
	s_waitcnt vmcnt(0)
	v_readfirstlane_b32 s8, v2
	v_add_u32_e32 v1, s8, v1
	v_mov_b32_e32 v2, 0
	ds_write_b32 v2, v1
.LBB261_4:
	s_or_b64 exec, exec, s[6:7]
	v_mov_b32_e32 v3, 0
	s_load_dwordx4 s[8:11], s[4:5], 0x8
	s_load_dword s6, s[4:5], 0x68
	s_load_dword s48, s[4:5], 0x7c
	s_waitcnt lgkmcnt(0)
	s_barrier
	ds_read_b32 v1, v3
	s_waitcnt lgkmcnt(0)
	s_barrier
	global_load_dwordx2 v[18:19], v3, s[26:27]
	v_mov_b32_e32 v5, s3
	s_lshl_b64 s[4:5], s[10:11], 2
	s_movk_i32 s3, 0x1400
	s_add_u32 s7, s8, s4
	v_mul_lo_u32 v2, v1, s3
	s_mul_i32 s3, s6, 0x1400
	s_addc_u32 s8, s9, s5
	s_add_i32 s5, s3, s10
	s_add_i32 s4, s6, -1
	s_sub_i32 s49, s2, s5
	v_mov_b32_e32 v4, s2
	s_add_u32 s2, s10, s3
	v_readfirstlane_b32 s33, v1
	s_addc_u32 s3, s11, 0
	s_cmp_eq_u32 s33, s4
	v_cmp_ge_u64_e32 vcc, s[2:3], v[4:5]
	s_cselect_b64 s[26:27], -1, 0
	v_lshlrev_b64 v[2:3], 2, v[2:3]
	s_and_b64 s[28:29], vcc, s[26:27]
	v_mov_b32_e32 v1, s8
	v_add_co_u32_e32 v12, vcc, s7, v2
	s_xor_b64 s[2:3], s[28:29], -1
	v_addc_co_u32_e32 v1, vcc, v1, v3, vcc
	s_mov_b64 s[4:5], -1
	s_and_b64 vcc, exec, s[2:3]
	v_lshlrev_b32_e32 v13, 2, v0
	s_cbranch_vccz .LBB261_6
; %bb.5:
	v_add_co_u32_e32 v8, vcc, v12, v13
	v_addc_co_u32_e32 v9, vcc, 0, v1, vcc
	v_add_co_u32_e32 v2, vcc, 0x1000, v8
	v_addc_co_u32_e32 v3, vcc, 0, v9, vcc
	;; [unrolled: 2-line block ×4, first 2 shown]
	v_readfirstlane_b32 s4, v12
	v_readfirstlane_b32 s5, v1
	v_add_co_u32_e32 v8, vcc, 0x4000, v8
	s_nop 3
	global_load_dword v10, v13, s[4:5]
	global_load_dword v11, v13, s[4:5] offset:2048
	v_addc_co_u32_e32 v9, vcc, 0, v9, vcc
	global_load_dword v14, v[2:3], off
	global_load_dword v15, v[2:3], off offset:2048
	global_load_dword v16, v[4:5], off
	global_load_dword v17, v[4:5], off offset:2048
	;; [unrolled: 2-line block ×4, first 2 shown]
	s_mov_b64 s[4:5], 0
	s_waitcnt vmcnt(8)
	ds_write2st64_b32 v13, v10, v11 offset1:8
	s_waitcnt vmcnt(6)
	ds_write2st64_b32 v13, v14, v15 offset0:16 offset1:24
	s_waitcnt vmcnt(4)
	ds_write2st64_b32 v13, v16, v17 offset0:32 offset1:40
	;; [unrolled: 2-line block ×4, first 2 shown]
	s_waitcnt lgkmcnt(0)
	s_barrier
.LBB261_6:
	s_andn2_b64 vcc, exec, s[4:5]
	s_addk_i32 s49, 0x1400
	s_cbranch_vccnz .LBB261_28
; %bb.7:
	v_cmp_gt_u32_e32 vcc, s49, v0
                                        ; implicit-def: $vgpr2_vgpr3_vgpr4_vgpr5_vgpr6_vgpr7_vgpr8_vgpr9_vgpr10_vgpr11
	s_and_saveexec_b64 s[4:5], vcc
	s_cbranch_execz .LBB261_9
; %bb.8:
	v_readfirstlane_b32 s6, v12
	v_readfirstlane_b32 s7, v1
                                        ; kill: def $vgpr3 killed $sgpr0 killed $exec
	s_nop 4
	global_load_dword v2, v13, s[6:7]
.LBB261_9:
	s_or_b64 exec, exec, s[4:5]
	v_or_b32_e32 v14, 0x200, v0
	v_cmp_gt_u32_e32 vcc, s49, v14
	s_and_saveexec_b64 s[4:5], vcc
	s_cbranch_execz .LBB261_11
; %bb.10:
	v_readfirstlane_b32 s6, v12
	v_readfirstlane_b32 s7, v1
	s_nop 4
	global_load_dword v3, v13, s[6:7] offset:2048
.LBB261_11:
	s_or_b64 exec, exec, s[4:5]
	v_or_b32_e32 v14, 0x400, v0
	v_cmp_gt_u32_e32 vcc, s49, v14
	s_and_saveexec_b64 s[4:5], vcc
	s_cbranch_execz .LBB261_13
; %bb.12:
	v_lshlrev_b32_e32 v4, 2, v14
	v_readfirstlane_b32 s6, v12
	v_readfirstlane_b32 s7, v1
	s_nop 4
	global_load_dword v4, v4, s[6:7]
.LBB261_13:
	s_or_b64 exec, exec, s[4:5]
	v_or_b32_e32 v14, 0x600, v0
	v_cmp_gt_u32_e32 vcc, s49, v14
	s_and_saveexec_b64 s[4:5], vcc
	s_cbranch_execz .LBB261_15
; %bb.14:
	v_lshlrev_b32_e32 v5, 2, v14
	v_readfirstlane_b32 s6, v12
	v_readfirstlane_b32 s7, v1
	s_nop 4
	global_load_dword v5, v5, s[6:7]
.LBB261_15:
	s_or_b64 exec, exec, s[4:5]
	v_or_b32_e32 v14, 0x800, v0
	v_cmp_gt_u32_e32 vcc, s49, v14
	s_and_saveexec_b64 s[4:5], vcc
	s_cbranch_execz .LBB261_17
; %bb.16:
	v_lshlrev_b32_e32 v6, 2, v14
	v_readfirstlane_b32 s6, v12
	v_readfirstlane_b32 s7, v1
	s_nop 4
	global_load_dword v6, v6, s[6:7]
.LBB261_17:
	s_or_b64 exec, exec, s[4:5]
	v_or_b32_e32 v14, 0xa00, v0
	v_cmp_gt_u32_e32 vcc, s49, v14
	s_and_saveexec_b64 s[4:5], vcc
	s_cbranch_execz .LBB261_19
; %bb.18:
	v_lshlrev_b32_e32 v7, 2, v14
	v_readfirstlane_b32 s6, v12
	v_readfirstlane_b32 s7, v1
	s_nop 4
	global_load_dword v7, v7, s[6:7]
.LBB261_19:
	s_or_b64 exec, exec, s[4:5]
	v_or_b32_e32 v14, 0xc00, v0
	v_cmp_gt_u32_e32 vcc, s49, v14
	s_and_saveexec_b64 s[4:5], vcc
	s_cbranch_execz .LBB261_21
; %bb.20:
	v_lshlrev_b32_e32 v8, 2, v14
	v_readfirstlane_b32 s6, v12
	v_readfirstlane_b32 s7, v1
	s_nop 4
	global_load_dword v8, v8, s[6:7]
.LBB261_21:
	s_or_b64 exec, exec, s[4:5]
	v_or_b32_e32 v14, 0xe00, v0
	v_cmp_gt_u32_e32 vcc, s49, v14
	s_and_saveexec_b64 s[4:5], vcc
	s_cbranch_execz .LBB261_23
; %bb.22:
	v_lshlrev_b32_e32 v9, 2, v14
	v_readfirstlane_b32 s6, v12
	v_readfirstlane_b32 s7, v1
	s_nop 4
	global_load_dword v9, v9, s[6:7]
.LBB261_23:
	s_or_b64 exec, exec, s[4:5]
	v_or_b32_e32 v14, 0x1000, v0
	v_cmp_gt_u32_e32 vcc, s49, v14
	s_and_saveexec_b64 s[4:5], vcc
	s_cbranch_execz .LBB261_25
; %bb.24:
	v_lshlrev_b32_e32 v10, 2, v14
	v_readfirstlane_b32 s6, v12
	v_readfirstlane_b32 s7, v1
	s_nop 4
	global_load_dword v10, v10, s[6:7]
.LBB261_25:
	s_or_b64 exec, exec, s[4:5]
	v_or_b32_e32 v14, 0x1200, v0
	v_cmp_gt_u32_e32 vcc, s49, v14
	s_and_saveexec_b64 s[4:5], vcc
	s_cbranch_execz .LBB261_27
; %bb.26:
	v_lshlrev_b32_e32 v11, 2, v14
	v_readfirstlane_b32 s6, v12
	v_readfirstlane_b32 s7, v1
	s_nop 4
	global_load_dword v11, v11, s[6:7]
.LBB261_27:
	s_or_b64 exec, exec, s[4:5]
	s_waitcnt vmcnt(0)
	ds_write2st64_b32 v13, v2, v3 offset1:8
	ds_write2st64_b32 v13, v4, v5 offset0:16 offset1:24
	ds_write2st64_b32 v13, v6, v7 offset0:32 offset1:40
	;; [unrolled: 1-line block ×4, first 2 shown]
	s_waitcnt lgkmcnt(0)
	s_barrier
.LBB261_28:
	v_mul_u32_u24_e32 v1, 10, v0
	v_lshlrev_b32_e32 v23, 2, v1
	ds_read2_b64 v[6:9], v23 offset1:1
	ds_read2_b64 v[2:5], v23 offset0:2 offset1:3
	ds_read_b64 v[20:21], v23 offset:32
	s_andn2_b64 vcc, exec, s[2:3]
	s_waitcnt lgkmcnt(0)
	v_cmp_ne_u32_e64 s[4:5], s48, v6
	v_cmp_ne_u32_e64 s[2:3], s48, v7
	;; [unrolled: 1-line block ×10, first 2 shown]
	s_barrier
	s_cbranch_vccnz .LBB261_30
; %bb.29:
	s_and_b64 s[20:21], s[20:21], exec
	s_and_b64 s[18:19], s[18:19], exec
	;; [unrolled: 1-line block ×10, first 2 shown]
	s_cbranch_execz .LBB261_31
	s_branch .LBB261_32
.LBB261_30:
                                        ; implicit-def: $sgpr42_sgpr43
                                        ; implicit-def: $sgpr44_sgpr45
                                        ; implicit-def: $sgpr40_sgpr41
                                        ; implicit-def: $sgpr38_sgpr39
                                        ; implicit-def: $sgpr36_sgpr37
                                        ; implicit-def: $sgpr34_sgpr35
                                        ; implicit-def: $sgpr14_sgpr15
                                        ; implicit-def: $sgpr16_sgpr17
                                        ; implicit-def: $sgpr18_sgpr19
                                        ; implicit-def: $sgpr20_sgpr21
.LBB261_31:
	v_or_b32_e32 v10, 1, v1
	v_cmp_gt_u32_e32 vcc, s49, v1
	v_cmp_ne_u32_e64 s[2:3], s48, v6
	s_and_b64 s[4:5], vcc, s[2:3]
	v_cmp_gt_u32_e32 vcc, s49, v10
	v_cmp_ne_u32_e64 s[2:3], s48, v7
	v_add_u32_e32 v11, 2, v1
	s_and_b64 s[6:7], vcc, s[2:3]
	v_add_u32_e32 v12, 3, v1
	v_cmp_gt_u32_e32 vcc, s49, v11
	v_cmp_ne_u32_e64 s[2:3], s48, v8
	s_andn2_b64 s[42:43], s[42:43], exec
	s_and_b64 s[6:7], s[6:7], exec
	v_add_u32_e32 v13, 4, v1
	s_and_b64 s[8:9], vcc, s[2:3]
	v_cmp_gt_u32_e32 vcc, s49, v12
	v_cmp_ne_u32_e64 s[2:3], s48, v9
	s_or_b64 s[42:43], s[42:43], s[6:7]
	s_andn2_b64 s[6:7], s[44:45], exec
	s_and_b64 s[4:5], s[4:5], exec
	v_add_u32_e32 v14, 5, v1
	s_and_b64 s[10:11], vcc, s[2:3]
	v_cmp_gt_u32_e32 vcc, s49, v13
	v_cmp_ne_u32_e64 s[2:3], s48, v2
	s_or_b64 s[44:45], s[6:7], s[4:5]
	;; [unrolled: 7-line block ×6, first 2 shown]
	s_andn2_b64 s[4:5], s[14:15], exec
	s_and_b64 s[6:7], s[50:51], exec
	s_and_b64 s[54:55], vcc, s[2:3]
	v_cmp_gt_u32_e32 vcc, s49, v22
	v_cmp_ne_u32_e64 s[2:3], s48, v21
	s_or_b64 s[14:15], s[4:5], s[6:7]
	s_andn2_b64 s[4:5], s[16:17], exec
	s_and_b64 s[6:7], s[52:53], exec
	s_and_b64 s[2:3], vcc, s[2:3]
	s_or_b64 s[16:17], s[4:5], s[6:7]
	s_andn2_b64 s[4:5], s[18:19], exec
	s_and_b64 s[6:7], s[54:55], exec
	s_or_b64 s[18:19], s[4:5], s[6:7]
	s_andn2_b64 s[4:5], s[20:21], exec
	s_and_b64 s[2:3], s[2:3], exec
	s_or_b64 s[20:21], s[4:5], s[2:3]
.LBB261_32:
	v_cndmask_b32_e64 v38, 0, 1, s[44:45]
	v_cndmask_b32_e64 v36, 0, 1, s[42:43]
	;; [unrolled: 1-line block ×3, first 2 shown]
	v_add_co_u32_e32 v10, vcc, v38, v36
	v_addc_co_u32_e64 v11, s[2:3], 0, 0, vcc
	v_add_co_u32_e32 v10, vcc, v10, v34
	v_cndmask_b32_e64 v32, 0, 1, s[38:39]
	v_addc_co_u32_e32 v11, vcc, 0, v11, vcc
	v_add_co_u32_e32 v10, vcc, v10, v32
	v_cndmask_b32_e64 v30, 0, 1, s[36:37]
	v_addc_co_u32_e32 v11, vcc, 0, v11, vcc
	;; [unrolled: 3-line block ×7, first 2 shown]
	v_add_co_u32_e32 v40, vcc, v10, v1
	v_mbcnt_lo_u32_b32 v1, -1, 0
	v_mbcnt_hi_u32_b32 v25, -1, v1
	v_addc_co_u32_e32 v41, vcc, 0, v11, vcc
	v_and_b32_e32 v29, 15, v25
	s_cmp_lg_u32 s33, 0
	v_cmp_eq_u32_e64 s[4:5], 0, v29
	v_cmp_lt_u32_e64 s[2:3], 1, v29
	v_cmp_lt_u32_e64 s[10:11], 3, v29
	;; [unrolled: 1-line block ×3, first 2 shown]
	v_and_b32_e32 v27, 16, v25
	v_cmp_eq_u32_e64 s[6:7], 0, v25
	v_cmp_ne_u32_e32 vcc, 0, v25
	s_cbranch_scc0 .LBB261_67
; %bb.33:
	v_mov_b32_dpp v1, v40 row_shr:1 row_mask:0xf bank_mask:0xf
	v_add_co_u32_e64 v1, s[12:13], v40, v1
	v_mov_b32_e32 v10, 0
	v_addc_co_u32_e64 v11, s[12:13], 0, v41, s[12:13]
	s_nop 0
	v_mov_b32_dpp v10, v10 row_shr:1 row_mask:0xf bank_mask:0xf
	v_add_co_u32_e64 v12, s[12:13], 0, v1
	v_addc_co_u32_e64 v10, s[12:13], v10, v11, s[12:13]
	v_cndmask_b32_e64 v1, v1, v40, s[4:5]
	v_cndmask_b32_e64 v11, v10, 0, s[4:5]
	v_cndmask_b32_e64 v12, v12, v40, s[4:5]
	v_mov_b32_dpp v13, v1 row_shr:2 row_mask:0xf bank_mask:0xf
	v_cndmask_b32_e64 v10, v10, v41, s[4:5]
	v_mov_b32_dpp v14, v11 row_shr:2 row_mask:0xf bank_mask:0xf
	v_add_co_u32_e64 v13, s[12:13], v13, v12
	v_addc_co_u32_e64 v14, s[12:13], v14, v10, s[12:13]
	v_cndmask_b32_e64 v1, v1, v13, s[2:3]
	v_cndmask_b32_e64 v11, v11, v14, s[2:3]
	v_cndmask_b32_e64 v12, v12, v13, s[2:3]
	v_mov_b32_dpp v13, v1 row_shr:4 row_mask:0xf bank_mask:0xf
	v_cndmask_b32_e64 v10, v10, v14, s[2:3]
	;; [unrolled: 8-line block ×3, first 2 shown]
	v_mov_b32_dpp v14, v11 row_shr:8 row_mask:0xf bank_mask:0xf
	v_add_co_u32_e64 v13, s[10:11], v13, v12
	v_addc_co_u32_e64 v14, s[10:11], v14, v10, s[10:11]
	v_cndmask_b32_e64 v15, v1, v13, s[8:9]
	v_cndmask_b32_e64 v11, v11, v14, s[8:9]
	;; [unrolled: 1-line block ×4, first 2 shown]
	v_mov_b32_dpp v10, v15 row_bcast:15 row_mask:0xf bank_mask:0xf
	v_mov_b32_dpp v14, v11 row_bcast:15 row_mask:0xf bank_mask:0xf
	v_add_co_u32_e64 v13, s[8:9], v10, v12
	v_addc_co_u32_e64 v14, s[8:9], v14, v1, s[8:9]
	v_cmp_eq_u32_e64 s[8:9], 0, v27
	v_cndmask_b32_e64 v10, v14, v11, s[8:9]
	v_cndmask_b32_e64 v11, v13, v15, s[8:9]
	s_nop 0
	v_mov_b32_dpp v16, v10 row_bcast:31 row_mask:0xf bank_mask:0xf
	v_mov_b32_dpp v15, v11 row_bcast:31 row_mask:0xf bank_mask:0xf
	v_pk_mov_b32 v[10:11], v[40:41], v[40:41] op_sel:[0,1]
	s_and_saveexec_b64 s[10:11], vcc
; %bb.34:
	v_cmp_lt_u32_e32 vcc, 31, v25
	v_cndmask_b32_e64 v10, v13, v12, s[8:9]
	v_cndmask_b32_e32 v12, 0, v15, vcc
	v_cndmask_b32_e64 v1, v14, v1, s[8:9]
	v_cndmask_b32_e32 v11, 0, v16, vcc
	v_add_co_u32_e32 v10, vcc, v12, v10
	v_addc_co_u32_e32 v11, vcc, v11, v1, vcc
; %bb.35:
	s_or_b64 exec, exec, s[10:11]
	v_or_b32_e32 v12, 63, v0
	v_lshrrev_b32_e32 v1, 6, v0
	v_cmp_eq_u32_e32 vcc, v12, v0
	s_and_saveexec_b64 s[8:9], vcc
	s_cbranch_execz .LBB261_37
; %bb.36:
	v_lshlrev_b32_e32 v12, 3, v1
	ds_write_b64 v12, v[10:11]
.LBB261_37:
	s_or_b64 exec, exec, s[8:9]
	v_cmp_gt_u32_e32 vcc, 8, v0
	s_waitcnt lgkmcnt(0)
	s_barrier
	s_and_saveexec_b64 s[10:11], vcc
	s_cbranch_execz .LBB261_41
; %bb.38:
	v_lshlrev_b32_e32 v14, 3, v0
	ds_read_b64 v[12:13], v14
	v_and_b32_e32 v15, 7, v25
	v_cmp_ne_u32_e64 s[8:9], 0, v15
	s_waitcnt lgkmcnt(0)
	v_mov_b32_dpp v16, v12 row_shr:1 row_mask:0xf bank_mask:0xf
	v_add_co_u32_e32 v31, vcc, v12, v16
	v_addc_co_u32_e32 v33, vcc, 0, v13, vcc
	v_mov_b32_dpp v17, v13 row_shr:1 row_mask:0xf bank_mask:0xf
	v_add_co_u32_e32 v16, vcc, 0, v31
	v_addc_co_u32_e32 v17, vcc, v17, v33, vcc
	v_cmp_eq_u32_e32 vcc, 0, v15
	v_cndmask_b32_e32 v35, v31, v12, vcc
	v_cndmask_b32_e32 v37, v17, v13, vcc
	;; [unrolled: 1-line block ×3, first 2 shown]
	v_mov_b32_dpp v33, v35 row_shr:2 row_mask:0xf bank_mask:0xf
	v_mov_b32_dpp v39, v37 row_shr:2 row_mask:0xf bank_mask:0xf
	v_add_co_u32_e32 v31, vcc, v33, v31
	v_addc_co_u32_e32 v33, vcc, v39, v37, vcc
	v_cmp_lt_u32_e32 vcc, 1, v15
	v_cndmask_b32_e32 v37, v37, v33, vcc
	v_cndmask_b32_e32 v35, v35, v31, vcc
                                        ; kill: def $vgpr39 killed $sgpr0 killed $exec
	s_nop 0
	v_mov_b32_dpp v37, v37 row_shr:4 row_mask:0xf bank_mask:0xf
	v_mov_b32_dpp v35, v35 row_shr:4 row_mask:0xf bank_mask:0xf
	s_and_saveexec_b64 s[12:13], s[8:9]
; %bb.39:
	v_cndmask_b32_e32 v13, v17, v33, vcc
	v_cndmask_b32_e32 v12, v16, v31, vcc
	v_cmp_lt_u32_e32 vcc, 3, v15
	v_cndmask_b32_e32 v16, 0, v35, vcc
	v_cndmask_b32_e32 v15, 0, v37, vcc
	v_add_co_u32_e32 v12, vcc, v16, v12
	v_addc_co_u32_e32 v13, vcc, v15, v13, vcc
; %bb.40:
	s_or_b64 exec, exec, s[12:13]
	ds_write_b64 v14, v[12:13]
.LBB261_41:
	s_or_b64 exec, exec, s[10:11]
	v_cmp_gt_u32_e32 vcc, 64, v0
	v_cmp_lt_u32_e64 s[8:9], 63, v0
	s_waitcnt lgkmcnt(0)
	s_barrier
	s_waitcnt lgkmcnt(0)
                                        ; implicit-def: $vgpr42_vgpr43
	s_and_saveexec_b64 s[10:11], s[8:9]
	s_cbranch_execz .LBB261_43
; %bb.42:
	v_lshl_add_u32 v1, v1, 3, -8
	ds_read_b64 v[42:43], v1
	s_waitcnt lgkmcnt(0)
	v_add_co_u32_e64 v10, s[8:9], v42, v10
	v_addc_co_u32_e64 v11, s[8:9], v43, v11, s[8:9]
.LBB261_43:
	s_or_b64 exec, exec, s[10:11]
	v_add_u32_e32 v1, -1, v25
	v_and_b32_e32 v12, 64, v25
	v_cmp_lt_i32_e64 s[8:9], v1, v12
	v_cndmask_b32_e64 v1, v1, v25, s[8:9]
	v_lshlrev_b32_e32 v1, 2, v1
	ds_bpermute_b32 v31, v1, v10
	ds_bpermute_b32 v1, v1, v11
	s_and_saveexec_b64 s[12:13], vcc
	s_cbranch_execz .LBB261_66
; %bb.44:
	v_mov_b32_e32 v13, 0
	ds_read_b64 v[10:11], v13 offset:56
	s_and_saveexec_b64 s[8:9], s[6:7]
	s_cbranch_execz .LBB261_46
; %bb.45:
	s_add_i32 s10, s33, 64
	s_mov_b32 s11, 0
	s_lshl_b64 s[10:11], s[10:11], 4
	s_add_u32 s10, s30, s10
	s_addc_u32 s11, s31, s11
	v_mov_b32_e32 v12, 1
	v_pk_mov_b32 v[14:15], s[10:11], s[10:11] op_sel:[0,1]
	s_waitcnt lgkmcnt(0)
	;;#ASMSTART
	global_store_dwordx4 v[14:15], v[10:13] off	
s_waitcnt vmcnt(0)
	;;#ASMEND
.LBB261_46:
	s_or_b64 exec, exec, s[8:9]
	v_xad_u32 v44, v25, -1, s33
	v_add_u32_e32 v12, 64, v44
	v_lshlrev_b64 v[14:15], 4, v[12:13]
	v_mov_b32_e32 v12, s31
	v_add_co_u32_e32 v46, vcc, s30, v14
	v_addc_co_u32_e32 v47, vcc, v12, v15, vcc
	;;#ASMSTART
	global_load_dwordx4 v[14:17], v[46:47] off glc	
s_waitcnt vmcnt(0)
	;;#ASMEND
	v_and_b32_e32 v12, 0xff, v15
	v_and_b32_e32 v17, 0xff00, v15
	v_or3_b32 v12, 0, v12, v17
	v_or3_b32 v14, v14, 0, 0
	v_and_b32_e32 v17, 0xff000000, v15
	v_and_b32_e32 v15, 0xff0000, v15
	v_or3_b32 v15, v12, v15, v17
	v_or3_b32 v14, v14, 0, 0
	v_cmp_eq_u16_sdwa s[10:11], v16, v13 src0_sel:BYTE_0 src1_sel:DWORD
	s_and_saveexec_b64 s[8:9], s[10:11]
	s_cbranch_execz .LBB261_52
; %bb.47:
	s_mov_b32 s46, 1
	s_mov_b64 s[10:11], 0
	v_mov_b32_e32 v12, 0
.LBB261_48:                             ; =>This Loop Header: Depth=1
                                        ;     Child Loop BB261_49 Depth 2
	s_max_u32 s47, s46, 1
.LBB261_49:                             ;   Parent Loop BB261_48 Depth=1
                                        ; =>  This Inner Loop Header: Depth=2
	s_add_i32 s47, s47, -1
	s_cmp_eq_u32 s47, 0
	s_sleep 1
	s_cbranch_scc0 .LBB261_49
; %bb.50:                               ;   in Loop: Header=BB261_48 Depth=1
	s_cmp_lt_u32 s46, 32
	s_cselect_b64 s[48:49], -1, 0
	s_cmp_lg_u64 s[48:49], 0
	s_addc_u32 s46, s46, 0
	;;#ASMSTART
	global_load_dwordx4 v[14:17], v[46:47] off glc	
s_waitcnt vmcnt(0)
	;;#ASMEND
	v_cmp_ne_u16_sdwa s[48:49], v16, v12 src0_sel:BYTE_0 src1_sel:DWORD
	s_or_b64 s[10:11], s[48:49], s[10:11]
	s_andn2_b64 exec, exec, s[10:11]
	s_cbranch_execnz .LBB261_48
; %bb.51:
	s_or_b64 exec, exec, s[10:11]
.LBB261_52:
	s_or_b64 exec, exec, s[8:9]
	v_and_b32_e32 v35, 63, v25
	v_mov_b32_e32 v33, 2
	v_cmp_ne_u32_e32 vcc, 63, v35
	v_cmp_eq_u16_sdwa s[8:9], v16, v33 src0_sel:BYTE_0 src1_sel:DWORD
	v_lshlrev_b64 v[46:47], v25, -1
	v_addc_co_u32_e32 v17, vcc, 0, v25, vcc
	v_and_b32_e32 v12, s9, v47
	v_lshlrev_b32_e32 v37, 2, v17
	v_or_b32_e32 v12, 0x80000000, v12
	ds_bpermute_b32 v17, v37, v14
	v_and_b32_e32 v13, s8, v46
	v_ffbl_b32_e32 v12, v12
	v_add_u32_e32 v12, 32, v12
	v_ffbl_b32_e32 v13, v13
	v_min_u32_e32 v12, v13, v12
	ds_bpermute_b32 v13, v37, v15
	s_waitcnt lgkmcnt(1)
	v_add_co_u32_e32 v17, vcc, v14, v17
	v_addc_co_u32_e32 v39, vcc, 0, v15, vcc
	v_add_co_u32_e32 v48, vcc, 0, v17
	v_cmp_gt_u32_e64 s[8:9], 62, v35
	s_waitcnt lgkmcnt(0)
	v_addc_co_u32_e32 v13, vcc, v13, v39, vcc
	v_cndmask_b32_e64 v39, 0, 1, s[8:9]
	v_cmp_lt_u32_e32 vcc, v35, v12
	v_lshlrev_b32_e32 v39, 1, v39
	v_cndmask_b32_e32 v17, v14, v17, vcc
	v_add_lshl_u32 v39, v39, v25, 2
	v_cndmask_b32_e32 v13, v15, v13, vcc
	ds_bpermute_b32 v49, v39, v17
	ds_bpermute_b32 v51, v39, v13
	v_cndmask_b32_e32 v48, v14, v48, vcc
	v_add_u32_e32 v50, 2, v35
	v_cmp_gt_u32_e64 s[10:11], 60, v35
	s_waitcnt lgkmcnt(1)
	v_add_co_u32_e64 v49, s[8:9], v49, v48
	s_waitcnt lgkmcnt(0)
	v_addc_co_u32_e64 v51, s[8:9], v51, v13, s[8:9]
	v_cmp_gt_u32_e64 s[8:9], v50, v12
	v_cndmask_b32_e64 v13, v51, v13, s[8:9]
	v_cndmask_b32_e64 v51, 0, 1, s[10:11]
	v_lshlrev_b32_e32 v51, 2, v51
	v_cndmask_b32_e64 v17, v49, v17, s[8:9]
	v_add_lshl_u32 v51, v51, v25, 2
	ds_bpermute_b32 v53, v51, v17
	v_cndmask_b32_e64 v48, v49, v48, s[8:9]
	ds_bpermute_b32 v49, v51, v13
	v_add_u32_e32 v52, 4, v35
	v_cmp_gt_u32_e64 s[10:11], 56, v35
	s_waitcnt lgkmcnt(1)
	v_add_co_u32_e64 v54, s[8:9], v53, v48
	s_waitcnt lgkmcnt(0)
	v_addc_co_u32_e64 v49, s[8:9], v49, v13, s[8:9]
	v_cmp_gt_u32_e64 s[8:9], v52, v12
	v_cndmask_b32_e64 v13, v49, v13, s[8:9]
	v_cndmask_b32_e64 v49, 0, 1, s[10:11]
	v_lshlrev_b32_e32 v49, 3, v49
	v_cndmask_b32_e64 v17, v54, v17, s[8:9]
	v_add_lshl_u32 v53, v49, v25, 2
	ds_bpermute_b32 v49, v53, v17
	ds_bpermute_b32 v55, v53, v13
	v_cndmask_b32_e64 v48, v54, v48, s[8:9]
	v_add_u32_e32 v54, 8, v35
	v_cmp_gt_u32_e64 s[10:11], 48, v35
	s_waitcnt lgkmcnt(1)
	v_add_co_u32_e64 v49, s[8:9], v49, v48
	s_waitcnt lgkmcnt(0)
	v_addc_co_u32_e64 v55, s[8:9], v55, v13, s[8:9]
	v_cmp_gt_u32_e64 s[8:9], v54, v12
	v_cndmask_b32_e64 v13, v55, v13, s[8:9]
	v_cndmask_b32_e64 v55, 0, 1, s[10:11]
	v_lshlrev_b32_e32 v55, 4, v55
	v_cndmask_b32_e64 v17, v49, v17, s[8:9]
	v_add_lshl_u32 v55, v55, v25, 2
	ds_bpermute_b32 v57, v55, v17
	v_cndmask_b32_e64 v48, v49, v48, s[8:9]
	ds_bpermute_b32 v49, v55, v13
	v_cmp_gt_u32_e64 s[10:11], 32, v35
	v_add_u32_e32 v56, 16, v35
	s_waitcnt lgkmcnt(1)
	v_add_co_u32_e64 v59, s[8:9], v57, v48
	s_waitcnt lgkmcnt(0)
	v_addc_co_u32_e64 v49, s[8:9], v49, v13, s[8:9]
	v_cndmask_b32_e64 v57, 0, 1, s[10:11]
	v_cmp_gt_u32_e64 s[8:9], v56, v12
	v_lshlrev_b32_e32 v57, 5, v57
	v_cndmask_b32_e64 v17, v59, v17, s[8:9]
	v_add_lshl_u32 v57, v57, v25, 2
	v_cndmask_b32_e64 v13, v49, v13, s[8:9]
	ds_bpermute_b32 v17, v57, v17
	ds_bpermute_b32 v49, v57, v13
	v_add_u32_e32 v58, 32, v35
	v_cndmask_b32_e64 v48, v59, v48, s[8:9]
	v_cmp_le_u32_e64 s[8:9], v58, v12
	s_waitcnt lgkmcnt(1)
	v_cndmask_b32_e64 v17, 0, v17, s[8:9]
	s_waitcnt lgkmcnt(0)
	v_cndmask_b32_e64 v12, 0, v49, s[8:9]
	v_add_co_u32_e64 v17, s[8:9], v17, v48
	v_addc_co_u32_e64 v12, s[8:9], v12, v13, s[8:9]
	v_mov_b32_e32 v45, 0
	v_cndmask_b32_e32 v15, v15, v12, vcc
	v_cndmask_b32_e32 v14, v14, v17, vcc
	s_branch .LBB261_54
.LBB261_53:                             ;   in Loop: Header=BB261_54 Depth=1
	s_or_b64 exec, exec, s[8:9]
	v_cmp_eq_u16_sdwa s[8:9], v16, v33 src0_sel:BYTE_0 src1_sel:DWORD
	v_and_b32_e32 v17, s9, v47
	v_or_b32_e32 v17, 0x80000000, v17
	ds_bpermute_b32 v49, v37, v14
	v_and_b32_e32 v48, s8, v46
	v_ffbl_b32_e32 v17, v17
	v_add_u32_e32 v17, 32, v17
	v_ffbl_b32_e32 v48, v48
	v_min_u32_e32 v17, v48, v17
	ds_bpermute_b32 v48, v37, v15
	s_waitcnt lgkmcnt(1)
	v_add_co_u32_e32 v49, vcc, v14, v49
	v_addc_co_u32_e32 v59, vcc, 0, v15, vcc
	v_add_co_u32_e32 v60, vcc, 0, v49
	s_waitcnt lgkmcnt(0)
	v_addc_co_u32_e32 v48, vcc, v48, v59, vcc
	v_cmp_lt_u32_e32 vcc, v35, v17
	v_cndmask_b32_e32 v49, v14, v49, vcc
	ds_bpermute_b32 v59, v39, v49
	v_cndmask_b32_e32 v48, v15, v48, vcc
	ds_bpermute_b32 v61, v39, v48
	v_cndmask_b32_e32 v60, v14, v60, vcc
	v_subrev_u32_e32 v44, 64, v44
	s_waitcnt lgkmcnt(1)
	v_add_co_u32_e64 v59, s[8:9], v59, v60
	s_waitcnt lgkmcnt(0)
	v_addc_co_u32_e64 v61, s[8:9], v61, v48, s[8:9]
	v_cmp_gt_u32_e64 s[8:9], v50, v17
	v_cndmask_b32_e64 v49, v59, v49, s[8:9]
	ds_bpermute_b32 v62, v51, v49
	v_cndmask_b32_e64 v48, v61, v48, s[8:9]
	ds_bpermute_b32 v61, v51, v48
	v_cndmask_b32_e64 v59, v59, v60, s[8:9]
	s_waitcnt lgkmcnt(1)
	v_add_co_u32_e64 v60, s[8:9], v62, v59
	s_waitcnt lgkmcnt(0)
	v_addc_co_u32_e64 v61, s[8:9], v61, v48, s[8:9]
	v_cmp_gt_u32_e64 s[8:9], v52, v17
	v_cndmask_b32_e64 v49, v60, v49, s[8:9]
	ds_bpermute_b32 v62, v53, v49
	v_cndmask_b32_e64 v48, v61, v48, s[8:9]
	ds_bpermute_b32 v61, v53, v48
	v_cndmask_b32_e64 v59, v60, v59, s[8:9]
	;; [unrolled: 10-line block ×3, first 2 shown]
	s_waitcnt lgkmcnt(1)
	v_add_co_u32_e64 v60, s[8:9], v62, v59
	s_waitcnt lgkmcnt(0)
	v_addc_co_u32_e64 v61, s[8:9], v61, v48, s[8:9]
	v_cmp_gt_u32_e64 s[8:9], v56, v17
	v_cndmask_b32_e64 v49, v60, v49, s[8:9]
	v_cndmask_b32_e64 v48, v61, v48, s[8:9]
	ds_bpermute_b32 v49, v57, v49
	ds_bpermute_b32 v61, v57, v48
	v_cndmask_b32_e64 v59, v60, v59, s[8:9]
	v_cmp_le_u32_e64 s[8:9], v58, v17
	s_waitcnt lgkmcnt(1)
	v_cndmask_b32_e64 v49, 0, v49, s[8:9]
	s_waitcnt lgkmcnt(0)
	v_cndmask_b32_e64 v17, 0, v61, s[8:9]
	v_add_co_u32_e64 v49, s[8:9], v49, v59
	v_addc_co_u32_e64 v17, s[8:9], v17, v48, s[8:9]
	v_cndmask_b32_e32 v14, v14, v49, vcc
	v_cndmask_b32_e32 v15, v15, v17, vcc
	v_add_co_u32_e32 v14, vcc, v14, v12
	v_addc_co_u32_e32 v15, vcc, v15, v13, vcc
.LBB261_54:                             ; =>This Loop Header: Depth=1
                                        ;     Child Loop BB261_57 Depth 2
                                        ;       Child Loop BB261_58 Depth 3
	v_cmp_ne_u16_sdwa s[8:9], v16, v33 src0_sel:BYTE_0 src1_sel:DWORD
	v_cndmask_b32_e64 v12, 0, 1, s[8:9]
	;;#ASMSTART
	;;#ASMEND
	v_cmp_ne_u32_e32 vcc, 0, v12
	s_cmp_lg_u64 vcc, exec
	v_pk_mov_b32 v[12:13], v[14:15], v[14:15] op_sel:[0,1]
	s_cbranch_scc1 .LBB261_61
; %bb.55:                               ;   in Loop: Header=BB261_54 Depth=1
	v_lshlrev_b64 v[14:15], 4, v[44:45]
	v_mov_b32_e32 v16, s31
	v_add_co_u32_e32 v48, vcc, s30, v14
	v_addc_co_u32_e32 v49, vcc, v16, v15, vcc
	;;#ASMSTART
	global_load_dwordx4 v[14:17], v[48:49] off glc	
s_waitcnt vmcnt(0)
	;;#ASMEND
	v_and_b32_e32 v17, 0xff, v15
	v_and_b32_e32 v59, 0xff00, v15
	v_or3_b32 v17, 0, v17, v59
	v_or3_b32 v14, v14, 0, 0
	v_and_b32_e32 v59, 0xff000000, v15
	v_and_b32_e32 v15, 0xff0000, v15
	v_or3_b32 v15, v17, v15, v59
	v_or3_b32 v14, v14, 0, 0
	v_cmp_eq_u16_sdwa s[10:11], v16, v45 src0_sel:BYTE_0 src1_sel:DWORD
	s_and_saveexec_b64 s[8:9], s[10:11]
	s_cbranch_execz .LBB261_53
; %bb.56:                               ;   in Loop: Header=BB261_54 Depth=1
	s_mov_b32 s46, 1
	s_mov_b64 s[10:11], 0
.LBB261_57:                             ;   Parent Loop BB261_54 Depth=1
                                        ; =>  This Loop Header: Depth=2
                                        ;       Child Loop BB261_58 Depth 3
	s_max_u32 s47, s46, 1
.LBB261_58:                             ;   Parent Loop BB261_54 Depth=1
                                        ;     Parent Loop BB261_57 Depth=2
                                        ; =>    This Inner Loop Header: Depth=3
	s_add_i32 s47, s47, -1
	s_cmp_eq_u32 s47, 0
	s_sleep 1
	s_cbranch_scc0 .LBB261_58
; %bb.59:                               ;   in Loop: Header=BB261_57 Depth=2
	s_cmp_lt_u32 s46, 32
	s_cselect_b64 s[48:49], -1, 0
	s_cmp_lg_u64 s[48:49], 0
	s_addc_u32 s46, s46, 0
	;;#ASMSTART
	global_load_dwordx4 v[14:17], v[48:49] off glc	
s_waitcnt vmcnt(0)
	;;#ASMEND
	v_cmp_ne_u16_sdwa s[48:49], v16, v45 src0_sel:BYTE_0 src1_sel:DWORD
	s_or_b64 s[10:11], s[48:49], s[10:11]
	s_andn2_b64 exec, exec, s[10:11]
	s_cbranch_execnz .LBB261_57
; %bb.60:                               ;   in Loop: Header=BB261_54 Depth=1
	s_or_b64 exec, exec, s[10:11]
	s_branch .LBB261_53
.LBB261_61:                             ;   in Loop: Header=BB261_54 Depth=1
                                        ; implicit-def: $vgpr14_vgpr15
                                        ; implicit-def: $vgpr16
	s_cbranch_execz .LBB261_54
; %bb.62:
	s_and_saveexec_b64 s[8:9], s[6:7]
	s_cbranch_execz .LBB261_64
; %bb.63:
	s_add_i32 s10, s33, 64
	s_mov_b32 s11, 0
	s_lshl_b64 s[10:11], s[10:11], 4
	s_add_u32 s10, s30, s10
	v_add_co_u32_e32 v14, vcc, v12, v10
	s_addc_u32 s11, s31, s11
	v_addc_co_u32_e32 v15, vcc, v13, v11, vcc
	v_mov_b32_e32 v16, 2
	v_mov_b32_e32 v17, 0
	v_pk_mov_b32 v[44:45], s[10:11], s[10:11] op_sel:[0,1]
	;;#ASMSTART
	global_store_dwordx4 v[44:45], v[14:17] off	
s_waitcnt vmcnt(0)
	;;#ASMEND
	ds_write_b128 v17, v[10:13] offset:20480
.LBB261_64:
	s_or_b64 exec, exec, s[8:9]
	s_and_b64 exec, exec, s[0:1]
	s_cbranch_execz .LBB261_66
; %bb.65:
	v_mov_b32_e32 v10, 0
	ds_write_b64 v10, v[12:13] offset:56
.LBB261_66:
	s_or_b64 exec, exec, s[12:13]
	v_mov_b32_e32 v13, 0
	s_waitcnt lgkmcnt(0)
	s_barrier
	ds_read_b64 v[10:11], v13 offset:56
	v_cndmask_b32_e64 v12, v31, v42, s[6:7]
	v_cndmask_b32_e64 v1, v1, v43, s[6:7]
	;; [unrolled: 1-line block ×4, first 2 shown]
	s_waitcnt lgkmcnt(0)
	v_add_co_u32_e32 v56, vcc, v10, v12
	v_addc_co_u32_e32 v57, vcc, v11, v1, vcc
	v_add_co_u32_e32 v54, vcc, v56, v38
	v_addc_co_u32_e32 v55, vcc, 0, v57, vcc
	;; [unrolled: 2-line block ×8, first 2 shown]
	s_barrier
	ds_read_b128 v[10:13], v13 offset:20480
	v_add_co_u32_e32 v14, vcc, v42, v24
	v_addc_co_u32_e32 v15, vcc, 0, v43, vcc
	v_add_co_u32_e32 v16, vcc, v14, v22
	v_addc_co_u32_e32 v17, vcc, 0, v15, vcc
	s_branch .LBB261_81
.LBB261_67:
                                        ; kill: def $vgpr10_vgpr11 killed $sgpr0_sgpr1 killed $exec
                                        ; implicit-def: $vgpr12_vgpr13
                                        ; implicit-def: $vgpr16_vgpr17
                                        ; implicit-def: $vgpr14_vgpr15
                                        ; implicit-def: $vgpr42_vgpr43
                                        ; implicit-def: $vgpr44_vgpr45
                                        ; implicit-def: $vgpr46_vgpr47
                                        ; implicit-def: $vgpr48_vgpr49
                                        ; implicit-def: $vgpr50_vgpr51
                                        ; implicit-def: $vgpr52_vgpr53
                                        ; implicit-def: $vgpr54_vgpr55
                                        ; implicit-def: $vgpr56_vgpr57
	s_cbranch_execz .LBB261_81
; %bb.68:
	v_mov_b32_dpp v1, v40 row_shr:1 row_mask:0xf bank_mask:0xf
	v_add_co_u32_e32 v1, vcc, v40, v1
	s_waitcnt lgkmcnt(0)
	v_mov_b32_e32 v10, 0
	v_addc_co_u32_e32 v11, vcc, 0, v41, vcc
	s_nop 0
	v_mov_b32_dpp v10, v10 row_shr:1 row_mask:0xf bank_mask:0xf
	v_add_co_u32_e32 v12, vcc, 0, v1
	v_addc_co_u32_e32 v10, vcc, v10, v11, vcc
	v_cndmask_b32_e64 v1, v1, v40, s[4:5]
	v_cndmask_b32_e64 v11, v10, 0, s[4:5]
	v_cndmask_b32_e64 v12, v12, v40, s[4:5]
	v_mov_b32_dpp v13, v1 row_shr:2 row_mask:0xf bank_mask:0xf
	v_cndmask_b32_e64 v10, v10, v41, s[4:5]
	v_mov_b32_dpp v14, v11 row_shr:2 row_mask:0xf bank_mask:0xf
	v_add_co_u32_e32 v13, vcc, v13, v12
	v_addc_co_u32_e32 v14, vcc, v14, v10, vcc
	v_cndmask_b32_e64 v1, v1, v13, s[2:3]
	v_cndmask_b32_e64 v11, v11, v14, s[2:3]
	;; [unrolled: 1-line block ×3, first 2 shown]
	v_mov_b32_dpp v13, v1 row_shr:4 row_mask:0xf bank_mask:0xf
	v_cndmask_b32_e64 v10, v10, v14, s[2:3]
	v_mov_b32_dpp v14, v11 row_shr:4 row_mask:0xf bank_mask:0xf
	v_add_co_u32_e32 v13, vcc, v13, v12
	v_addc_co_u32_e32 v14, vcc, v14, v10, vcc
	v_cmp_lt_u32_e32 vcc, 3, v29
	v_cndmask_b32_e32 v1, v1, v13, vcc
	v_cndmask_b32_e32 v11, v11, v14, vcc
	;; [unrolled: 1-line block ×3, first 2 shown]
	v_mov_b32_dpp v13, v1 row_shr:8 row_mask:0xf bank_mask:0xf
	v_cndmask_b32_e32 v10, v10, v14, vcc
	v_mov_b32_dpp v14, v11 row_shr:8 row_mask:0xf bank_mask:0xf
	v_add_co_u32_e32 v13, vcc, v13, v12
	v_addc_co_u32_e32 v14, vcc, v14, v10, vcc
	v_cmp_lt_u32_e32 vcc, 7, v29
	v_cndmask_b32_e32 v16, v1, v13, vcc
	v_cndmask_b32_e32 v15, v11, v14, vcc
	;; [unrolled: 1-line block ×4, first 2 shown]
	v_mov_b32_dpp v11, v16 row_bcast:15 row_mask:0xf bank_mask:0xf
	v_mov_b32_dpp v12, v15 row_bcast:15 row_mask:0xf bank_mask:0xf
	v_add_co_u32_e32 v11, vcc, v11, v10
	v_addc_co_u32_e32 v12, vcc, v12, v1, vcc
	v_cmp_eq_u32_e64 s[2:3], 0, v27
	v_cndmask_b32_e64 v14, v12, v15, s[2:3]
	v_cndmask_b32_e64 v13, v11, v16, s[2:3]
	v_cmp_eq_u32_e32 vcc, 0, v25
	v_mov_b32_dpp v14, v14 row_bcast:31 row_mask:0xf bank_mask:0xf
	v_mov_b32_dpp v13, v13 row_bcast:31 row_mask:0xf bank_mask:0xf
	v_cmp_ne_u32_e64 s[4:5], 0, v25
	s_and_saveexec_b64 s[6:7], s[4:5]
; %bb.69:
	v_cndmask_b32_e64 v1, v12, v1, s[2:3]
	v_cndmask_b32_e64 v10, v11, v10, s[2:3]
	v_cmp_lt_u32_e64 s[2:3], 31, v25
	v_cndmask_b32_e64 v12, 0, v13, s[2:3]
	v_cndmask_b32_e64 v11, 0, v14, s[2:3]
	v_add_co_u32_e64 v40, s[2:3], v12, v10
	v_addc_co_u32_e64 v41, s[2:3], v11, v1, s[2:3]
; %bb.70:
	s_or_b64 exec, exec, s[6:7]
	v_or_b32_e32 v10, 63, v0
	v_lshrrev_b32_e32 v1, 6, v0
	v_cmp_eq_u32_e64 s[2:3], v10, v0
	s_and_saveexec_b64 s[4:5], s[2:3]
	s_cbranch_execz .LBB261_72
; %bb.71:
	v_lshlrev_b32_e32 v10, 3, v1
	ds_write_b64 v10, v[40:41]
.LBB261_72:
	s_or_b64 exec, exec, s[4:5]
	v_cmp_gt_u32_e64 s[2:3], 8, v0
	s_waitcnt lgkmcnt(0)
	s_barrier
	s_and_saveexec_b64 s[6:7], s[2:3]
	s_cbranch_execz .LBB261_76
; %bb.73:
	v_lshlrev_b32_e32 v12, 5, v0
	v_sub_u32_e32 v10, v23, v12
	ds_read_b64 v[10:11], v10
	v_and_b32_e32 v13, 7, v25
	v_sub_u32_e32 v12, 0, v12
	v_cmp_ne_u32_e64 s[4:5], 0, v13
	s_waitcnt lgkmcnt(0)
	v_mov_b32_dpp v14, v10 row_shr:1 row_mask:0xf bank_mask:0xf
	v_add_co_u32_e64 v16, s[2:3], v10, v14
	v_addc_co_u32_e64 v17, s[2:3], 0, v11, s[2:3]
	v_mov_b32_dpp v15, v11 row_shr:1 row_mask:0xf bank_mask:0xf
	v_add_co_u32_e64 v14, s[2:3], 0, v16
	v_addc_co_u32_e64 v15, s[2:3], v15, v17, s[2:3]
	v_cmp_eq_u32_e64 s[2:3], 0, v13
	v_cndmask_b32_e64 v27, v16, v10, s[2:3]
	v_cndmask_b32_e64 v29, v15, v11, s[2:3]
	;; [unrolled: 1-line block ×3, first 2 shown]
	v_mov_b32_dpp v17, v27 row_shr:2 row_mask:0xf bank_mask:0xf
	v_mov_b32_dpp v31, v29 row_shr:2 row_mask:0xf bank_mask:0xf
	v_add_co_u32_e64 v16, s[2:3], v17, v16
	v_addc_co_u32_e64 v17, s[2:3], v31, v29, s[2:3]
	v_cmp_lt_u32_e64 s[2:3], 1, v13
	v_cndmask_b32_e64 v29, v29, v17, s[2:3]
	v_cndmask_b32_e64 v27, v27, v16, s[2:3]
                                        ; kill: def $vgpr31 killed $sgpr0 killed $exec
	s_nop 0
	v_mov_b32_dpp v29, v29 row_shr:4 row_mask:0xf bank_mask:0xf
	v_mov_b32_dpp v27, v27 row_shr:4 row_mask:0xf bank_mask:0xf
	s_and_saveexec_b64 s[8:9], s[4:5]
; %bb.74:
	v_cndmask_b32_e64 v11, v15, v17, s[2:3]
	v_cndmask_b32_e64 v10, v14, v16, s[2:3]
	v_cmp_lt_u32_e64 s[2:3], 3, v13
	v_cndmask_b32_e64 v14, 0, v27, s[2:3]
	v_cndmask_b32_e64 v13, 0, v29, s[2:3]
	v_add_co_u32_e64 v10, s[2:3], v14, v10
	v_addc_co_u32_e64 v11, s[2:3], v13, v11, s[2:3]
; %bb.75:
	s_or_b64 exec, exec, s[8:9]
	v_add_u32_e32 v12, v23, v12
	ds_write_b64 v12, v[10:11]
.LBB261_76:
	s_or_b64 exec, exec, s[6:7]
	v_cmp_lt_u32_e64 s[2:3], 63, v0
	v_pk_mov_b32 v[14:15], 0, 0
	s_waitcnt lgkmcnt(0)
	s_barrier
	s_and_saveexec_b64 s[4:5], s[2:3]
	s_cbranch_execz .LBB261_78
; %bb.77:
	v_lshl_add_u32 v1, v1, 3, -8
	ds_read_b64 v[14:15], v1
.LBB261_78:
	s_or_b64 exec, exec, s[4:5]
	s_waitcnt lgkmcnt(0)
	v_add_co_u32_e64 v1, s[2:3], v14, v40
	v_addc_co_u32_e64 v10, s[2:3], v15, v41, s[2:3]
	v_add_u32_e32 v11, -1, v25
	v_and_b32_e32 v12, 64, v25
	v_cmp_lt_i32_e64 s[2:3], v11, v12
	v_cndmask_b32_e64 v11, v11, v25, s[2:3]
	v_lshlrev_b32_e32 v11, 2, v11
	v_mov_b32_e32 v13, 0
	ds_bpermute_b32 v1, v11, v1
	ds_bpermute_b32 v16, v11, v10
	ds_read_b64 v[10:11], v13 offset:56
	s_and_saveexec_b64 s[2:3], s[0:1]
	s_cbranch_execz .LBB261_80
; %bb.79:
	s_add_u32 s4, s30, 0x400
	s_addc_u32 s5, s31, 0
	v_mov_b32_e32 v12, 2
	v_pk_mov_b32 v[40:41], s[4:5], s[4:5] op_sel:[0,1]
	s_waitcnt lgkmcnt(0)
	;;#ASMSTART
	global_store_dwordx4 v[40:41], v[10:13] off	
s_waitcnt vmcnt(0)
	;;#ASMEND
.LBB261_80:
	s_or_b64 exec, exec, s[2:3]
	s_waitcnt lgkmcnt(2)
	v_cndmask_b32_e32 v1, v1, v14, vcc
	s_waitcnt lgkmcnt(1)
	v_cndmask_b32_e32 v12, v16, v15, vcc
	v_cndmask_b32_e64 v56, v1, 0, s[0:1]
	v_cndmask_b32_e64 v57, v12, 0, s[0:1]
	v_add_co_u32_e32 v54, vcc, v56, v38
	v_addc_co_u32_e32 v55, vcc, 0, v57, vcc
	v_add_co_u32_e32 v52, vcc, v54, v36
	v_addc_co_u32_e32 v53, vcc, 0, v55, vcc
	;; [unrolled: 2-line block ×9, first 2 shown]
	s_waitcnt lgkmcnt(0)
	s_barrier
	v_pk_mov_b32 v[12:13], 0, 0
.LBB261_81:
	s_mov_b64 s[2:3], 0x201
	s_waitcnt lgkmcnt(0)
	v_cmp_gt_u64_e32 vcc, s[2:3], v[10:11]
	s_mov_b64 s[2:3], -1
	s_cbranch_vccnz .LBB261_85
; %bb.82:
	s_and_b64 vcc, exec, s[2:3]
	s_cbranch_vccnz .LBB261_106
.LBB261_83:
	s_and_b64 s[0:1], s[0:1], s[26:27]
	s_and_saveexec_b64 s[2:3], s[0:1]
	s_cbranch_execnz .LBB261_128
.LBB261_84:
	s_endpgm
.LBB261_85:
	v_add_co_u32_e32 v22, vcc, v12, v10
	v_addc_co_u32_e32 v23, vcc, v13, v11, vcc
	s_waitcnt vmcnt(0)
	v_lshlrev_b64 v[24:25], 2, v[18:19]
	v_mov_b32_e32 v26, s23
	v_add_co_u32_e32 v1, vcc, s22, v24
	v_addc_co_u32_e32 v24, vcc, v26, v25, vcc
	v_cmp_ge_u64_e32 vcc, v[56:57], v[22:23]
	s_and_b64 s[2:3], s[28:29], vcc
	s_xor_b64 s[4:5], s[44:45], -1
	s_or_b64 s[2:3], s[2:3], s[4:5]
	s_xor_b64 s[4:5], s[2:3], -1
	s_and_saveexec_b64 s[2:3], s[4:5]
	s_cbranch_execz .LBB261_87
; %bb.86:
	v_lshlrev_b64 v[26:27], 2, v[56:57]
	v_add_co_u32_e32 v26, vcc, v1, v26
	v_addc_co_u32_e32 v27, vcc, v24, v27, vcc
	global_store_dword v[26:27], v6, off
.LBB261_87:
	s_or_b64 exec, exec, s[2:3]
	v_cmp_ge_u64_e32 vcc, v[54:55], v[22:23]
	s_and_b64 s[2:3], s[28:29], vcc
	s_xor_b64 s[4:5], s[42:43], -1
	s_or_b64 s[2:3], s[2:3], s[4:5]
	s_xor_b64 s[4:5], s[2:3], -1
	s_and_saveexec_b64 s[2:3], s[4:5]
	s_cbranch_execz .LBB261_89
; %bb.88:
	v_lshlrev_b64 v[26:27], 2, v[54:55]
	v_add_co_u32_e32 v26, vcc, v1, v26
	v_addc_co_u32_e32 v27, vcc, v24, v27, vcc
	global_store_dword v[26:27], v7, off
.LBB261_89:
	s_or_b64 exec, exec, s[2:3]
	;; [unrolled: 14-line block ×10, first 2 shown]
	s_branch .LBB261_83
.LBB261_106:
	s_and_saveexec_b64 s[2:3], s[44:45]
	s_cbranch_execnz .LBB261_129
; %bb.107:
	s_or_b64 exec, exec, s[2:3]
	s_and_saveexec_b64 s[2:3], s[42:43]
	s_cbranch_execnz .LBB261_130
.LBB261_108:
	s_or_b64 exec, exec, s[2:3]
	s_and_saveexec_b64 s[2:3], s[40:41]
	s_cbranch_execnz .LBB261_131
.LBB261_109:
	s_or_b64 exec, exec, s[2:3]
	s_and_saveexec_b64 s[2:3], s[38:39]
	s_cbranch_execnz .LBB261_132
.LBB261_110:
	s_or_b64 exec, exec, s[2:3]
	s_and_saveexec_b64 s[2:3], s[36:37]
	s_cbranch_execnz .LBB261_133
.LBB261_111:
	s_or_b64 exec, exec, s[2:3]
	s_and_saveexec_b64 s[2:3], s[34:35]
	s_cbranch_execnz .LBB261_134
.LBB261_112:
	s_or_b64 exec, exec, s[2:3]
	s_and_saveexec_b64 s[2:3], s[14:15]
	s_cbranch_execnz .LBB261_135
.LBB261_113:
	s_or_b64 exec, exec, s[2:3]
	s_and_saveexec_b64 s[2:3], s[16:17]
	s_cbranch_execnz .LBB261_136
.LBB261_114:
	s_or_b64 exec, exec, s[2:3]
	s_and_saveexec_b64 s[2:3], s[18:19]
	s_cbranch_execnz .LBB261_137
.LBB261_115:
	s_or_b64 exec, exec, s[2:3]
	s_and_saveexec_b64 s[2:3], s[20:21]
	s_cbranch_execz .LBB261_117
.LBB261_116:
	v_sub_u32_e32 v1, v16, v12
	v_lshlrev_b32_e32 v1, 2, v1
	ds_write_b32 v1, v21
.LBB261_117:
	s_or_b64 exec, exec, s[2:3]
	v_mov_b32_e32 v1, 0
	v_cmp_gt_u64_e32 vcc, v[10:11], v[0:1]
	s_waitcnt lgkmcnt(0)
	s_barrier
	s_and_saveexec_b64 s[8:9], vcc
	s_cbranch_execz .LBB261_127
; %bb.118:
	v_not_b32_e32 v3, v0
	v_not_b32_e32 v2, 0
	v_add_co_u32_e32 v4, vcc, v10, v3
	v_addc_co_u32_e32 v5, vcc, v11, v2, vcc
	s_mov_b64 s[2:3], 0x5e00
	s_mov_b64 s[4:5], 0x5dff
	v_cmp_gt_u64_e64 s[2:3], s[2:3], v[4:5]
	v_cmp_lt_u64_e32 vcc, s[4:5], v[4:5]
	v_pk_mov_b32 v[2:3], v[0:1], v[0:1] op_sel:[0,1]
	s_and_saveexec_b64 s[10:11], vcc
	s_cbranch_execz .LBB261_124
; %bb.119:
	v_alignbit_b32 v2, v5, v4, 9
	s_mov_b32 s4, 0x7fffff
	s_mov_b32 s6, -1
	v_lshlrev_b32_e32 v3, 9, v2
	v_cmp_lt_u32_e32 vcc, s4, v2
	v_not_b32_e32 v2, v0
	s_movk_i32 s7, 0x1ff
	v_cmp_gt_u32_e64 s[4:5], v3, v2
	v_xor_b32_e32 v2, 0xfffffdff, v0
	v_cmp_lt_u64_e64 s[6:7], s[6:7], v[4:5]
	s_or_b64 s[12:13], s[4:5], vcc
	v_cmp_lt_u32_e64 s[4:5], v2, v3
	s_or_b64 s[6:7], vcc, s[6:7]
	s_or_b64 s[4:5], s[6:7], s[4:5]
	s_or_b64 s[6:7], s[12:13], s[4:5]
	s_mov_b64 s[4:5], -1
	s_xor_b64 s[12:13], s[6:7], -1
	v_pk_mov_b32 v[2:3], v[0:1], v[0:1] op_sel:[0,1]
	s_and_saveexec_b64 s[6:7], s[12:13]
	s_cbranch_execz .LBB261_123
; %bb.120:
	v_lshrrev_b64 v[2:3], 9, v[4:5]
	v_add_co_u32_e32 v6, vcc, 1, v2
	v_addc_co_u32_e32 v7, vcc, 0, v3, vcc
	v_lshlrev_b64 v[4:5], 2, v[12:13]
	s_waitcnt vmcnt(0)
	v_lshlrev_b64 v[14:15], 2, v[18:19]
	v_add_co_u32_e32 v4, vcc, v4, v14
	v_addc_co_u32_e32 v5, vcc, v5, v15, vcc
	v_mov_b32_e32 v15, s23
	v_add_co_u32_e32 v4, vcc, s22, v4
	v_lshlrev_b32_e32 v14, 2, v0
	v_addc_co_u32_e32 v5, vcc, v15, v5, vcc
	v_add_co_u32_e32 v4, vcc, v4, v14
	v_addc_co_u32_e32 v5, vcc, 0, v5, vcc
	s_movk_i32 s4, 0x800
	v_or_b32_e32 v2, 0x200, v0
	v_mov_b32_e32 v3, v1
	v_add_co_u32_e32 v14, vcc, s4, v4
	v_and_b32_e32 v8, -2, v6
	v_mov_b32_e32 v9, v7
	v_addc_co_u32_e32 v15, vcc, 0, v5, vcc
	v_pk_mov_b32 v[4:5], v[2:3], v[2:3] op_sel:[0,1]
	s_mov_b64 s[12:13], 0
	v_pk_mov_b32 v[16:17], v[8:9], v[8:9] op_sel:[0,1]
	v_pk_mov_b32 v[2:3], v[0:1], v[0:1] op_sel:[0,1]
.LBB261_121:                            ; =>This Inner Loop Header: Depth=1
	v_lshlrev_b32_e32 v1, 2, v2
	v_lshlrev_b32_e32 v20, 2, v4
	ds_read_b32 v1, v1
	ds_read_b32 v20, v20
	v_add_co_u32_e32 v4, vcc, 0x400, v4
	v_addc_co_u32_e32 v5, vcc, 0, v5, vcc
	v_add_co_u32_e64 v16, s[4:5], -2, v16
	v_add_co_u32_e32 v2, vcc, 0x400, v2
	v_addc_co_u32_e64 v17, s[4:5], -1, v17, s[4:5]
	v_addc_co_u32_e32 v3, vcc, 0, v3, vcc
	v_cmp_eq_u64_e64 s[4:5], 0, v[16:17]
	s_waitcnt lgkmcnt(1)
	global_store_dword v[14:15], v1, off offset:-2048
	s_waitcnt lgkmcnt(0)
	global_store_dword v[14:15], v20, off
	v_add_co_u32_e32 v14, vcc, 0x1000, v14
	s_or_b64 s[12:13], s[4:5], s[12:13]
	v_addc_co_u32_e32 v15, vcc, 0, v15, vcc
	s_andn2_b64 exec, exec, s[12:13]
	s_cbranch_execnz .LBB261_121
; %bb.122:
	s_or_b64 exec, exec, s[12:13]
	v_lshlrev_b64 v[2:3], 9, v[8:9]
	v_cmp_ne_u64_e32 vcc, v[6:7], v[8:9]
	v_or_b32_e32 v3, 0, v3
	v_or_b32_e32 v2, v2, v0
	v_lshl_or_b32 v0, v8, 9, v0
	s_orn2_b64 s[4:5], vcc, exec
.LBB261_123:
	s_or_b64 exec, exec, s[6:7]
	s_andn2_b64 s[2:3], s[2:3], exec
	s_and_b64 s[4:5], s[4:5], exec
	s_or_b64 s[2:3], s[2:3], s[4:5]
.LBB261_124:
	s_or_b64 exec, exec, s[10:11]
	s_and_b64 exec, exec, s[2:3]
	s_cbranch_execz .LBB261_127
; %bb.125:
	v_lshlrev_b64 v[4:5], 2, v[12:13]
	v_mov_b32_e32 v1, s23
	v_add_co_u32_e32 v6, vcc, s22, v4
	v_addc_co_u32_e32 v1, vcc, v1, v5, vcc
	s_waitcnt vmcnt(0)
	v_lshlrev_b64 v[4:5], 2, v[18:19]
	v_add_co_u32_e32 v4, vcc, v6, v4
	v_addc_co_u32_e32 v5, vcc, v1, v5, vcc
	v_add_u32_e32 v0, 0x200, v0
	s_mov_b64 s[4:5], 0
	v_mov_b32_e32 v1, 0
.LBB261_126:                            ; =>This Inner Loop Header: Depth=1
	v_lshlrev_b32_e32 v8, 2, v2
	ds_read_b32 v8, v8
	v_lshlrev_b64 v[6:7], 2, v[2:3]
	v_cmp_le_u64_e32 vcc, v[10:11], v[0:1]
	v_add_co_u32_e64 v6, s[2:3], v4, v6
	v_pk_mov_b32 v[2:3], v[0:1], v[0:1] op_sel:[0,1]
	v_add_u32_e32 v0, 0x200, v0
	v_addc_co_u32_e64 v7, s[2:3], v5, v7, s[2:3]
	s_or_b64 s[4:5], vcc, s[4:5]
	s_waitcnt lgkmcnt(0)
	global_store_dword v[6:7], v8, off
	s_andn2_b64 exec, exec, s[4:5]
	s_cbranch_execnz .LBB261_126
.LBB261_127:
	s_or_b64 exec, exec, s[8:9]
	s_and_b64 s[0:1], s[0:1], s[26:27]
	s_and_saveexec_b64 s[2:3], s[0:1]
	s_cbranch_execz .LBB261_84
.LBB261_128:
	v_add_co_u32_e32 v0, vcc, v12, v10
	v_addc_co_u32_e32 v1, vcc, v13, v11, vcc
	s_waitcnt vmcnt(0)
	v_add_co_u32_e32 v0, vcc, v0, v18
	v_mov_b32_e32 v2, 0
	v_addc_co_u32_e32 v1, vcc, v1, v19, vcc
	global_store_dwordx2 v2, v[0:1], s[24:25]
	s_endpgm
.LBB261_129:
	v_sub_u32_e32 v1, v56, v12
	v_lshlrev_b32_e32 v1, 2, v1
	ds_write_b32 v1, v6
	s_or_b64 exec, exec, s[2:3]
	s_and_saveexec_b64 s[2:3], s[42:43]
	s_cbranch_execz .LBB261_108
.LBB261_130:
	v_sub_u32_e32 v1, v54, v12
	v_lshlrev_b32_e32 v1, 2, v1
	ds_write_b32 v1, v7
	s_or_b64 exec, exec, s[2:3]
	s_and_saveexec_b64 s[2:3], s[40:41]
	s_cbranch_execz .LBB261_109
.LBB261_131:
	v_sub_u32_e32 v1, v52, v12
	v_lshlrev_b32_e32 v1, 2, v1
	ds_write_b32 v1, v8
	s_or_b64 exec, exec, s[2:3]
	s_and_saveexec_b64 s[2:3], s[38:39]
	s_cbranch_execz .LBB261_110
.LBB261_132:
	v_sub_u32_e32 v1, v50, v12
	v_lshlrev_b32_e32 v1, 2, v1
	ds_write_b32 v1, v9
	s_or_b64 exec, exec, s[2:3]
	s_and_saveexec_b64 s[2:3], s[36:37]
	s_cbranch_execz .LBB261_111
.LBB261_133:
	v_sub_u32_e32 v1, v48, v12
	v_lshlrev_b32_e32 v1, 2, v1
	ds_write_b32 v1, v2
	s_or_b64 exec, exec, s[2:3]
	s_and_saveexec_b64 s[2:3], s[34:35]
	s_cbranch_execz .LBB261_112
.LBB261_134:
	v_sub_u32_e32 v1, v46, v12
	v_lshlrev_b32_e32 v1, 2, v1
	ds_write_b32 v1, v3
	s_or_b64 exec, exec, s[2:3]
	s_and_saveexec_b64 s[2:3], s[14:15]
	s_cbranch_execz .LBB261_113
.LBB261_135:
	v_sub_u32_e32 v1, v44, v12
	v_lshlrev_b32_e32 v1, 2, v1
	ds_write_b32 v1, v4
	s_or_b64 exec, exec, s[2:3]
	s_and_saveexec_b64 s[2:3], s[16:17]
	s_cbranch_execz .LBB261_114
.LBB261_136:
	v_sub_u32_e32 v1, v42, v12
	v_lshlrev_b32_e32 v1, 2, v1
	ds_write_b32 v1, v5
	s_or_b64 exec, exec, s[2:3]
	s_and_saveexec_b64 s[2:3], s[18:19]
	s_cbranch_execz .LBB261_115
.LBB261_137:
	v_sub_u32_e32 v1, v14, v12
	v_lshlrev_b32_e32 v1, 2, v1
	ds_write_b32 v1, v20
	s_or_b64 exec, exec, s[2:3]
	s_and_saveexec_b64 s[2:3], s[20:21]
	s_cbranch_execnz .LBB261_116
	s_branch .LBB261_117
	.section	.rodata,"a",@progbits
	.p2align	6, 0x0
	.amdhsa_kernel _ZN7rocprim17ROCPRIM_400000_NS6detail17trampoline_kernelINS0_14default_configENS1_25partition_config_selectorILNS1_17partition_subalgoE6EiNS0_10empty_typeEbEEZZNS1_14partition_implILS5_6ELb0ES3_mPiPS6_SA_NS0_5tupleIJS9_S6_EEENSB_IJSA_SA_EEES6_PlJN6thrust23THRUST_200600_302600_NS6detail9not_fun_tINSH_10functional5actorINSJ_9compositeIJNSJ_27transparent_binary_operatorINSG_8equal_toIvEEEENSK_INSJ_8argumentILj0EEEEENSJ_5valueIiEEEEEEEEEEEE10hipError_tPvRmT3_T4_T5_T6_T7_T9_mT8_P12ihipStream_tbDpT10_ENKUlT_T0_E_clISt17integral_constantIbLb1EES1H_EEDaS1C_S1D_EUlS1C_E_NS1_11comp_targetILNS1_3genE4ELNS1_11target_archE910ELNS1_3gpuE8ELNS1_3repE0EEENS1_30default_config_static_selectorELNS0_4arch9wavefront6targetE1EEEvT1_
		.amdhsa_group_segment_fixed_size 20496
		.amdhsa_private_segment_fixed_size 0
		.amdhsa_kernarg_size 128
		.amdhsa_user_sgpr_count 6
		.amdhsa_user_sgpr_private_segment_buffer 1
		.amdhsa_user_sgpr_dispatch_ptr 0
		.amdhsa_user_sgpr_queue_ptr 0
		.amdhsa_user_sgpr_kernarg_segment_ptr 1
		.amdhsa_user_sgpr_dispatch_id 0
		.amdhsa_user_sgpr_flat_scratch_init 0
		.amdhsa_user_sgpr_kernarg_preload_length 0
		.amdhsa_user_sgpr_kernarg_preload_offset 0
		.amdhsa_user_sgpr_private_segment_size 0
		.amdhsa_uses_dynamic_stack 0
		.amdhsa_system_sgpr_private_segment_wavefront_offset 0
		.amdhsa_system_sgpr_workgroup_id_x 1
		.amdhsa_system_sgpr_workgroup_id_y 0
		.amdhsa_system_sgpr_workgroup_id_z 0
		.amdhsa_system_sgpr_workgroup_info 0
		.amdhsa_system_vgpr_workitem_id 0
		.amdhsa_next_free_vgpr 63
		.amdhsa_next_free_sgpr 56
		.amdhsa_accum_offset 64
		.amdhsa_reserve_vcc 1
		.amdhsa_reserve_flat_scratch 0
		.amdhsa_float_round_mode_32 0
		.amdhsa_float_round_mode_16_64 0
		.amdhsa_float_denorm_mode_32 3
		.amdhsa_float_denorm_mode_16_64 3
		.amdhsa_dx10_clamp 1
		.amdhsa_ieee_mode 1
		.amdhsa_fp16_overflow 0
		.amdhsa_tg_split 0
		.amdhsa_exception_fp_ieee_invalid_op 0
		.amdhsa_exception_fp_denorm_src 0
		.amdhsa_exception_fp_ieee_div_zero 0
		.amdhsa_exception_fp_ieee_overflow 0
		.amdhsa_exception_fp_ieee_underflow 0
		.amdhsa_exception_fp_ieee_inexact 0
		.amdhsa_exception_int_div_zero 0
	.end_amdhsa_kernel
	.section	.text._ZN7rocprim17ROCPRIM_400000_NS6detail17trampoline_kernelINS0_14default_configENS1_25partition_config_selectorILNS1_17partition_subalgoE6EiNS0_10empty_typeEbEEZZNS1_14partition_implILS5_6ELb0ES3_mPiPS6_SA_NS0_5tupleIJS9_S6_EEENSB_IJSA_SA_EEES6_PlJN6thrust23THRUST_200600_302600_NS6detail9not_fun_tINSH_10functional5actorINSJ_9compositeIJNSJ_27transparent_binary_operatorINSG_8equal_toIvEEEENSK_INSJ_8argumentILj0EEEEENSJ_5valueIiEEEEEEEEEEEE10hipError_tPvRmT3_T4_T5_T6_T7_T9_mT8_P12ihipStream_tbDpT10_ENKUlT_T0_E_clISt17integral_constantIbLb1EES1H_EEDaS1C_S1D_EUlS1C_E_NS1_11comp_targetILNS1_3genE4ELNS1_11target_archE910ELNS1_3gpuE8ELNS1_3repE0EEENS1_30default_config_static_selectorELNS0_4arch9wavefront6targetE1EEEvT1_,"axG",@progbits,_ZN7rocprim17ROCPRIM_400000_NS6detail17trampoline_kernelINS0_14default_configENS1_25partition_config_selectorILNS1_17partition_subalgoE6EiNS0_10empty_typeEbEEZZNS1_14partition_implILS5_6ELb0ES3_mPiPS6_SA_NS0_5tupleIJS9_S6_EEENSB_IJSA_SA_EEES6_PlJN6thrust23THRUST_200600_302600_NS6detail9not_fun_tINSH_10functional5actorINSJ_9compositeIJNSJ_27transparent_binary_operatorINSG_8equal_toIvEEEENSK_INSJ_8argumentILj0EEEEENSJ_5valueIiEEEEEEEEEEEE10hipError_tPvRmT3_T4_T5_T6_T7_T9_mT8_P12ihipStream_tbDpT10_ENKUlT_T0_E_clISt17integral_constantIbLb1EES1H_EEDaS1C_S1D_EUlS1C_E_NS1_11comp_targetILNS1_3genE4ELNS1_11target_archE910ELNS1_3gpuE8ELNS1_3repE0EEENS1_30default_config_static_selectorELNS0_4arch9wavefront6targetE1EEEvT1_,comdat
.Lfunc_end261:
	.size	_ZN7rocprim17ROCPRIM_400000_NS6detail17trampoline_kernelINS0_14default_configENS1_25partition_config_selectorILNS1_17partition_subalgoE6EiNS0_10empty_typeEbEEZZNS1_14partition_implILS5_6ELb0ES3_mPiPS6_SA_NS0_5tupleIJS9_S6_EEENSB_IJSA_SA_EEES6_PlJN6thrust23THRUST_200600_302600_NS6detail9not_fun_tINSH_10functional5actorINSJ_9compositeIJNSJ_27transparent_binary_operatorINSG_8equal_toIvEEEENSK_INSJ_8argumentILj0EEEEENSJ_5valueIiEEEEEEEEEEEE10hipError_tPvRmT3_T4_T5_T6_T7_T9_mT8_P12ihipStream_tbDpT10_ENKUlT_T0_E_clISt17integral_constantIbLb1EES1H_EEDaS1C_S1D_EUlS1C_E_NS1_11comp_targetILNS1_3genE4ELNS1_11target_archE910ELNS1_3gpuE8ELNS1_3repE0EEENS1_30default_config_static_selectorELNS0_4arch9wavefront6targetE1EEEvT1_, .Lfunc_end261-_ZN7rocprim17ROCPRIM_400000_NS6detail17trampoline_kernelINS0_14default_configENS1_25partition_config_selectorILNS1_17partition_subalgoE6EiNS0_10empty_typeEbEEZZNS1_14partition_implILS5_6ELb0ES3_mPiPS6_SA_NS0_5tupleIJS9_S6_EEENSB_IJSA_SA_EEES6_PlJN6thrust23THRUST_200600_302600_NS6detail9not_fun_tINSH_10functional5actorINSJ_9compositeIJNSJ_27transparent_binary_operatorINSG_8equal_toIvEEEENSK_INSJ_8argumentILj0EEEEENSJ_5valueIiEEEEEEEEEEEE10hipError_tPvRmT3_T4_T5_T6_T7_T9_mT8_P12ihipStream_tbDpT10_ENKUlT_T0_E_clISt17integral_constantIbLb1EES1H_EEDaS1C_S1D_EUlS1C_E_NS1_11comp_targetILNS1_3genE4ELNS1_11target_archE910ELNS1_3gpuE8ELNS1_3repE0EEENS1_30default_config_static_selectorELNS0_4arch9wavefront6targetE1EEEvT1_
                                        ; -- End function
	.section	.AMDGPU.csdata,"",@progbits
; Kernel info:
; codeLenInByte = 7216
; NumSgprs: 60
; NumVgprs: 63
; NumAgprs: 0
; TotalNumVgprs: 63
; ScratchSize: 0
; MemoryBound: 0
; FloatMode: 240
; IeeeMode: 1
; LDSByteSize: 20496 bytes/workgroup (compile time only)
; SGPRBlocks: 7
; VGPRBlocks: 7
; NumSGPRsForWavesPerEU: 60
; NumVGPRsForWavesPerEU: 63
; AccumOffset: 64
; Occupancy: 6
; WaveLimiterHint : 1
; COMPUTE_PGM_RSRC2:SCRATCH_EN: 0
; COMPUTE_PGM_RSRC2:USER_SGPR: 6
; COMPUTE_PGM_RSRC2:TRAP_HANDLER: 0
; COMPUTE_PGM_RSRC2:TGID_X_EN: 1
; COMPUTE_PGM_RSRC2:TGID_Y_EN: 0
; COMPUTE_PGM_RSRC2:TGID_Z_EN: 0
; COMPUTE_PGM_RSRC2:TIDIG_COMP_CNT: 0
; COMPUTE_PGM_RSRC3_GFX90A:ACCUM_OFFSET: 15
; COMPUTE_PGM_RSRC3_GFX90A:TG_SPLIT: 0
	.section	.text._ZN7rocprim17ROCPRIM_400000_NS6detail17trampoline_kernelINS0_14default_configENS1_25partition_config_selectorILNS1_17partition_subalgoE6EiNS0_10empty_typeEbEEZZNS1_14partition_implILS5_6ELb0ES3_mPiPS6_SA_NS0_5tupleIJS9_S6_EEENSB_IJSA_SA_EEES6_PlJN6thrust23THRUST_200600_302600_NS6detail9not_fun_tINSH_10functional5actorINSJ_9compositeIJNSJ_27transparent_binary_operatorINSG_8equal_toIvEEEENSK_INSJ_8argumentILj0EEEEENSJ_5valueIiEEEEEEEEEEEE10hipError_tPvRmT3_T4_T5_T6_T7_T9_mT8_P12ihipStream_tbDpT10_ENKUlT_T0_E_clISt17integral_constantIbLb1EES1H_EEDaS1C_S1D_EUlS1C_E_NS1_11comp_targetILNS1_3genE3ELNS1_11target_archE908ELNS1_3gpuE7ELNS1_3repE0EEENS1_30default_config_static_selectorELNS0_4arch9wavefront6targetE1EEEvT1_,"axG",@progbits,_ZN7rocprim17ROCPRIM_400000_NS6detail17trampoline_kernelINS0_14default_configENS1_25partition_config_selectorILNS1_17partition_subalgoE6EiNS0_10empty_typeEbEEZZNS1_14partition_implILS5_6ELb0ES3_mPiPS6_SA_NS0_5tupleIJS9_S6_EEENSB_IJSA_SA_EEES6_PlJN6thrust23THRUST_200600_302600_NS6detail9not_fun_tINSH_10functional5actorINSJ_9compositeIJNSJ_27transparent_binary_operatorINSG_8equal_toIvEEEENSK_INSJ_8argumentILj0EEEEENSJ_5valueIiEEEEEEEEEEEE10hipError_tPvRmT3_T4_T5_T6_T7_T9_mT8_P12ihipStream_tbDpT10_ENKUlT_T0_E_clISt17integral_constantIbLb1EES1H_EEDaS1C_S1D_EUlS1C_E_NS1_11comp_targetILNS1_3genE3ELNS1_11target_archE908ELNS1_3gpuE7ELNS1_3repE0EEENS1_30default_config_static_selectorELNS0_4arch9wavefront6targetE1EEEvT1_,comdat
	.protected	_ZN7rocprim17ROCPRIM_400000_NS6detail17trampoline_kernelINS0_14default_configENS1_25partition_config_selectorILNS1_17partition_subalgoE6EiNS0_10empty_typeEbEEZZNS1_14partition_implILS5_6ELb0ES3_mPiPS6_SA_NS0_5tupleIJS9_S6_EEENSB_IJSA_SA_EEES6_PlJN6thrust23THRUST_200600_302600_NS6detail9not_fun_tINSH_10functional5actorINSJ_9compositeIJNSJ_27transparent_binary_operatorINSG_8equal_toIvEEEENSK_INSJ_8argumentILj0EEEEENSJ_5valueIiEEEEEEEEEEEE10hipError_tPvRmT3_T4_T5_T6_T7_T9_mT8_P12ihipStream_tbDpT10_ENKUlT_T0_E_clISt17integral_constantIbLb1EES1H_EEDaS1C_S1D_EUlS1C_E_NS1_11comp_targetILNS1_3genE3ELNS1_11target_archE908ELNS1_3gpuE7ELNS1_3repE0EEENS1_30default_config_static_selectorELNS0_4arch9wavefront6targetE1EEEvT1_ ; -- Begin function _ZN7rocprim17ROCPRIM_400000_NS6detail17trampoline_kernelINS0_14default_configENS1_25partition_config_selectorILNS1_17partition_subalgoE6EiNS0_10empty_typeEbEEZZNS1_14partition_implILS5_6ELb0ES3_mPiPS6_SA_NS0_5tupleIJS9_S6_EEENSB_IJSA_SA_EEES6_PlJN6thrust23THRUST_200600_302600_NS6detail9not_fun_tINSH_10functional5actorINSJ_9compositeIJNSJ_27transparent_binary_operatorINSG_8equal_toIvEEEENSK_INSJ_8argumentILj0EEEEENSJ_5valueIiEEEEEEEEEEEE10hipError_tPvRmT3_T4_T5_T6_T7_T9_mT8_P12ihipStream_tbDpT10_ENKUlT_T0_E_clISt17integral_constantIbLb1EES1H_EEDaS1C_S1D_EUlS1C_E_NS1_11comp_targetILNS1_3genE3ELNS1_11target_archE908ELNS1_3gpuE7ELNS1_3repE0EEENS1_30default_config_static_selectorELNS0_4arch9wavefront6targetE1EEEvT1_
	.globl	_ZN7rocprim17ROCPRIM_400000_NS6detail17trampoline_kernelINS0_14default_configENS1_25partition_config_selectorILNS1_17partition_subalgoE6EiNS0_10empty_typeEbEEZZNS1_14partition_implILS5_6ELb0ES3_mPiPS6_SA_NS0_5tupleIJS9_S6_EEENSB_IJSA_SA_EEES6_PlJN6thrust23THRUST_200600_302600_NS6detail9not_fun_tINSH_10functional5actorINSJ_9compositeIJNSJ_27transparent_binary_operatorINSG_8equal_toIvEEEENSK_INSJ_8argumentILj0EEEEENSJ_5valueIiEEEEEEEEEEEE10hipError_tPvRmT3_T4_T5_T6_T7_T9_mT8_P12ihipStream_tbDpT10_ENKUlT_T0_E_clISt17integral_constantIbLb1EES1H_EEDaS1C_S1D_EUlS1C_E_NS1_11comp_targetILNS1_3genE3ELNS1_11target_archE908ELNS1_3gpuE7ELNS1_3repE0EEENS1_30default_config_static_selectorELNS0_4arch9wavefront6targetE1EEEvT1_
	.p2align	8
	.type	_ZN7rocprim17ROCPRIM_400000_NS6detail17trampoline_kernelINS0_14default_configENS1_25partition_config_selectorILNS1_17partition_subalgoE6EiNS0_10empty_typeEbEEZZNS1_14partition_implILS5_6ELb0ES3_mPiPS6_SA_NS0_5tupleIJS9_S6_EEENSB_IJSA_SA_EEES6_PlJN6thrust23THRUST_200600_302600_NS6detail9not_fun_tINSH_10functional5actorINSJ_9compositeIJNSJ_27transparent_binary_operatorINSG_8equal_toIvEEEENSK_INSJ_8argumentILj0EEEEENSJ_5valueIiEEEEEEEEEEEE10hipError_tPvRmT3_T4_T5_T6_T7_T9_mT8_P12ihipStream_tbDpT10_ENKUlT_T0_E_clISt17integral_constantIbLb1EES1H_EEDaS1C_S1D_EUlS1C_E_NS1_11comp_targetILNS1_3genE3ELNS1_11target_archE908ELNS1_3gpuE7ELNS1_3repE0EEENS1_30default_config_static_selectorELNS0_4arch9wavefront6targetE1EEEvT1_,@function
_ZN7rocprim17ROCPRIM_400000_NS6detail17trampoline_kernelINS0_14default_configENS1_25partition_config_selectorILNS1_17partition_subalgoE6EiNS0_10empty_typeEbEEZZNS1_14partition_implILS5_6ELb0ES3_mPiPS6_SA_NS0_5tupleIJS9_S6_EEENSB_IJSA_SA_EEES6_PlJN6thrust23THRUST_200600_302600_NS6detail9not_fun_tINSH_10functional5actorINSJ_9compositeIJNSJ_27transparent_binary_operatorINSG_8equal_toIvEEEENSK_INSJ_8argumentILj0EEEEENSJ_5valueIiEEEEEEEEEEEE10hipError_tPvRmT3_T4_T5_T6_T7_T9_mT8_P12ihipStream_tbDpT10_ENKUlT_T0_E_clISt17integral_constantIbLb1EES1H_EEDaS1C_S1D_EUlS1C_E_NS1_11comp_targetILNS1_3genE3ELNS1_11target_archE908ELNS1_3gpuE7ELNS1_3repE0EEENS1_30default_config_static_selectorELNS0_4arch9wavefront6targetE1EEEvT1_: ; @_ZN7rocprim17ROCPRIM_400000_NS6detail17trampoline_kernelINS0_14default_configENS1_25partition_config_selectorILNS1_17partition_subalgoE6EiNS0_10empty_typeEbEEZZNS1_14partition_implILS5_6ELb0ES3_mPiPS6_SA_NS0_5tupleIJS9_S6_EEENSB_IJSA_SA_EEES6_PlJN6thrust23THRUST_200600_302600_NS6detail9not_fun_tINSH_10functional5actorINSJ_9compositeIJNSJ_27transparent_binary_operatorINSG_8equal_toIvEEEENSK_INSJ_8argumentILj0EEEEENSJ_5valueIiEEEEEEEEEEEE10hipError_tPvRmT3_T4_T5_T6_T7_T9_mT8_P12ihipStream_tbDpT10_ENKUlT_T0_E_clISt17integral_constantIbLb1EES1H_EEDaS1C_S1D_EUlS1C_E_NS1_11comp_targetILNS1_3genE3ELNS1_11target_archE908ELNS1_3gpuE7ELNS1_3repE0EEENS1_30default_config_static_selectorELNS0_4arch9wavefront6targetE1EEEvT1_
; %bb.0:
	.section	.rodata,"a",@progbits
	.p2align	6, 0x0
	.amdhsa_kernel _ZN7rocprim17ROCPRIM_400000_NS6detail17trampoline_kernelINS0_14default_configENS1_25partition_config_selectorILNS1_17partition_subalgoE6EiNS0_10empty_typeEbEEZZNS1_14partition_implILS5_6ELb0ES3_mPiPS6_SA_NS0_5tupleIJS9_S6_EEENSB_IJSA_SA_EEES6_PlJN6thrust23THRUST_200600_302600_NS6detail9not_fun_tINSH_10functional5actorINSJ_9compositeIJNSJ_27transparent_binary_operatorINSG_8equal_toIvEEEENSK_INSJ_8argumentILj0EEEEENSJ_5valueIiEEEEEEEEEEEE10hipError_tPvRmT3_T4_T5_T6_T7_T9_mT8_P12ihipStream_tbDpT10_ENKUlT_T0_E_clISt17integral_constantIbLb1EES1H_EEDaS1C_S1D_EUlS1C_E_NS1_11comp_targetILNS1_3genE3ELNS1_11target_archE908ELNS1_3gpuE7ELNS1_3repE0EEENS1_30default_config_static_selectorELNS0_4arch9wavefront6targetE1EEEvT1_
		.amdhsa_group_segment_fixed_size 0
		.amdhsa_private_segment_fixed_size 0
		.amdhsa_kernarg_size 128
		.amdhsa_user_sgpr_count 6
		.amdhsa_user_sgpr_private_segment_buffer 1
		.amdhsa_user_sgpr_dispatch_ptr 0
		.amdhsa_user_sgpr_queue_ptr 0
		.amdhsa_user_sgpr_kernarg_segment_ptr 1
		.amdhsa_user_sgpr_dispatch_id 0
		.amdhsa_user_sgpr_flat_scratch_init 0
		.amdhsa_user_sgpr_kernarg_preload_length 0
		.amdhsa_user_sgpr_kernarg_preload_offset 0
		.amdhsa_user_sgpr_private_segment_size 0
		.amdhsa_uses_dynamic_stack 0
		.amdhsa_system_sgpr_private_segment_wavefront_offset 0
		.amdhsa_system_sgpr_workgroup_id_x 1
		.amdhsa_system_sgpr_workgroup_id_y 0
		.amdhsa_system_sgpr_workgroup_id_z 0
		.amdhsa_system_sgpr_workgroup_info 0
		.amdhsa_system_vgpr_workitem_id 0
		.amdhsa_next_free_vgpr 1
		.amdhsa_next_free_sgpr 0
		.amdhsa_accum_offset 4
		.amdhsa_reserve_vcc 0
		.amdhsa_reserve_flat_scratch 0
		.amdhsa_float_round_mode_32 0
		.amdhsa_float_round_mode_16_64 0
		.amdhsa_float_denorm_mode_32 3
		.amdhsa_float_denorm_mode_16_64 3
		.amdhsa_dx10_clamp 1
		.amdhsa_ieee_mode 1
		.amdhsa_fp16_overflow 0
		.amdhsa_tg_split 0
		.amdhsa_exception_fp_ieee_invalid_op 0
		.amdhsa_exception_fp_denorm_src 0
		.amdhsa_exception_fp_ieee_div_zero 0
		.amdhsa_exception_fp_ieee_overflow 0
		.amdhsa_exception_fp_ieee_underflow 0
		.amdhsa_exception_fp_ieee_inexact 0
		.amdhsa_exception_int_div_zero 0
	.end_amdhsa_kernel
	.section	.text._ZN7rocprim17ROCPRIM_400000_NS6detail17trampoline_kernelINS0_14default_configENS1_25partition_config_selectorILNS1_17partition_subalgoE6EiNS0_10empty_typeEbEEZZNS1_14partition_implILS5_6ELb0ES3_mPiPS6_SA_NS0_5tupleIJS9_S6_EEENSB_IJSA_SA_EEES6_PlJN6thrust23THRUST_200600_302600_NS6detail9not_fun_tINSH_10functional5actorINSJ_9compositeIJNSJ_27transparent_binary_operatorINSG_8equal_toIvEEEENSK_INSJ_8argumentILj0EEEEENSJ_5valueIiEEEEEEEEEEEE10hipError_tPvRmT3_T4_T5_T6_T7_T9_mT8_P12ihipStream_tbDpT10_ENKUlT_T0_E_clISt17integral_constantIbLb1EES1H_EEDaS1C_S1D_EUlS1C_E_NS1_11comp_targetILNS1_3genE3ELNS1_11target_archE908ELNS1_3gpuE7ELNS1_3repE0EEENS1_30default_config_static_selectorELNS0_4arch9wavefront6targetE1EEEvT1_,"axG",@progbits,_ZN7rocprim17ROCPRIM_400000_NS6detail17trampoline_kernelINS0_14default_configENS1_25partition_config_selectorILNS1_17partition_subalgoE6EiNS0_10empty_typeEbEEZZNS1_14partition_implILS5_6ELb0ES3_mPiPS6_SA_NS0_5tupleIJS9_S6_EEENSB_IJSA_SA_EEES6_PlJN6thrust23THRUST_200600_302600_NS6detail9not_fun_tINSH_10functional5actorINSJ_9compositeIJNSJ_27transparent_binary_operatorINSG_8equal_toIvEEEENSK_INSJ_8argumentILj0EEEEENSJ_5valueIiEEEEEEEEEEEE10hipError_tPvRmT3_T4_T5_T6_T7_T9_mT8_P12ihipStream_tbDpT10_ENKUlT_T0_E_clISt17integral_constantIbLb1EES1H_EEDaS1C_S1D_EUlS1C_E_NS1_11comp_targetILNS1_3genE3ELNS1_11target_archE908ELNS1_3gpuE7ELNS1_3repE0EEENS1_30default_config_static_selectorELNS0_4arch9wavefront6targetE1EEEvT1_,comdat
.Lfunc_end262:
	.size	_ZN7rocprim17ROCPRIM_400000_NS6detail17trampoline_kernelINS0_14default_configENS1_25partition_config_selectorILNS1_17partition_subalgoE6EiNS0_10empty_typeEbEEZZNS1_14partition_implILS5_6ELb0ES3_mPiPS6_SA_NS0_5tupleIJS9_S6_EEENSB_IJSA_SA_EEES6_PlJN6thrust23THRUST_200600_302600_NS6detail9not_fun_tINSH_10functional5actorINSJ_9compositeIJNSJ_27transparent_binary_operatorINSG_8equal_toIvEEEENSK_INSJ_8argumentILj0EEEEENSJ_5valueIiEEEEEEEEEEEE10hipError_tPvRmT3_T4_T5_T6_T7_T9_mT8_P12ihipStream_tbDpT10_ENKUlT_T0_E_clISt17integral_constantIbLb1EES1H_EEDaS1C_S1D_EUlS1C_E_NS1_11comp_targetILNS1_3genE3ELNS1_11target_archE908ELNS1_3gpuE7ELNS1_3repE0EEENS1_30default_config_static_selectorELNS0_4arch9wavefront6targetE1EEEvT1_, .Lfunc_end262-_ZN7rocprim17ROCPRIM_400000_NS6detail17trampoline_kernelINS0_14default_configENS1_25partition_config_selectorILNS1_17partition_subalgoE6EiNS0_10empty_typeEbEEZZNS1_14partition_implILS5_6ELb0ES3_mPiPS6_SA_NS0_5tupleIJS9_S6_EEENSB_IJSA_SA_EEES6_PlJN6thrust23THRUST_200600_302600_NS6detail9not_fun_tINSH_10functional5actorINSJ_9compositeIJNSJ_27transparent_binary_operatorINSG_8equal_toIvEEEENSK_INSJ_8argumentILj0EEEEENSJ_5valueIiEEEEEEEEEEEE10hipError_tPvRmT3_T4_T5_T6_T7_T9_mT8_P12ihipStream_tbDpT10_ENKUlT_T0_E_clISt17integral_constantIbLb1EES1H_EEDaS1C_S1D_EUlS1C_E_NS1_11comp_targetILNS1_3genE3ELNS1_11target_archE908ELNS1_3gpuE7ELNS1_3repE0EEENS1_30default_config_static_selectorELNS0_4arch9wavefront6targetE1EEEvT1_
                                        ; -- End function
	.section	.AMDGPU.csdata,"",@progbits
; Kernel info:
; codeLenInByte = 0
; NumSgprs: 4
; NumVgprs: 0
; NumAgprs: 0
; TotalNumVgprs: 0
; ScratchSize: 0
; MemoryBound: 0
; FloatMode: 240
; IeeeMode: 1
; LDSByteSize: 0 bytes/workgroup (compile time only)
; SGPRBlocks: 0
; VGPRBlocks: 0
; NumSGPRsForWavesPerEU: 4
; NumVGPRsForWavesPerEU: 1
; AccumOffset: 4
; Occupancy: 8
; WaveLimiterHint : 0
; COMPUTE_PGM_RSRC2:SCRATCH_EN: 0
; COMPUTE_PGM_RSRC2:USER_SGPR: 6
; COMPUTE_PGM_RSRC2:TRAP_HANDLER: 0
; COMPUTE_PGM_RSRC2:TGID_X_EN: 1
; COMPUTE_PGM_RSRC2:TGID_Y_EN: 0
; COMPUTE_PGM_RSRC2:TGID_Z_EN: 0
; COMPUTE_PGM_RSRC2:TIDIG_COMP_CNT: 0
; COMPUTE_PGM_RSRC3_GFX90A:ACCUM_OFFSET: 0
; COMPUTE_PGM_RSRC3_GFX90A:TG_SPLIT: 0
	.section	.text._ZN7rocprim17ROCPRIM_400000_NS6detail17trampoline_kernelINS0_14default_configENS1_25partition_config_selectorILNS1_17partition_subalgoE6EiNS0_10empty_typeEbEEZZNS1_14partition_implILS5_6ELb0ES3_mPiPS6_SA_NS0_5tupleIJS9_S6_EEENSB_IJSA_SA_EEES6_PlJN6thrust23THRUST_200600_302600_NS6detail9not_fun_tINSH_10functional5actorINSJ_9compositeIJNSJ_27transparent_binary_operatorINSG_8equal_toIvEEEENSK_INSJ_8argumentILj0EEEEENSJ_5valueIiEEEEEEEEEEEE10hipError_tPvRmT3_T4_T5_T6_T7_T9_mT8_P12ihipStream_tbDpT10_ENKUlT_T0_E_clISt17integral_constantIbLb1EES1H_EEDaS1C_S1D_EUlS1C_E_NS1_11comp_targetILNS1_3genE2ELNS1_11target_archE906ELNS1_3gpuE6ELNS1_3repE0EEENS1_30default_config_static_selectorELNS0_4arch9wavefront6targetE1EEEvT1_,"axG",@progbits,_ZN7rocprim17ROCPRIM_400000_NS6detail17trampoline_kernelINS0_14default_configENS1_25partition_config_selectorILNS1_17partition_subalgoE6EiNS0_10empty_typeEbEEZZNS1_14partition_implILS5_6ELb0ES3_mPiPS6_SA_NS0_5tupleIJS9_S6_EEENSB_IJSA_SA_EEES6_PlJN6thrust23THRUST_200600_302600_NS6detail9not_fun_tINSH_10functional5actorINSJ_9compositeIJNSJ_27transparent_binary_operatorINSG_8equal_toIvEEEENSK_INSJ_8argumentILj0EEEEENSJ_5valueIiEEEEEEEEEEEE10hipError_tPvRmT3_T4_T5_T6_T7_T9_mT8_P12ihipStream_tbDpT10_ENKUlT_T0_E_clISt17integral_constantIbLb1EES1H_EEDaS1C_S1D_EUlS1C_E_NS1_11comp_targetILNS1_3genE2ELNS1_11target_archE906ELNS1_3gpuE6ELNS1_3repE0EEENS1_30default_config_static_selectorELNS0_4arch9wavefront6targetE1EEEvT1_,comdat
	.protected	_ZN7rocprim17ROCPRIM_400000_NS6detail17trampoline_kernelINS0_14default_configENS1_25partition_config_selectorILNS1_17partition_subalgoE6EiNS0_10empty_typeEbEEZZNS1_14partition_implILS5_6ELb0ES3_mPiPS6_SA_NS0_5tupleIJS9_S6_EEENSB_IJSA_SA_EEES6_PlJN6thrust23THRUST_200600_302600_NS6detail9not_fun_tINSH_10functional5actorINSJ_9compositeIJNSJ_27transparent_binary_operatorINSG_8equal_toIvEEEENSK_INSJ_8argumentILj0EEEEENSJ_5valueIiEEEEEEEEEEEE10hipError_tPvRmT3_T4_T5_T6_T7_T9_mT8_P12ihipStream_tbDpT10_ENKUlT_T0_E_clISt17integral_constantIbLb1EES1H_EEDaS1C_S1D_EUlS1C_E_NS1_11comp_targetILNS1_3genE2ELNS1_11target_archE906ELNS1_3gpuE6ELNS1_3repE0EEENS1_30default_config_static_selectorELNS0_4arch9wavefront6targetE1EEEvT1_ ; -- Begin function _ZN7rocprim17ROCPRIM_400000_NS6detail17trampoline_kernelINS0_14default_configENS1_25partition_config_selectorILNS1_17partition_subalgoE6EiNS0_10empty_typeEbEEZZNS1_14partition_implILS5_6ELb0ES3_mPiPS6_SA_NS0_5tupleIJS9_S6_EEENSB_IJSA_SA_EEES6_PlJN6thrust23THRUST_200600_302600_NS6detail9not_fun_tINSH_10functional5actorINSJ_9compositeIJNSJ_27transparent_binary_operatorINSG_8equal_toIvEEEENSK_INSJ_8argumentILj0EEEEENSJ_5valueIiEEEEEEEEEEEE10hipError_tPvRmT3_T4_T5_T6_T7_T9_mT8_P12ihipStream_tbDpT10_ENKUlT_T0_E_clISt17integral_constantIbLb1EES1H_EEDaS1C_S1D_EUlS1C_E_NS1_11comp_targetILNS1_3genE2ELNS1_11target_archE906ELNS1_3gpuE6ELNS1_3repE0EEENS1_30default_config_static_selectorELNS0_4arch9wavefront6targetE1EEEvT1_
	.globl	_ZN7rocprim17ROCPRIM_400000_NS6detail17trampoline_kernelINS0_14default_configENS1_25partition_config_selectorILNS1_17partition_subalgoE6EiNS0_10empty_typeEbEEZZNS1_14partition_implILS5_6ELb0ES3_mPiPS6_SA_NS0_5tupleIJS9_S6_EEENSB_IJSA_SA_EEES6_PlJN6thrust23THRUST_200600_302600_NS6detail9not_fun_tINSH_10functional5actorINSJ_9compositeIJNSJ_27transparent_binary_operatorINSG_8equal_toIvEEEENSK_INSJ_8argumentILj0EEEEENSJ_5valueIiEEEEEEEEEEEE10hipError_tPvRmT3_T4_T5_T6_T7_T9_mT8_P12ihipStream_tbDpT10_ENKUlT_T0_E_clISt17integral_constantIbLb1EES1H_EEDaS1C_S1D_EUlS1C_E_NS1_11comp_targetILNS1_3genE2ELNS1_11target_archE906ELNS1_3gpuE6ELNS1_3repE0EEENS1_30default_config_static_selectorELNS0_4arch9wavefront6targetE1EEEvT1_
	.p2align	8
	.type	_ZN7rocprim17ROCPRIM_400000_NS6detail17trampoline_kernelINS0_14default_configENS1_25partition_config_selectorILNS1_17partition_subalgoE6EiNS0_10empty_typeEbEEZZNS1_14partition_implILS5_6ELb0ES3_mPiPS6_SA_NS0_5tupleIJS9_S6_EEENSB_IJSA_SA_EEES6_PlJN6thrust23THRUST_200600_302600_NS6detail9not_fun_tINSH_10functional5actorINSJ_9compositeIJNSJ_27transparent_binary_operatorINSG_8equal_toIvEEEENSK_INSJ_8argumentILj0EEEEENSJ_5valueIiEEEEEEEEEEEE10hipError_tPvRmT3_T4_T5_T6_T7_T9_mT8_P12ihipStream_tbDpT10_ENKUlT_T0_E_clISt17integral_constantIbLb1EES1H_EEDaS1C_S1D_EUlS1C_E_NS1_11comp_targetILNS1_3genE2ELNS1_11target_archE906ELNS1_3gpuE6ELNS1_3repE0EEENS1_30default_config_static_selectorELNS0_4arch9wavefront6targetE1EEEvT1_,@function
_ZN7rocprim17ROCPRIM_400000_NS6detail17trampoline_kernelINS0_14default_configENS1_25partition_config_selectorILNS1_17partition_subalgoE6EiNS0_10empty_typeEbEEZZNS1_14partition_implILS5_6ELb0ES3_mPiPS6_SA_NS0_5tupleIJS9_S6_EEENSB_IJSA_SA_EEES6_PlJN6thrust23THRUST_200600_302600_NS6detail9not_fun_tINSH_10functional5actorINSJ_9compositeIJNSJ_27transparent_binary_operatorINSG_8equal_toIvEEEENSK_INSJ_8argumentILj0EEEEENSJ_5valueIiEEEEEEEEEEEE10hipError_tPvRmT3_T4_T5_T6_T7_T9_mT8_P12ihipStream_tbDpT10_ENKUlT_T0_E_clISt17integral_constantIbLb1EES1H_EEDaS1C_S1D_EUlS1C_E_NS1_11comp_targetILNS1_3genE2ELNS1_11target_archE906ELNS1_3gpuE6ELNS1_3repE0EEENS1_30default_config_static_selectorELNS0_4arch9wavefront6targetE1EEEvT1_: ; @_ZN7rocprim17ROCPRIM_400000_NS6detail17trampoline_kernelINS0_14default_configENS1_25partition_config_selectorILNS1_17partition_subalgoE6EiNS0_10empty_typeEbEEZZNS1_14partition_implILS5_6ELb0ES3_mPiPS6_SA_NS0_5tupleIJS9_S6_EEENSB_IJSA_SA_EEES6_PlJN6thrust23THRUST_200600_302600_NS6detail9not_fun_tINSH_10functional5actorINSJ_9compositeIJNSJ_27transparent_binary_operatorINSG_8equal_toIvEEEENSK_INSJ_8argumentILj0EEEEENSJ_5valueIiEEEEEEEEEEEE10hipError_tPvRmT3_T4_T5_T6_T7_T9_mT8_P12ihipStream_tbDpT10_ENKUlT_T0_E_clISt17integral_constantIbLb1EES1H_EEDaS1C_S1D_EUlS1C_E_NS1_11comp_targetILNS1_3genE2ELNS1_11target_archE906ELNS1_3gpuE6ELNS1_3repE0EEENS1_30default_config_static_selectorELNS0_4arch9wavefront6targetE1EEEvT1_
; %bb.0:
	.section	.rodata,"a",@progbits
	.p2align	6, 0x0
	.amdhsa_kernel _ZN7rocprim17ROCPRIM_400000_NS6detail17trampoline_kernelINS0_14default_configENS1_25partition_config_selectorILNS1_17partition_subalgoE6EiNS0_10empty_typeEbEEZZNS1_14partition_implILS5_6ELb0ES3_mPiPS6_SA_NS0_5tupleIJS9_S6_EEENSB_IJSA_SA_EEES6_PlJN6thrust23THRUST_200600_302600_NS6detail9not_fun_tINSH_10functional5actorINSJ_9compositeIJNSJ_27transparent_binary_operatorINSG_8equal_toIvEEEENSK_INSJ_8argumentILj0EEEEENSJ_5valueIiEEEEEEEEEEEE10hipError_tPvRmT3_T4_T5_T6_T7_T9_mT8_P12ihipStream_tbDpT10_ENKUlT_T0_E_clISt17integral_constantIbLb1EES1H_EEDaS1C_S1D_EUlS1C_E_NS1_11comp_targetILNS1_3genE2ELNS1_11target_archE906ELNS1_3gpuE6ELNS1_3repE0EEENS1_30default_config_static_selectorELNS0_4arch9wavefront6targetE1EEEvT1_
		.amdhsa_group_segment_fixed_size 0
		.amdhsa_private_segment_fixed_size 0
		.amdhsa_kernarg_size 128
		.amdhsa_user_sgpr_count 6
		.amdhsa_user_sgpr_private_segment_buffer 1
		.amdhsa_user_sgpr_dispatch_ptr 0
		.amdhsa_user_sgpr_queue_ptr 0
		.amdhsa_user_sgpr_kernarg_segment_ptr 1
		.amdhsa_user_sgpr_dispatch_id 0
		.amdhsa_user_sgpr_flat_scratch_init 0
		.amdhsa_user_sgpr_kernarg_preload_length 0
		.amdhsa_user_sgpr_kernarg_preload_offset 0
		.amdhsa_user_sgpr_private_segment_size 0
		.amdhsa_uses_dynamic_stack 0
		.amdhsa_system_sgpr_private_segment_wavefront_offset 0
		.amdhsa_system_sgpr_workgroup_id_x 1
		.amdhsa_system_sgpr_workgroup_id_y 0
		.amdhsa_system_sgpr_workgroup_id_z 0
		.amdhsa_system_sgpr_workgroup_info 0
		.amdhsa_system_vgpr_workitem_id 0
		.amdhsa_next_free_vgpr 1
		.amdhsa_next_free_sgpr 0
		.amdhsa_accum_offset 4
		.amdhsa_reserve_vcc 0
		.amdhsa_reserve_flat_scratch 0
		.amdhsa_float_round_mode_32 0
		.amdhsa_float_round_mode_16_64 0
		.amdhsa_float_denorm_mode_32 3
		.amdhsa_float_denorm_mode_16_64 3
		.amdhsa_dx10_clamp 1
		.amdhsa_ieee_mode 1
		.amdhsa_fp16_overflow 0
		.amdhsa_tg_split 0
		.amdhsa_exception_fp_ieee_invalid_op 0
		.amdhsa_exception_fp_denorm_src 0
		.amdhsa_exception_fp_ieee_div_zero 0
		.amdhsa_exception_fp_ieee_overflow 0
		.amdhsa_exception_fp_ieee_underflow 0
		.amdhsa_exception_fp_ieee_inexact 0
		.amdhsa_exception_int_div_zero 0
	.end_amdhsa_kernel
	.section	.text._ZN7rocprim17ROCPRIM_400000_NS6detail17trampoline_kernelINS0_14default_configENS1_25partition_config_selectorILNS1_17partition_subalgoE6EiNS0_10empty_typeEbEEZZNS1_14partition_implILS5_6ELb0ES3_mPiPS6_SA_NS0_5tupleIJS9_S6_EEENSB_IJSA_SA_EEES6_PlJN6thrust23THRUST_200600_302600_NS6detail9not_fun_tINSH_10functional5actorINSJ_9compositeIJNSJ_27transparent_binary_operatorINSG_8equal_toIvEEEENSK_INSJ_8argumentILj0EEEEENSJ_5valueIiEEEEEEEEEEEE10hipError_tPvRmT3_T4_T5_T6_T7_T9_mT8_P12ihipStream_tbDpT10_ENKUlT_T0_E_clISt17integral_constantIbLb1EES1H_EEDaS1C_S1D_EUlS1C_E_NS1_11comp_targetILNS1_3genE2ELNS1_11target_archE906ELNS1_3gpuE6ELNS1_3repE0EEENS1_30default_config_static_selectorELNS0_4arch9wavefront6targetE1EEEvT1_,"axG",@progbits,_ZN7rocprim17ROCPRIM_400000_NS6detail17trampoline_kernelINS0_14default_configENS1_25partition_config_selectorILNS1_17partition_subalgoE6EiNS0_10empty_typeEbEEZZNS1_14partition_implILS5_6ELb0ES3_mPiPS6_SA_NS0_5tupleIJS9_S6_EEENSB_IJSA_SA_EEES6_PlJN6thrust23THRUST_200600_302600_NS6detail9not_fun_tINSH_10functional5actorINSJ_9compositeIJNSJ_27transparent_binary_operatorINSG_8equal_toIvEEEENSK_INSJ_8argumentILj0EEEEENSJ_5valueIiEEEEEEEEEEEE10hipError_tPvRmT3_T4_T5_T6_T7_T9_mT8_P12ihipStream_tbDpT10_ENKUlT_T0_E_clISt17integral_constantIbLb1EES1H_EEDaS1C_S1D_EUlS1C_E_NS1_11comp_targetILNS1_3genE2ELNS1_11target_archE906ELNS1_3gpuE6ELNS1_3repE0EEENS1_30default_config_static_selectorELNS0_4arch9wavefront6targetE1EEEvT1_,comdat
.Lfunc_end263:
	.size	_ZN7rocprim17ROCPRIM_400000_NS6detail17trampoline_kernelINS0_14default_configENS1_25partition_config_selectorILNS1_17partition_subalgoE6EiNS0_10empty_typeEbEEZZNS1_14partition_implILS5_6ELb0ES3_mPiPS6_SA_NS0_5tupleIJS9_S6_EEENSB_IJSA_SA_EEES6_PlJN6thrust23THRUST_200600_302600_NS6detail9not_fun_tINSH_10functional5actorINSJ_9compositeIJNSJ_27transparent_binary_operatorINSG_8equal_toIvEEEENSK_INSJ_8argumentILj0EEEEENSJ_5valueIiEEEEEEEEEEEE10hipError_tPvRmT3_T4_T5_T6_T7_T9_mT8_P12ihipStream_tbDpT10_ENKUlT_T0_E_clISt17integral_constantIbLb1EES1H_EEDaS1C_S1D_EUlS1C_E_NS1_11comp_targetILNS1_3genE2ELNS1_11target_archE906ELNS1_3gpuE6ELNS1_3repE0EEENS1_30default_config_static_selectorELNS0_4arch9wavefront6targetE1EEEvT1_, .Lfunc_end263-_ZN7rocprim17ROCPRIM_400000_NS6detail17trampoline_kernelINS0_14default_configENS1_25partition_config_selectorILNS1_17partition_subalgoE6EiNS0_10empty_typeEbEEZZNS1_14partition_implILS5_6ELb0ES3_mPiPS6_SA_NS0_5tupleIJS9_S6_EEENSB_IJSA_SA_EEES6_PlJN6thrust23THRUST_200600_302600_NS6detail9not_fun_tINSH_10functional5actorINSJ_9compositeIJNSJ_27transparent_binary_operatorINSG_8equal_toIvEEEENSK_INSJ_8argumentILj0EEEEENSJ_5valueIiEEEEEEEEEEEE10hipError_tPvRmT3_T4_T5_T6_T7_T9_mT8_P12ihipStream_tbDpT10_ENKUlT_T0_E_clISt17integral_constantIbLb1EES1H_EEDaS1C_S1D_EUlS1C_E_NS1_11comp_targetILNS1_3genE2ELNS1_11target_archE906ELNS1_3gpuE6ELNS1_3repE0EEENS1_30default_config_static_selectorELNS0_4arch9wavefront6targetE1EEEvT1_
                                        ; -- End function
	.section	.AMDGPU.csdata,"",@progbits
; Kernel info:
; codeLenInByte = 0
; NumSgprs: 4
; NumVgprs: 0
; NumAgprs: 0
; TotalNumVgprs: 0
; ScratchSize: 0
; MemoryBound: 0
; FloatMode: 240
; IeeeMode: 1
; LDSByteSize: 0 bytes/workgroup (compile time only)
; SGPRBlocks: 0
; VGPRBlocks: 0
; NumSGPRsForWavesPerEU: 4
; NumVGPRsForWavesPerEU: 1
; AccumOffset: 4
; Occupancy: 8
; WaveLimiterHint : 0
; COMPUTE_PGM_RSRC2:SCRATCH_EN: 0
; COMPUTE_PGM_RSRC2:USER_SGPR: 6
; COMPUTE_PGM_RSRC2:TRAP_HANDLER: 0
; COMPUTE_PGM_RSRC2:TGID_X_EN: 1
; COMPUTE_PGM_RSRC2:TGID_Y_EN: 0
; COMPUTE_PGM_RSRC2:TGID_Z_EN: 0
; COMPUTE_PGM_RSRC2:TIDIG_COMP_CNT: 0
; COMPUTE_PGM_RSRC3_GFX90A:ACCUM_OFFSET: 0
; COMPUTE_PGM_RSRC3_GFX90A:TG_SPLIT: 0
	.section	.text._ZN7rocprim17ROCPRIM_400000_NS6detail17trampoline_kernelINS0_14default_configENS1_25partition_config_selectorILNS1_17partition_subalgoE6EiNS0_10empty_typeEbEEZZNS1_14partition_implILS5_6ELb0ES3_mPiPS6_SA_NS0_5tupleIJS9_S6_EEENSB_IJSA_SA_EEES6_PlJN6thrust23THRUST_200600_302600_NS6detail9not_fun_tINSH_10functional5actorINSJ_9compositeIJNSJ_27transparent_binary_operatorINSG_8equal_toIvEEEENSK_INSJ_8argumentILj0EEEEENSJ_5valueIiEEEEEEEEEEEE10hipError_tPvRmT3_T4_T5_T6_T7_T9_mT8_P12ihipStream_tbDpT10_ENKUlT_T0_E_clISt17integral_constantIbLb1EES1H_EEDaS1C_S1D_EUlS1C_E_NS1_11comp_targetILNS1_3genE10ELNS1_11target_archE1200ELNS1_3gpuE4ELNS1_3repE0EEENS1_30default_config_static_selectorELNS0_4arch9wavefront6targetE1EEEvT1_,"axG",@progbits,_ZN7rocprim17ROCPRIM_400000_NS6detail17trampoline_kernelINS0_14default_configENS1_25partition_config_selectorILNS1_17partition_subalgoE6EiNS0_10empty_typeEbEEZZNS1_14partition_implILS5_6ELb0ES3_mPiPS6_SA_NS0_5tupleIJS9_S6_EEENSB_IJSA_SA_EEES6_PlJN6thrust23THRUST_200600_302600_NS6detail9not_fun_tINSH_10functional5actorINSJ_9compositeIJNSJ_27transparent_binary_operatorINSG_8equal_toIvEEEENSK_INSJ_8argumentILj0EEEEENSJ_5valueIiEEEEEEEEEEEE10hipError_tPvRmT3_T4_T5_T6_T7_T9_mT8_P12ihipStream_tbDpT10_ENKUlT_T0_E_clISt17integral_constantIbLb1EES1H_EEDaS1C_S1D_EUlS1C_E_NS1_11comp_targetILNS1_3genE10ELNS1_11target_archE1200ELNS1_3gpuE4ELNS1_3repE0EEENS1_30default_config_static_selectorELNS0_4arch9wavefront6targetE1EEEvT1_,comdat
	.protected	_ZN7rocprim17ROCPRIM_400000_NS6detail17trampoline_kernelINS0_14default_configENS1_25partition_config_selectorILNS1_17partition_subalgoE6EiNS0_10empty_typeEbEEZZNS1_14partition_implILS5_6ELb0ES3_mPiPS6_SA_NS0_5tupleIJS9_S6_EEENSB_IJSA_SA_EEES6_PlJN6thrust23THRUST_200600_302600_NS6detail9not_fun_tINSH_10functional5actorINSJ_9compositeIJNSJ_27transparent_binary_operatorINSG_8equal_toIvEEEENSK_INSJ_8argumentILj0EEEEENSJ_5valueIiEEEEEEEEEEEE10hipError_tPvRmT3_T4_T5_T6_T7_T9_mT8_P12ihipStream_tbDpT10_ENKUlT_T0_E_clISt17integral_constantIbLb1EES1H_EEDaS1C_S1D_EUlS1C_E_NS1_11comp_targetILNS1_3genE10ELNS1_11target_archE1200ELNS1_3gpuE4ELNS1_3repE0EEENS1_30default_config_static_selectorELNS0_4arch9wavefront6targetE1EEEvT1_ ; -- Begin function _ZN7rocprim17ROCPRIM_400000_NS6detail17trampoline_kernelINS0_14default_configENS1_25partition_config_selectorILNS1_17partition_subalgoE6EiNS0_10empty_typeEbEEZZNS1_14partition_implILS5_6ELb0ES3_mPiPS6_SA_NS0_5tupleIJS9_S6_EEENSB_IJSA_SA_EEES6_PlJN6thrust23THRUST_200600_302600_NS6detail9not_fun_tINSH_10functional5actorINSJ_9compositeIJNSJ_27transparent_binary_operatorINSG_8equal_toIvEEEENSK_INSJ_8argumentILj0EEEEENSJ_5valueIiEEEEEEEEEEEE10hipError_tPvRmT3_T4_T5_T6_T7_T9_mT8_P12ihipStream_tbDpT10_ENKUlT_T0_E_clISt17integral_constantIbLb1EES1H_EEDaS1C_S1D_EUlS1C_E_NS1_11comp_targetILNS1_3genE10ELNS1_11target_archE1200ELNS1_3gpuE4ELNS1_3repE0EEENS1_30default_config_static_selectorELNS0_4arch9wavefront6targetE1EEEvT1_
	.globl	_ZN7rocprim17ROCPRIM_400000_NS6detail17trampoline_kernelINS0_14default_configENS1_25partition_config_selectorILNS1_17partition_subalgoE6EiNS0_10empty_typeEbEEZZNS1_14partition_implILS5_6ELb0ES3_mPiPS6_SA_NS0_5tupleIJS9_S6_EEENSB_IJSA_SA_EEES6_PlJN6thrust23THRUST_200600_302600_NS6detail9not_fun_tINSH_10functional5actorINSJ_9compositeIJNSJ_27transparent_binary_operatorINSG_8equal_toIvEEEENSK_INSJ_8argumentILj0EEEEENSJ_5valueIiEEEEEEEEEEEE10hipError_tPvRmT3_T4_T5_T6_T7_T9_mT8_P12ihipStream_tbDpT10_ENKUlT_T0_E_clISt17integral_constantIbLb1EES1H_EEDaS1C_S1D_EUlS1C_E_NS1_11comp_targetILNS1_3genE10ELNS1_11target_archE1200ELNS1_3gpuE4ELNS1_3repE0EEENS1_30default_config_static_selectorELNS0_4arch9wavefront6targetE1EEEvT1_
	.p2align	8
	.type	_ZN7rocprim17ROCPRIM_400000_NS6detail17trampoline_kernelINS0_14default_configENS1_25partition_config_selectorILNS1_17partition_subalgoE6EiNS0_10empty_typeEbEEZZNS1_14partition_implILS5_6ELb0ES3_mPiPS6_SA_NS0_5tupleIJS9_S6_EEENSB_IJSA_SA_EEES6_PlJN6thrust23THRUST_200600_302600_NS6detail9not_fun_tINSH_10functional5actorINSJ_9compositeIJNSJ_27transparent_binary_operatorINSG_8equal_toIvEEEENSK_INSJ_8argumentILj0EEEEENSJ_5valueIiEEEEEEEEEEEE10hipError_tPvRmT3_T4_T5_T6_T7_T9_mT8_P12ihipStream_tbDpT10_ENKUlT_T0_E_clISt17integral_constantIbLb1EES1H_EEDaS1C_S1D_EUlS1C_E_NS1_11comp_targetILNS1_3genE10ELNS1_11target_archE1200ELNS1_3gpuE4ELNS1_3repE0EEENS1_30default_config_static_selectorELNS0_4arch9wavefront6targetE1EEEvT1_,@function
_ZN7rocprim17ROCPRIM_400000_NS6detail17trampoline_kernelINS0_14default_configENS1_25partition_config_selectorILNS1_17partition_subalgoE6EiNS0_10empty_typeEbEEZZNS1_14partition_implILS5_6ELb0ES3_mPiPS6_SA_NS0_5tupleIJS9_S6_EEENSB_IJSA_SA_EEES6_PlJN6thrust23THRUST_200600_302600_NS6detail9not_fun_tINSH_10functional5actorINSJ_9compositeIJNSJ_27transparent_binary_operatorINSG_8equal_toIvEEEENSK_INSJ_8argumentILj0EEEEENSJ_5valueIiEEEEEEEEEEEE10hipError_tPvRmT3_T4_T5_T6_T7_T9_mT8_P12ihipStream_tbDpT10_ENKUlT_T0_E_clISt17integral_constantIbLb1EES1H_EEDaS1C_S1D_EUlS1C_E_NS1_11comp_targetILNS1_3genE10ELNS1_11target_archE1200ELNS1_3gpuE4ELNS1_3repE0EEENS1_30default_config_static_selectorELNS0_4arch9wavefront6targetE1EEEvT1_: ; @_ZN7rocprim17ROCPRIM_400000_NS6detail17trampoline_kernelINS0_14default_configENS1_25partition_config_selectorILNS1_17partition_subalgoE6EiNS0_10empty_typeEbEEZZNS1_14partition_implILS5_6ELb0ES3_mPiPS6_SA_NS0_5tupleIJS9_S6_EEENSB_IJSA_SA_EEES6_PlJN6thrust23THRUST_200600_302600_NS6detail9not_fun_tINSH_10functional5actorINSJ_9compositeIJNSJ_27transparent_binary_operatorINSG_8equal_toIvEEEENSK_INSJ_8argumentILj0EEEEENSJ_5valueIiEEEEEEEEEEEE10hipError_tPvRmT3_T4_T5_T6_T7_T9_mT8_P12ihipStream_tbDpT10_ENKUlT_T0_E_clISt17integral_constantIbLb1EES1H_EEDaS1C_S1D_EUlS1C_E_NS1_11comp_targetILNS1_3genE10ELNS1_11target_archE1200ELNS1_3gpuE4ELNS1_3repE0EEENS1_30default_config_static_selectorELNS0_4arch9wavefront6targetE1EEEvT1_
; %bb.0:
	.section	.rodata,"a",@progbits
	.p2align	6, 0x0
	.amdhsa_kernel _ZN7rocprim17ROCPRIM_400000_NS6detail17trampoline_kernelINS0_14default_configENS1_25partition_config_selectorILNS1_17partition_subalgoE6EiNS0_10empty_typeEbEEZZNS1_14partition_implILS5_6ELb0ES3_mPiPS6_SA_NS0_5tupleIJS9_S6_EEENSB_IJSA_SA_EEES6_PlJN6thrust23THRUST_200600_302600_NS6detail9not_fun_tINSH_10functional5actorINSJ_9compositeIJNSJ_27transparent_binary_operatorINSG_8equal_toIvEEEENSK_INSJ_8argumentILj0EEEEENSJ_5valueIiEEEEEEEEEEEE10hipError_tPvRmT3_T4_T5_T6_T7_T9_mT8_P12ihipStream_tbDpT10_ENKUlT_T0_E_clISt17integral_constantIbLb1EES1H_EEDaS1C_S1D_EUlS1C_E_NS1_11comp_targetILNS1_3genE10ELNS1_11target_archE1200ELNS1_3gpuE4ELNS1_3repE0EEENS1_30default_config_static_selectorELNS0_4arch9wavefront6targetE1EEEvT1_
		.amdhsa_group_segment_fixed_size 0
		.amdhsa_private_segment_fixed_size 0
		.amdhsa_kernarg_size 128
		.amdhsa_user_sgpr_count 6
		.amdhsa_user_sgpr_private_segment_buffer 1
		.amdhsa_user_sgpr_dispatch_ptr 0
		.amdhsa_user_sgpr_queue_ptr 0
		.amdhsa_user_sgpr_kernarg_segment_ptr 1
		.amdhsa_user_sgpr_dispatch_id 0
		.amdhsa_user_sgpr_flat_scratch_init 0
		.amdhsa_user_sgpr_kernarg_preload_length 0
		.amdhsa_user_sgpr_kernarg_preload_offset 0
		.amdhsa_user_sgpr_private_segment_size 0
		.amdhsa_uses_dynamic_stack 0
		.amdhsa_system_sgpr_private_segment_wavefront_offset 0
		.amdhsa_system_sgpr_workgroup_id_x 1
		.amdhsa_system_sgpr_workgroup_id_y 0
		.amdhsa_system_sgpr_workgroup_id_z 0
		.amdhsa_system_sgpr_workgroup_info 0
		.amdhsa_system_vgpr_workitem_id 0
		.amdhsa_next_free_vgpr 1
		.amdhsa_next_free_sgpr 0
		.amdhsa_accum_offset 4
		.amdhsa_reserve_vcc 0
		.amdhsa_reserve_flat_scratch 0
		.amdhsa_float_round_mode_32 0
		.amdhsa_float_round_mode_16_64 0
		.amdhsa_float_denorm_mode_32 3
		.amdhsa_float_denorm_mode_16_64 3
		.amdhsa_dx10_clamp 1
		.amdhsa_ieee_mode 1
		.amdhsa_fp16_overflow 0
		.amdhsa_tg_split 0
		.amdhsa_exception_fp_ieee_invalid_op 0
		.amdhsa_exception_fp_denorm_src 0
		.amdhsa_exception_fp_ieee_div_zero 0
		.amdhsa_exception_fp_ieee_overflow 0
		.amdhsa_exception_fp_ieee_underflow 0
		.amdhsa_exception_fp_ieee_inexact 0
		.amdhsa_exception_int_div_zero 0
	.end_amdhsa_kernel
	.section	.text._ZN7rocprim17ROCPRIM_400000_NS6detail17trampoline_kernelINS0_14default_configENS1_25partition_config_selectorILNS1_17partition_subalgoE6EiNS0_10empty_typeEbEEZZNS1_14partition_implILS5_6ELb0ES3_mPiPS6_SA_NS0_5tupleIJS9_S6_EEENSB_IJSA_SA_EEES6_PlJN6thrust23THRUST_200600_302600_NS6detail9not_fun_tINSH_10functional5actorINSJ_9compositeIJNSJ_27transparent_binary_operatorINSG_8equal_toIvEEEENSK_INSJ_8argumentILj0EEEEENSJ_5valueIiEEEEEEEEEEEE10hipError_tPvRmT3_T4_T5_T6_T7_T9_mT8_P12ihipStream_tbDpT10_ENKUlT_T0_E_clISt17integral_constantIbLb1EES1H_EEDaS1C_S1D_EUlS1C_E_NS1_11comp_targetILNS1_3genE10ELNS1_11target_archE1200ELNS1_3gpuE4ELNS1_3repE0EEENS1_30default_config_static_selectorELNS0_4arch9wavefront6targetE1EEEvT1_,"axG",@progbits,_ZN7rocprim17ROCPRIM_400000_NS6detail17trampoline_kernelINS0_14default_configENS1_25partition_config_selectorILNS1_17partition_subalgoE6EiNS0_10empty_typeEbEEZZNS1_14partition_implILS5_6ELb0ES3_mPiPS6_SA_NS0_5tupleIJS9_S6_EEENSB_IJSA_SA_EEES6_PlJN6thrust23THRUST_200600_302600_NS6detail9not_fun_tINSH_10functional5actorINSJ_9compositeIJNSJ_27transparent_binary_operatorINSG_8equal_toIvEEEENSK_INSJ_8argumentILj0EEEEENSJ_5valueIiEEEEEEEEEEEE10hipError_tPvRmT3_T4_T5_T6_T7_T9_mT8_P12ihipStream_tbDpT10_ENKUlT_T0_E_clISt17integral_constantIbLb1EES1H_EEDaS1C_S1D_EUlS1C_E_NS1_11comp_targetILNS1_3genE10ELNS1_11target_archE1200ELNS1_3gpuE4ELNS1_3repE0EEENS1_30default_config_static_selectorELNS0_4arch9wavefront6targetE1EEEvT1_,comdat
.Lfunc_end264:
	.size	_ZN7rocprim17ROCPRIM_400000_NS6detail17trampoline_kernelINS0_14default_configENS1_25partition_config_selectorILNS1_17partition_subalgoE6EiNS0_10empty_typeEbEEZZNS1_14partition_implILS5_6ELb0ES3_mPiPS6_SA_NS0_5tupleIJS9_S6_EEENSB_IJSA_SA_EEES6_PlJN6thrust23THRUST_200600_302600_NS6detail9not_fun_tINSH_10functional5actorINSJ_9compositeIJNSJ_27transparent_binary_operatorINSG_8equal_toIvEEEENSK_INSJ_8argumentILj0EEEEENSJ_5valueIiEEEEEEEEEEEE10hipError_tPvRmT3_T4_T5_T6_T7_T9_mT8_P12ihipStream_tbDpT10_ENKUlT_T0_E_clISt17integral_constantIbLb1EES1H_EEDaS1C_S1D_EUlS1C_E_NS1_11comp_targetILNS1_3genE10ELNS1_11target_archE1200ELNS1_3gpuE4ELNS1_3repE0EEENS1_30default_config_static_selectorELNS0_4arch9wavefront6targetE1EEEvT1_, .Lfunc_end264-_ZN7rocprim17ROCPRIM_400000_NS6detail17trampoline_kernelINS0_14default_configENS1_25partition_config_selectorILNS1_17partition_subalgoE6EiNS0_10empty_typeEbEEZZNS1_14partition_implILS5_6ELb0ES3_mPiPS6_SA_NS0_5tupleIJS9_S6_EEENSB_IJSA_SA_EEES6_PlJN6thrust23THRUST_200600_302600_NS6detail9not_fun_tINSH_10functional5actorINSJ_9compositeIJNSJ_27transparent_binary_operatorINSG_8equal_toIvEEEENSK_INSJ_8argumentILj0EEEEENSJ_5valueIiEEEEEEEEEEEE10hipError_tPvRmT3_T4_T5_T6_T7_T9_mT8_P12ihipStream_tbDpT10_ENKUlT_T0_E_clISt17integral_constantIbLb1EES1H_EEDaS1C_S1D_EUlS1C_E_NS1_11comp_targetILNS1_3genE10ELNS1_11target_archE1200ELNS1_3gpuE4ELNS1_3repE0EEENS1_30default_config_static_selectorELNS0_4arch9wavefront6targetE1EEEvT1_
                                        ; -- End function
	.section	.AMDGPU.csdata,"",@progbits
; Kernel info:
; codeLenInByte = 0
; NumSgprs: 4
; NumVgprs: 0
; NumAgprs: 0
; TotalNumVgprs: 0
; ScratchSize: 0
; MemoryBound: 0
; FloatMode: 240
; IeeeMode: 1
; LDSByteSize: 0 bytes/workgroup (compile time only)
; SGPRBlocks: 0
; VGPRBlocks: 0
; NumSGPRsForWavesPerEU: 4
; NumVGPRsForWavesPerEU: 1
; AccumOffset: 4
; Occupancy: 8
; WaveLimiterHint : 0
; COMPUTE_PGM_RSRC2:SCRATCH_EN: 0
; COMPUTE_PGM_RSRC2:USER_SGPR: 6
; COMPUTE_PGM_RSRC2:TRAP_HANDLER: 0
; COMPUTE_PGM_RSRC2:TGID_X_EN: 1
; COMPUTE_PGM_RSRC2:TGID_Y_EN: 0
; COMPUTE_PGM_RSRC2:TGID_Z_EN: 0
; COMPUTE_PGM_RSRC2:TIDIG_COMP_CNT: 0
; COMPUTE_PGM_RSRC3_GFX90A:ACCUM_OFFSET: 0
; COMPUTE_PGM_RSRC3_GFX90A:TG_SPLIT: 0
	.section	.text._ZN7rocprim17ROCPRIM_400000_NS6detail17trampoline_kernelINS0_14default_configENS1_25partition_config_selectorILNS1_17partition_subalgoE6EiNS0_10empty_typeEbEEZZNS1_14partition_implILS5_6ELb0ES3_mPiPS6_SA_NS0_5tupleIJS9_S6_EEENSB_IJSA_SA_EEES6_PlJN6thrust23THRUST_200600_302600_NS6detail9not_fun_tINSH_10functional5actorINSJ_9compositeIJNSJ_27transparent_binary_operatorINSG_8equal_toIvEEEENSK_INSJ_8argumentILj0EEEEENSJ_5valueIiEEEEEEEEEEEE10hipError_tPvRmT3_T4_T5_T6_T7_T9_mT8_P12ihipStream_tbDpT10_ENKUlT_T0_E_clISt17integral_constantIbLb1EES1H_EEDaS1C_S1D_EUlS1C_E_NS1_11comp_targetILNS1_3genE9ELNS1_11target_archE1100ELNS1_3gpuE3ELNS1_3repE0EEENS1_30default_config_static_selectorELNS0_4arch9wavefront6targetE1EEEvT1_,"axG",@progbits,_ZN7rocprim17ROCPRIM_400000_NS6detail17trampoline_kernelINS0_14default_configENS1_25partition_config_selectorILNS1_17partition_subalgoE6EiNS0_10empty_typeEbEEZZNS1_14partition_implILS5_6ELb0ES3_mPiPS6_SA_NS0_5tupleIJS9_S6_EEENSB_IJSA_SA_EEES6_PlJN6thrust23THRUST_200600_302600_NS6detail9not_fun_tINSH_10functional5actorINSJ_9compositeIJNSJ_27transparent_binary_operatorINSG_8equal_toIvEEEENSK_INSJ_8argumentILj0EEEEENSJ_5valueIiEEEEEEEEEEEE10hipError_tPvRmT3_T4_T5_T6_T7_T9_mT8_P12ihipStream_tbDpT10_ENKUlT_T0_E_clISt17integral_constantIbLb1EES1H_EEDaS1C_S1D_EUlS1C_E_NS1_11comp_targetILNS1_3genE9ELNS1_11target_archE1100ELNS1_3gpuE3ELNS1_3repE0EEENS1_30default_config_static_selectorELNS0_4arch9wavefront6targetE1EEEvT1_,comdat
	.protected	_ZN7rocprim17ROCPRIM_400000_NS6detail17trampoline_kernelINS0_14default_configENS1_25partition_config_selectorILNS1_17partition_subalgoE6EiNS0_10empty_typeEbEEZZNS1_14partition_implILS5_6ELb0ES3_mPiPS6_SA_NS0_5tupleIJS9_S6_EEENSB_IJSA_SA_EEES6_PlJN6thrust23THRUST_200600_302600_NS6detail9not_fun_tINSH_10functional5actorINSJ_9compositeIJNSJ_27transparent_binary_operatorINSG_8equal_toIvEEEENSK_INSJ_8argumentILj0EEEEENSJ_5valueIiEEEEEEEEEEEE10hipError_tPvRmT3_T4_T5_T6_T7_T9_mT8_P12ihipStream_tbDpT10_ENKUlT_T0_E_clISt17integral_constantIbLb1EES1H_EEDaS1C_S1D_EUlS1C_E_NS1_11comp_targetILNS1_3genE9ELNS1_11target_archE1100ELNS1_3gpuE3ELNS1_3repE0EEENS1_30default_config_static_selectorELNS0_4arch9wavefront6targetE1EEEvT1_ ; -- Begin function _ZN7rocprim17ROCPRIM_400000_NS6detail17trampoline_kernelINS0_14default_configENS1_25partition_config_selectorILNS1_17partition_subalgoE6EiNS0_10empty_typeEbEEZZNS1_14partition_implILS5_6ELb0ES3_mPiPS6_SA_NS0_5tupleIJS9_S6_EEENSB_IJSA_SA_EEES6_PlJN6thrust23THRUST_200600_302600_NS6detail9not_fun_tINSH_10functional5actorINSJ_9compositeIJNSJ_27transparent_binary_operatorINSG_8equal_toIvEEEENSK_INSJ_8argumentILj0EEEEENSJ_5valueIiEEEEEEEEEEEE10hipError_tPvRmT3_T4_T5_T6_T7_T9_mT8_P12ihipStream_tbDpT10_ENKUlT_T0_E_clISt17integral_constantIbLb1EES1H_EEDaS1C_S1D_EUlS1C_E_NS1_11comp_targetILNS1_3genE9ELNS1_11target_archE1100ELNS1_3gpuE3ELNS1_3repE0EEENS1_30default_config_static_selectorELNS0_4arch9wavefront6targetE1EEEvT1_
	.globl	_ZN7rocprim17ROCPRIM_400000_NS6detail17trampoline_kernelINS0_14default_configENS1_25partition_config_selectorILNS1_17partition_subalgoE6EiNS0_10empty_typeEbEEZZNS1_14partition_implILS5_6ELb0ES3_mPiPS6_SA_NS0_5tupleIJS9_S6_EEENSB_IJSA_SA_EEES6_PlJN6thrust23THRUST_200600_302600_NS6detail9not_fun_tINSH_10functional5actorINSJ_9compositeIJNSJ_27transparent_binary_operatorINSG_8equal_toIvEEEENSK_INSJ_8argumentILj0EEEEENSJ_5valueIiEEEEEEEEEEEE10hipError_tPvRmT3_T4_T5_T6_T7_T9_mT8_P12ihipStream_tbDpT10_ENKUlT_T0_E_clISt17integral_constantIbLb1EES1H_EEDaS1C_S1D_EUlS1C_E_NS1_11comp_targetILNS1_3genE9ELNS1_11target_archE1100ELNS1_3gpuE3ELNS1_3repE0EEENS1_30default_config_static_selectorELNS0_4arch9wavefront6targetE1EEEvT1_
	.p2align	8
	.type	_ZN7rocprim17ROCPRIM_400000_NS6detail17trampoline_kernelINS0_14default_configENS1_25partition_config_selectorILNS1_17partition_subalgoE6EiNS0_10empty_typeEbEEZZNS1_14partition_implILS5_6ELb0ES3_mPiPS6_SA_NS0_5tupleIJS9_S6_EEENSB_IJSA_SA_EEES6_PlJN6thrust23THRUST_200600_302600_NS6detail9not_fun_tINSH_10functional5actorINSJ_9compositeIJNSJ_27transparent_binary_operatorINSG_8equal_toIvEEEENSK_INSJ_8argumentILj0EEEEENSJ_5valueIiEEEEEEEEEEEE10hipError_tPvRmT3_T4_T5_T6_T7_T9_mT8_P12ihipStream_tbDpT10_ENKUlT_T0_E_clISt17integral_constantIbLb1EES1H_EEDaS1C_S1D_EUlS1C_E_NS1_11comp_targetILNS1_3genE9ELNS1_11target_archE1100ELNS1_3gpuE3ELNS1_3repE0EEENS1_30default_config_static_selectorELNS0_4arch9wavefront6targetE1EEEvT1_,@function
_ZN7rocprim17ROCPRIM_400000_NS6detail17trampoline_kernelINS0_14default_configENS1_25partition_config_selectorILNS1_17partition_subalgoE6EiNS0_10empty_typeEbEEZZNS1_14partition_implILS5_6ELb0ES3_mPiPS6_SA_NS0_5tupleIJS9_S6_EEENSB_IJSA_SA_EEES6_PlJN6thrust23THRUST_200600_302600_NS6detail9not_fun_tINSH_10functional5actorINSJ_9compositeIJNSJ_27transparent_binary_operatorINSG_8equal_toIvEEEENSK_INSJ_8argumentILj0EEEEENSJ_5valueIiEEEEEEEEEEEE10hipError_tPvRmT3_T4_T5_T6_T7_T9_mT8_P12ihipStream_tbDpT10_ENKUlT_T0_E_clISt17integral_constantIbLb1EES1H_EEDaS1C_S1D_EUlS1C_E_NS1_11comp_targetILNS1_3genE9ELNS1_11target_archE1100ELNS1_3gpuE3ELNS1_3repE0EEENS1_30default_config_static_selectorELNS0_4arch9wavefront6targetE1EEEvT1_: ; @_ZN7rocprim17ROCPRIM_400000_NS6detail17trampoline_kernelINS0_14default_configENS1_25partition_config_selectorILNS1_17partition_subalgoE6EiNS0_10empty_typeEbEEZZNS1_14partition_implILS5_6ELb0ES3_mPiPS6_SA_NS0_5tupleIJS9_S6_EEENSB_IJSA_SA_EEES6_PlJN6thrust23THRUST_200600_302600_NS6detail9not_fun_tINSH_10functional5actorINSJ_9compositeIJNSJ_27transparent_binary_operatorINSG_8equal_toIvEEEENSK_INSJ_8argumentILj0EEEEENSJ_5valueIiEEEEEEEEEEEE10hipError_tPvRmT3_T4_T5_T6_T7_T9_mT8_P12ihipStream_tbDpT10_ENKUlT_T0_E_clISt17integral_constantIbLb1EES1H_EEDaS1C_S1D_EUlS1C_E_NS1_11comp_targetILNS1_3genE9ELNS1_11target_archE1100ELNS1_3gpuE3ELNS1_3repE0EEENS1_30default_config_static_selectorELNS0_4arch9wavefront6targetE1EEEvT1_
; %bb.0:
	.section	.rodata,"a",@progbits
	.p2align	6, 0x0
	.amdhsa_kernel _ZN7rocprim17ROCPRIM_400000_NS6detail17trampoline_kernelINS0_14default_configENS1_25partition_config_selectorILNS1_17partition_subalgoE6EiNS0_10empty_typeEbEEZZNS1_14partition_implILS5_6ELb0ES3_mPiPS6_SA_NS0_5tupleIJS9_S6_EEENSB_IJSA_SA_EEES6_PlJN6thrust23THRUST_200600_302600_NS6detail9not_fun_tINSH_10functional5actorINSJ_9compositeIJNSJ_27transparent_binary_operatorINSG_8equal_toIvEEEENSK_INSJ_8argumentILj0EEEEENSJ_5valueIiEEEEEEEEEEEE10hipError_tPvRmT3_T4_T5_T6_T7_T9_mT8_P12ihipStream_tbDpT10_ENKUlT_T0_E_clISt17integral_constantIbLb1EES1H_EEDaS1C_S1D_EUlS1C_E_NS1_11comp_targetILNS1_3genE9ELNS1_11target_archE1100ELNS1_3gpuE3ELNS1_3repE0EEENS1_30default_config_static_selectorELNS0_4arch9wavefront6targetE1EEEvT1_
		.amdhsa_group_segment_fixed_size 0
		.amdhsa_private_segment_fixed_size 0
		.amdhsa_kernarg_size 128
		.amdhsa_user_sgpr_count 6
		.amdhsa_user_sgpr_private_segment_buffer 1
		.amdhsa_user_sgpr_dispatch_ptr 0
		.amdhsa_user_sgpr_queue_ptr 0
		.amdhsa_user_sgpr_kernarg_segment_ptr 1
		.amdhsa_user_sgpr_dispatch_id 0
		.amdhsa_user_sgpr_flat_scratch_init 0
		.amdhsa_user_sgpr_kernarg_preload_length 0
		.amdhsa_user_sgpr_kernarg_preload_offset 0
		.amdhsa_user_sgpr_private_segment_size 0
		.amdhsa_uses_dynamic_stack 0
		.amdhsa_system_sgpr_private_segment_wavefront_offset 0
		.amdhsa_system_sgpr_workgroup_id_x 1
		.amdhsa_system_sgpr_workgroup_id_y 0
		.amdhsa_system_sgpr_workgroup_id_z 0
		.amdhsa_system_sgpr_workgroup_info 0
		.amdhsa_system_vgpr_workitem_id 0
		.amdhsa_next_free_vgpr 1
		.amdhsa_next_free_sgpr 0
		.amdhsa_accum_offset 4
		.amdhsa_reserve_vcc 0
		.amdhsa_reserve_flat_scratch 0
		.amdhsa_float_round_mode_32 0
		.amdhsa_float_round_mode_16_64 0
		.amdhsa_float_denorm_mode_32 3
		.amdhsa_float_denorm_mode_16_64 3
		.amdhsa_dx10_clamp 1
		.amdhsa_ieee_mode 1
		.amdhsa_fp16_overflow 0
		.amdhsa_tg_split 0
		.amdhsa_exception_fp_ieee_invalid_op 0
		.amdhsa_exception_fp_denorm_src 0
		.amdhsa_exception_fp_ieee_div_zero 0
		.amdhsa_exception_fp_ieee_overflow 0
		.amdhsa_exception_fp_ieee_underflow 0
		.amdhsa_exception_fp_ieee_inexact 0
		.amdhsa_exception_int_div_zero 0
	.end_amdhsa_kernel
	.section	.text._ZN7rocprim17ROCPRIM_400000_NS6detail17trampoline_kernelINS0_14default_configENS1_25partition_config_selectorILNS1_17partition_subalgoE6EiNS0_10empty_typeEbEEZZNS1_14partition_implILS5_6ELb0ES3_mPiPS6_SA_NS0_5tupleIJS9_S6_EEENSB_IJSA_SA_EEES6_PlJN6thrust23THRUST_200600_302600_NS6detail9not_fun_tINSH_10functional5actorINSJ_9compositeIJNSJ_27transparent_binary_operatorINSG_8equal_toIvEEEENSK_INSJ_8argumentILj0EEEEENSJ_5valueIiEEEEEEEEEEEE10hipError_tPvRmT3_T4_T5_T6_T7_T9_mT8_P12ihipStream_tbDpT10_ENKUlT_T0_E_clISt17integral_constantIbLb1EES1H_EEDaS1C_S1D_EUlS1C_E_NS1_11comp_targetILNS1_3genE9ELNS1_11target_archE1100ELNS1_3gpuE3ELNS1_3repE0EEENS1_30default_config_static_selectorELNS0_4arch9wavefront6targetE1EEEvT1_,"axG",@progbits,_ZN7rocprim17ROCPRIM_400000_NS6detail17trampoline_kernelINS0_14default_configENS1_25partition_config_selectorILNS1_17partition_subalgoE6EiNS0_10empty_typeEbEEZZNS1_14partition_implILS5_6ELb0ES3_mPiPS6_SA_NS0_5tupleIJS9_S6_EEENSB_IJSA_SA_EEES6_PlJN6thrust23THRUST_200600_302600_NS6detail9not_fun_tINSH_10functional5actorINSJ_9compositeIJNSJ_27transparent_binary_operatorINSG_8equal_toIvEEEENSK_INSJ_8argumentILj0EEEEENSJ_5valueIiEEEEEEEEEEEE10hipError_tPvRmT3_T4_T5_T6_T7_T9_mT8_P12ihipStream_tbDpT10_ENKUlT_T0_E_clISt17integral_constantIbLb1EES1H_EEDaS1C_S1D_EUlS1C_E_NS1_11comp_targetILNS1_3genE9ELNS1_11target_archE1100ELNS1_3gpuE3ELNS1_3repE0EEENS1_30default_config_static_selectorELNS0_4arch9wavefront6targetE1EEEvT1_,comdat
.Lfunc_end265:
	.size	_ZN7rocprim17ROCPRIM_400000_NS6detail17trampoline_kernelINS0_14default_configENS1_25partition_config_selectorILNS1_17partition_subalgoE6EiNS0_10empty_typeEbEEZZNS1_14partition_implILS5_6ELb0ES3_mPiPS6_SA_NS0_5tupleIJS9_S6_EEENSB_IJSA_SA_EEES6_PlJN6thrust23THRUST_200600_302600_NS6detail9not_fun_tINSH_10functional5actorINSJ_9compositeIJNSJ_27transparent_binary_operatorINSG_8equal_toIvEEEENSK_INSJ_8argumentILj0EEEEENSJ_5valueIiEEEEEEEEEEEE10hipError_tPvRmT3_T4_T5_T6_T7_T9_mT8_P12ihipStream_tbDpT10_ENKUlT_T0_E_clISt17integral_constantIbLb1EES1H_EEDaS1C_S1D_EUlS1C_E_NS1_11comp_targetILNS1_3genE9ELNS1_11target_archE1100ELNS1_3gpuE3ELNS1_3repE0EEENS1_30default_config_static_selectorELNS0_4arch9wavefront6targetE1EEEvT1_, .Lfunc_end265-_ZN7rocprim17ROCPRIM_400000_NS6detail17trampoline_kernelINS0_14default_configENS1_25partition_config_selectorILNS1_17partition_subalgoE6EiNS0_10empty_typeEbEEZZNS1_14partition_implILS5_6ELb0ES3_mPiPS6_SA_NS0_5tupleIJS9_S6_EEENSB_IJSA_SA_EEES6_PlJN6thrust23THRUST_200600_302600_NS6detail9not_fun_tINSH_10functional5actorINSJ_9compositeIJNSJ_27transparent_binary_operatorINSG_8equal_toIvEEEENSK_INSJ_8argumentILj0EEEEENSJ_5valueIiEEEEEEEEEEEE10hipError_tPvRmT3_T4_T5_T6_T7_T9_mT8_P12ihipStream_tbDpT10_ENKUlT_T0_E_clISt17integral_constantIbLb1EES1H_EEDaS1C_S1D_EUlS1C_E_NS1_11comp_targetILNS1_3genE9ELNS1_11target_archE1100ELNS1_3gpuE3ELNS1_3repE0EEENS1_30default_config_static_selectorELNS0_4arch9wavefront6targetE1EEEvT1_
                                        ; -- End function
	.section	.AMDGPU.csdata,"",@progbits
; Kernel info:
; codeLenInByte = 0
; NumSgprs: 4
; NumVgprs: 0
; NumAgprs: 0
; TotalNumVgprs: 0
; ScratchSize: 0
; MemoryBound: 0
; FloatMode: 240
; IeeeMode: 1
; LDSByteSize: 0 bytes/workgroup (compile time only)
; SGPRBlocks: 0
; VGPRBlocks: 0
; NumSGPRsForWavesPerEU: 4
; NumVGPRsForWavesPerEU: 1
; AccumOffset: 4
; Occupancy: 8
; WaveLimiterHint : 0
; COMPUTE_PGM_RSRC2:SCRATCH_EN: 0
; COMPUTE_PGM_RSRC2:USER_SGPR: 6
; COMPUTE_PGM_RSRC2:TRAP_HANDLER: 0
; COMPUTE_PGM_RSRC2:TGID_X_EN: 1
; COMPUTE_PGM_RSRC2:TGID_Y_EN: 0
; COMPUTE_PGM_RSRC2:TGID_Z_EN: 0
; COMPUTE_PGM_RSRC2:TIDIG_COMP_CNT: 0
; COMPUTE_PGM_RSRC3_GFX90A:ACCUM_OFFSET: 0
; COMPUTE_PGM_RSRC3_GFX90A:TG_SPLIT: 0
	.section	.text._ZN7rocprim17ROCPRIM_400000_NS6detail17trampoline_kernelINS0_14default_configENS1_25partition_config_selectorILNS1_17partition_subalgoE6EiNS0_10empty_typeEbEEZZNS1_14partition_implILS5_6ELb0ES3_mPiPS6_SA_NS0_5tupleIJS9_S6_EEENSB_IJSA_SA_EEES6_PlJN6thrust23THRUST_200600_302600_NS6detail9not_fun_tINSH_10functional5actorINSJ_9compositeIJNSJ_27transparent_binary_operatorINSG_8equal_toIvEEEENSK_INSJ_8argumentILj0EEEEENSJ_5valueIiEEEEEEEEEEEE10hipError_tPvRmT3_T4_T5_T6_T7_T9_mT8_P12ihipStream_tbDpT10_ENKUlT_T0_E_clISt17integral_constantIbLb1EES1H_EEDaS1C_S1D_EUlS1C_E_NS1_11comp_targetILNS1_3genE8ELNS1_11target_archE1030ELNS1_3gpuE2ELNS1_3repE0EEENS1_30default_config_static_selectorELNS0_4arch9wavefront6targetE1EEEvT1_,"axG",@progbits,_ZN7rocprim17ROCPRIM_400000_NS6detail17trampoline_kernelINS0_14default_configENS1_25partition_config_selectorILNS1_17partition_subalgoE6EiNS0_10empty_typeEbEEZZNS1_14partition_implILS5_6ELb0ES3_mPiPS6_SA_NS0_5tupleIJS9_S6_EEENSB_IJSA_SA_EEES6_PlJN6thrust23THRUST_200600_302600_NS6detail9not_fun_tINSH_10functional5actorINSJ_9compositeIJNSJ_27transparent_binary_operatorINSG_8equal_toIvEEEENSK_INSJ_8argumentILj0EEEEENSJ_5valueIiEEEEEEEEEEEE10hipError_tPvRmT3_T4_T5_T6_T7_T9_mT8_P12ihipStream_tbDpT10_ENKUlT_T0_E_clISt17integral_constantIbLb1EES1H_EEDaS1C_S1D_EUlS1C_E_NS1_11comp_targetILNS1_3genE8ELNS1_11target_archE1030ELNS1_3gpuE2ELNS1_3repE0EEENS1_30default_config_static_selectorELNS0_4arch9wavefront6targetE1EEEvT1_,comdat
	.protected	_ZN7rocprim17ROCPRIM_400000_NS6detail17trampoline_kernelINS0_14default_configENS1_25partition_config_selectorILNS1_17partition_subalgoE6EiNS0_10empty_typeEbEEZZNS1_14partition_implILS5_6ELb0ES3_mPiPS6_SA_NS0_5tupleIJS9_S6_EEENSB_IJSA_SA_EEES6_PlJN6thrust23THRUST_200600_302600_NS6detail9not_fun_tINSH_10functional5actorINSJ_9compositeIJNSJ_27transparent_binary_operatorINSG_8equal_toIvEEEENSK_INSJ_8argumentILj0EEEEENSJ_5valueIiEEEEEEEEEEEE10hipError_tPvRmT3_T4_T5_T6_T7_T9_mT8_P12ihipStream_tbDpT10_ENKUlT_T0_E_clISt17integral_constantIbLb1EES1H_EEDaS1C_S1D_EUlS1C_E_NS1_11comp_targetILNS1_3genE8ELNS1_11target_archE1030ELNS1_3gpuE2ELNS1_3repE0EEENS1_30default_config_static_selectorELNS0_4arch9wavefront6targetE1EEEvT1_ ; -- Begin function _ZN7rocprim17ROCPRIM_400000_NS6detail17trampoline_kernelINS0_14default_configENS1_25partition_config_selectorILNS1_17partition_subalgoE6EiNS0_10empty_typeEbEEZZNS1_14partition_implILS5_6ELb0ES3_mPiPS6_SA_NS0_5tupleIJS9_S6_EEENSB_IJSA_SA_EEES6_PlJN6thrust23THRUST_200600_302600_NS6detail9not_fun_tINSH_10functional5actorINSJ_9compositeIJNSJ_27transparent_binary_operatorINSG_8equal_toIvEEEENSK_INSJ_8argumentILj0EEEEENSJ_5valueIiEEEEEEEEEEEE10hipError_tPvRmT3_T4_T5_T6_T7_T9_mT8_P12ihipStream_tbDpT10_ENKUlT_T0_E_clISt17integral_constantIbLb1EES1H_EEDaS1C_S1D_EUlS1C_E_NS1_11comp_targetILNS1_3genE8ELNS1_11target_archE1030ELNS1_3gpuE2ELNS1_3repE0EEENS1_30default_config_static_selectorELNS0_4arch9wavefront6targetE1EEEvT1_
	.globl	_ZN7rocprim17ROCPRIM_400000_NS6detail17trampoline_kernelINS0_14default_configENS1_25partition_config_selectorILNS1_17partition_subalgoE6EiNS0_10empty_typeEbEEZZNS1_14partition_implILS5_6ELb0ES3_mPiPS6_SA_NS0_5tupleIJS9_S6_EEENSB_IJSA_SA_EEES6_PlJN6thrust23THRUST_200600_302600_NS6detail9not_fun_tINSH_10functional5actorINSJ_9compositeIJNSJ_27transparent_binary_operatorINSG_8equal_toIvEEEENSK_INSJ_8argumentILj0EEEEENSJ_5valueIiEEEEEEEEEEEE10hipError_tPvRmT3_T4_T5_T6_T7_T9_mT8_P12ihipStream_tbDpT10_ENKUlT_T0_E_clISt17integral_constantIbLb1EES1H_EEDaS1C_S1D_EUlS1C_E_NS1_11comp_targetILNS1_3genE8ELNS1_11target_archE1030ELNS1_3gpuE2ELNS1_3repE0EEENS1_30default_config_static_selectorELNS0_4arch9wavefront6targetE1EEEvT1_
	.p2align	8
	.type	_ZN7rocprim17ROCPRIM_400000_NS6detail17trampoline_kernelINS0_14default_configENS1_25partition_config_selectorILNS1_17partition_subalgoE6EiNS0_10empty_typeEbEEZZNS1_14partition_implILS5_6ELb0ES3_mPiPS6_SA_NS0_5tupleIJS9_S6_EEENSB_IJSA_SA_EEES6_PlJN6thrust23THRUST_200600_302600_NS6detail9not_fun_tINSH_10functional5actorINSJ_9compositeIJNSJ_27transparent_binary_operatorINSG_8equal_toIvEEEENSK_INSJ_8argumentILj0EEEEENSJ_5valueIiEEEEEEEEEEEE10hipError_tPvRmT3_T4_T5_T6_T7_T9_mT8_P12ihipStream_tbDpT10_ENKUlT_T0_E_clISt17integral_constantIbLb1EES1H_EEDaS1C_S1D_EUlS1C_E_NS1_11comp_targetILNS1_3genE8ELNS1_11target_archE1030ELNS1_3gpuE2ELNS1_3repE0EEENS1_30default_config_static_selectorELNS0_4arch9wavefront6targetE1EEEvT1_,@function
_ZN7rocprim17ROCPRIM_400000_NS6detail17trampoline_kernelINS0_14default_configENS1_25partition_config_selectorILNS1_17partition_subalgoE6EiNS0_10empty_typeEbEEZZNS1_14partition_implILS5_6ELb0ES3_mPiPS6_SA_NS0_5tupleIJS9_S6_EEENSB_IJSA_SA_EEES6_PlJN6thrust23THRUST_200600_302600_NS6detail9not_fun_tINSH_10functional5actorINSJ_9compositeIJNSJ_27transparent_binary_operatorINSG_8equal_toIvEEEENSK_INSJ_8argumentILj0EEEEENSJ_5valueIiEEEEEEEEEEEE10hipError_tPvRmT3_T4_T5_T6_T7_T9_mT8_P12ihipStream_tbDpT10_ENKUlT_T0_E_clISt17integral_constantIbLb1EES1H_EEDaS1C_S1D_EUlS1C_E_NS1_11comp_targetILNS1_3genE8ELNS1_11target_archE1030ELNS1_3gpuE2ELNS1_3repE0EEENS1_30default_config_static_selectorELNS0_4arch9wavefront6targetE1EEEvT1_: ; @_ZN7rocprim17ROCPRIM_400000_NS6detail17trampoline_kernelINS0_14default_configENS1_25partition_config_selectorILNS1_17partition_subalgoE6EiNS0_10empty_typeEbEEZZNS1_14partition_implILS5_6ELb0ES3_mPiPS6_SA_NS0_5tupleIJS9_S6_EEENSB_IJSA_SA_EEES6_PlJN6thrust23THRUST_200600_302600_NS6detail9not_fun_tINSH_10functional5actorINSJ_9compositeIJNSJ_27transparent_binary_operatorINSG_8equal_toIvEEEENSK_INSJ_8argumentILj0EEEEENSJ_5valueIiEEEEEEEEEEEE10hipError_tPvRmT3_T4_T5_T6_T7_T9_mT8_P12ihipStream_tbDpT10_ENKUlT_T0_E_clISt17integral_constantIbLb1EES1H_EEDaS1C_S1D_EUlS1C_E_NS1_11comp_targetILNS1_3genE8ELNS1_11target_archE1030ELNS1_3gpuE2ELNS1_3repE0EEENS1_30default_config_static_selectorELNS0_4arch9wavefront6targetE1EEEvT1_
; %bb.0:
	.section	.rodata,"a",@progbits
	.p2align	6, 0x0
	.amdhsa_kernel _ZN7rocprim17ROCPRIM_400000_NS6detail17trampoline_kernelINS0_14default_configENS1_25partition_config_selectorILNS1_17partition_subalgoE6EiNS0_10empty_typeEbEEZZNS1_14partition_implILS5_6ELb0ES3_mPiPS6_SA_NS0_5tupleIJS9_S6_EEENSB_IJSA_SA_EEES6_PlJN6thrust23THRUST_200600_302600_NS6detail9not_fun_tINSH_10functional5actorINSJ_9compositeIJNSJ_27transparent_binary_operatorINSG_8equal_toIvEEEENSK_INSJ_8argumentILj0EEEEENSJ_5valueIiEEEEEEEEEEEE10hipError_tPvRmT3_T4_T5_T6_T7_T9_mT8_P12ihipStream_tbDpT10_ENKUlT_T0_E_clISt17integral_constantIbLb1EES1H_EEDaS1C_S1D_EUlS1C_E_NS1_11comp_targetILNS1_3genE8ELNS1_11target_archE1030ELNS1_3gpuE2ELNS1_3repE0EEENS1_30default_config_static_selectorELNS0_4arch9wavefront6targetE1EEEvT1_
		.amdhsa_group_segment_fixed_size 0
		.amdhsa_private_segment_fixed_size 0
		.amdhsa_kernarg_size 128
		.amdhsa_user_sgpr_count 6
		.amdhsa_user_sgpr_private_segment_buffer 1
		.amdhsa_user_sgpr_dispatch_ptr 0
		.amdhsa_user_sgpr_queue_ptr 0
		.amdhsa_user_sgpr_kernarg_segment_ptr 1
		.amdhsa_user_sgpr_dispatch_id 0
		.amdhsa_user_sgpr_flat_scratch_init 0
		.amdhsa_user_sgpr_kernarg_preload_length 0
		.amdhsa_user_sgpr_kernarg_preload_offset 0
		.amdhsa_user_sgpr_private_segment_size 0
		.amdhsa_uses_dynamic_stack 0
		.amdhsa_system_sgpr_private_segment_wavefront_offset 0
		.amdhsa_system_sgpr_workgroup_id_x 1
		.amdhsa_system_sgpr_workgroup_id_y 0
		.amdhsa_system_sgpr_workgroup_id_z 0
		.amdhsa_system_sgpr_workgroup_info 0
		.amdhsa_system_vgpr_workitem_id 0
		.amdhsa_next_free_vgpr 1
		.amdhsa_next_free_sgpr 0
		.amdhsa_accum_offset 4
		.amdhsa_reserve_vcc 0
		.amdhsa_reserve_flat_scratch 0
		.amdhsa_float_round_mode_32 0
		.amdhsa_float_round_mode_16_64 0
		.amdhsa_float_denorm_mode_32 3
		.amdhsa_float_denorm_mode_16_64 3
		.amdhsa_dx10_clamp 1
		.amdhsa_ieee_mode 1
		.amdhsa_fp16_overflow 0
		.amdhsa_tg_split 0
		.amdhsa_exception_fp_ieee_invalid_op 0
		.amdhsa_exception_fp_denorm_src 0
		.amdhsa_exception_fp_ieee_div_zero 0
		.amdhsa_exception_fp_ieee_overflow 0
		.amdhsa_exception_fp_ieee_underflow 0
		.amdhsa_exception_fp_ieee_inexact 0
		.amdhsa_exception_int_div_zero 0
	.end_amdhsa_kernel
	.section	.text._ZN7rocprim17ROCPRIM_400000_NS6detail17trampoline_kernelINS0_14default_configENS1_25partition_config_selectorILNS1_17partition_subalgoE6EiNS0_10empty_typeEbEEZZNS1_14partition_implILS5_6ELb0ES3_mPiPS6_SA_NS0_5tupleIJS9_S6_EEENSB_IJSA_SA_EEES6_PlJN6thrust23THRUST_200600_302600_NS6detail9not_fun_tINSH_10functional5actorINSJ_9compositeIJNSJ_27transparent_binary_operatorINSG_8equal_toIvEEEENSK_INSJ_8argumentILj0EEEEENSJ_5valueIiEEEEEEEEEEEE10hipError_tPvRmT3_T4_T5_T6_T7_T9_mT8_P12ihipStream_tbDpT10_ENKUlT_T0_E_clISt17integral_constantIbLb1EES1H_EEDaS1C_S1D_EUlS1C_E_NS1_11comp_targetILNS1_3genE8ELNS1_11target_archE1030ELNS1_3gpuE2ELNS1_3repE0EEENS1_30default_config_static_selectorELNS0_4arch9wavefront6targetE1EEEvT1_,"axG",@progbits,_ZN7rocprim17ROCPRIM_400000_NS6detail17trampoline_kernelINS0_14default_configENS1_25partition_config_selectorILNS1_17partition_subalgoE6EiNS0_10empty_typeEbEEZZNS1_14partition_implILS5_6ELb0ES3_mPiPS6_SA_NS0_5tupleIJS9_S6_EEENSB_IJSA_SA_EEES6_PlJN6thrust23THRUST_200600_302600_NS6detail9not_fun_tINSH_10functional5actorINSJ_9compositeIJNSJ_27transparent_binary_operatorINSG_8equal_toIvEEEENSK_INSJ_8argumentILj0EEEEENSJ_5valueIiEEEEEEEEEEEE10hipError_tPvRmT3_T4_T5_T6_T7_T9_mT8_P12ihipStream_tbDpT10_ENKUlT_T0_E_clISt17integral_constantIbLb1EES1H_EEDaS1C_S1D_EUlS1C_E_NS1_11comp_targetILNS1_3genE8ELNS1_11target_archE1030ELNS1_3gpuE2ELNS1_3repE0EEENS1_30default_config_static_selectorELNS0_4arch9wavefront6targetE1EEEvT1_,comdat
.Lfunc_end266:
	.size	_ZN7rocprim17ROCPRIM_400000_NS6detail17trampoline_kernelINS0_14default_configENS1_25partition_config_selectorILNS1_17partition_subalgoE6EiNS0_10empty_typeEbEEZZNS1_14partition_implILS5_6ELb0ES3_mPiPS6_SA_NS0_5tupleIJS9_S6_EEENSB_IJSA_SA_EEES6_PlJN6thrust23THRUST_200600_302600_NS6detail9not_fun_tINSH_10functional5actorINSJ_9compositeIJNSJ_27transparent_binary_operatorINSG_8equal_toIvEEEENSK_INSJ_8argumentILj0EEEEENSJ_5valueIiEEEEEEEEEEEE10hipError_tPvRmT3_T4_T5_T6_T7_T9_mT8_P12ihipStream_tbDpT10_ENKUlT_T0_E_clISt17integral_constantIbLb1EES1H_EEDaS1C_S1D_EUlS1C_E_NS1_11comp_targetILNS1_3genE8ELNS1_11target_archE1030ELNS1_3gpuE2ELNS1_3repE0EEENS1_30default_config_static_selectorELNS0_4arch9wavefront6targetE1EEEvT1_, .Lfunc_end266-_ZN7rocprim17ROCPRIM_400000_NS6detail17trampoline_kernelINS0_14default_configENS1_25partition_config_selectorILNS1_17partition_subalgoE6EiNS0_10empty_typeEbEEZZNS1_14partition_implILS5_6ELb0ES3_mPiPS6_SA_NS0_5tupleIJS9_S6_EEENSB_IJSA_SA_EEES6_PlJN6thrust23THRUST_200600_302600_NS6detail9not_fun_tINSH_10functional5actorINSJ_9compositeIJNSJ_27transparent_binary_operatorINSG_8equal_toIvEEEENSK_INSJ_8argumentILj0EEEEENSJ_5valueIiEEEEEEEEEEEE10hipError_tPvRmT3_T4_T5_T6_T7_T9_mT8_P12ihipStream_tbDpT10_ENKUlT_T0_E_clISt17integral_constantIbLb1EES1H_EEDaS1C_S1D_EUlS1C_E_NS1_11comp_targetILNS1_3genE8ELNS1_11target_archE1030ELNS1_3gpuE2ELNS1_3repE0EEENS1_30default_config_static_selectorELNS0_4arch9wavefront6targetE1EEEvT1_
                                        ; -- End function
	.section	.AMDGPU.csdata,"",@progbits
; Kernel info:
; codeLenInByte = 0
; NumSgprs: 4
; NumVgprs: 0
; NumAgprs: 0
; TotalNumVgprs: 0
; ScratchSize: 0
; MemoryBound: 0
; FloatMode: 240
; IeeeMode: 1
; LDSByteSize: 0 bytes/workgroup (compile time only)
; SGPRBlocks: 0
; VGPRBlocks: 0
; NumSGPRsForWavesPerEU: 4
; NumVGPRsForWavesPerEU: 1
; AccumOffset: 4
; Occupancy: 8
; WaveLimiterHint : 0
; COMPUTE_PGM_RSRC2:SCRATCH_EN: 0
; COMPUTE_PGM_RSRC2:USER_SGPR: 6
; COMPUTE_PGM_RSRC2:TRAP_HANDLER: 0
; COMPUTE_PGM_RSRC2:TGID_X_EN: 1
; COMPUTE_PGM_RSRC2:TGID_Y_EN: 0
; COMPUTE_PGM_RSRC2:TGID_Z_EN: 0
; COMPUTE_PGM_RSRC2:TIDIG_COMP_CNT: 0
; COMPUTE_PGM_RSRC3_GFX90A:ACCUM_OFFSET: 0
; COMPUTE_PGM_RSRC3_GFX90A:TG_SPLIT: 0
	.section	.text._ZN7rocprim17ROCPRIM_400000_NS6detail17trampoline_kernelINS0_14default_configENS1_25partition_config_selectorILNS1_17partition_subalgoE6EiNS0_10empty_typeEbEEZZNS1_14partition_implILS5_6ELb0ES3_mPiPS6_SA_NS0_5tupleIJS9_S6_EEENSB_IJSA_SA_EEES6_PlJN6thrust23THRUST_200600_302600_NS6detail9not_fun_tINSH_10functional5actorINSJ_9compositeIJNSJ_27transparent_binary_operatorINSG_8equal_toIvEEEENSK_INSJ_8argumentILj0EEEEENSJ_5valueIiEEEEEEEEEEEE10hipError_tPvRmT3_T4_T5_T6_T7_T9_mT8_P12ihipStream_tbDpT10_ENKUlT_T0_E_clISt17integral_constantIbLb1EES1G_IbLb0EEEEDaS1C_S1D_EUlS1C_E_NS1_11comp_targetILNS1_3genE0ELNS1_11target_archE4294967295ELNS1_3gpuE0ELNS1_3repE0EEENS1_30default_config_static_selectorELNS0_4arch9wavefront6targetE1EEEvT1_,"axG",@progbits,_ZN7rocprim17ROCPRIM_400000_NS6detail17trampoline_kernelINS0_14default_configENS1_25partition_config_selectorILNS1_17partition_subalgoE6EiNS0_10empty_typeEbEEZZNS1_14partition_implILS5_6ELb0ES3_mPiPS6_SA_NS0_5tupleIJS9_S6_EEENSB_IJSA_SA_EEES6_PlJN6thrust23THRUST_200600_302600_NS6detail9not_fun_tINSH_10functional5actorINSJ_9compositeIJNSJ_27transparent_binary_operatorINSG_8equal_toIvEEEENSK_INSJ_8argumentILj0EEEEENSJ_5valueIiEEEEEEEEEEEE10hipError_tPvRmT3_T4_T5_T6_T7_T9_mT8_P12ihipStream_tbDpT10_ENKUlT_T0_E_clISt17integral_constantIbLb1EES1G_IbLb0EEEEDaS1C_S1D_EUlS1C_E_NS1_11comp_targetILNS1_3genE0ELNS1_11target_archE4294967295ELNS1_3gpuE0ELNS1_3repE0EEENS1_30default_config_static_selectorELNS0_4arch9wavefront6targetE1EEEvT1_,comdat
	.protected	_ZN7rocprim17ROCPRIM_400000_NS6detail17trampoline_kernelINS0_14default_configENS1_25partition_config_selectorILNS1_17partition_subalgoE6EiNS0_10empty_typeEbEEZZNS1_14partition_implILS5_6ELb0ES3_mPiPS6_SA_NS0_5tupleIJS9_S6_EEENSB_IJSA_SA_EEES6_PlJN6thrust23THRUST_200600_302600_NS6detail9not_fun_tINSH_10functional5actorINSJ_9compositeIJNSJ_27transparent_binary_operatorINSG_8equal_toIvEEEENSK_INSJ_8argumentILj0EEEEENSJ_5valueIiEEEEEEEEEEEE10hipError_tPvRmT3_T4_T5_T6_T7_T9_mT8_P12ihipStream_tbDpT10_ENKUlT_T0_E_clISt17integral_constantIbLb1EES1G_IbLb0EEEEDaS1C_S1D_EUlS1C_E_NS1_11comp_targetILNS1_3genE0ELNS1_11target_archE4294967295ELNS1_3gpuE0ELNS1_3repE0EEENS1_30default_config_static_selectorELNS0_4arch9wavefront6targetE1EEEvT1_ ; -- Begin function _ZN7rocprim17ROCPRIM_400000_NS6detail17trampoline_kernelINS0_14default_configENS1_25partition_config_selectorILNS1_17partition_subalgoE6EiNS0_10empty_typeEbEEZZNS1_14partition_implILS5_6ELb0ES3_mPiPS6_SA_NS0_5tupleIJS9_S6_EEENSB_IJSA_SA_EEES6_PlJN6thrust23THRUST_200600_302600_NS6detail9not_fun_tINSH_10functional5actorINSJ_9compositeIJNSJ_27transparent_binary_operatorINSG_8equal_toIvEEEENSK_INSJ_8argumentILj0EEEEENSJ_5valueIiEEEEEEEEEEEE10hipError_tPvRmT3_T4_T5_T6_T7_T9_mT8_P12ihipStream_tbDpT10_ENKUlT_T0_E_clISt17integral_constantIbLb1EES1G_IbLb0EEEEDaS1C_S1D_EUlS1C_E_NS1_11comp_targetILNS1_3genE0ELNS1_11target_archE4294967295ELNS1_3gpuE0ELNS1_3repE0EEENS1_30default_config_static_selectorELNS0_4arch9wavefront6targetE1EEEvT1_
	.globl	_ZN7rocprim17ROCPRIM_400000_NS6detail17trampoline_kernelINS0_14default_configENS1_25partition_config_selectorILNS1_17partition_subalgoE6EiNS0_10empty_typeEbEEZZNS1_14partition_implILS5_6ELb0ES3_mPiPS6_SA_NS0_5tupleIJS9_S6_EEENSB_IJSA_SA_EEES6_PlJN6thrust23THRUST_200600_302600_NS6detail9not_fun_tINSH_10functional5actorINSJ_9compositeIJNSJ_27transparent_binary_operatorINSG_8equal_toIvEEEENSK_INSJ_8argumentILj0EEEEENSJ_5valueIiEEEEEEEEEEEE10hipError_tPvRmT3_T4_T5_T6_T7_T9_mT8_P12ihipStream_tbDpT10_ENKUlT_T0_E_clISt17integral_constantIbLb1EES1G_IbLb0EEEEDaS1C_S1D_EUlS1C_E_NS1_11comp_targetILNS1_3genE0ELNS1_11target_archE4294967295ELNS1_3gpuE0ELNS1_3repE0EEENS1_30default_config_static_selectorELNS0_4arch9wavefront6targetE1EEEvT1_
	.p2align	8
	.type	_ZN7rocprim17ROCPRIM_400000_NS6detail17trampoline_kernelINS0_14default_configENS1_25partition_config_selectorILNS1_17partition_subalgoE6EiNS0_10empty_typeEbEEZZNS1_14partition_implILS5_6ELb0ES3_mPiPS6_SA_NS0_5tupleIJS9_S6_EEENSB_IJSA_SA_EEES6_PlJN6thrust23THRUST_200600_302600_NS6detail9not_fun_tINSH_10functional5actorINSJ_9compositeIJNSJ_27transparent_binary_operatorINSG_8equal_toIvEEEENSK_INSJ_8argumentILj0EEEEENSJ_5valueIiEEEEEEEEEEEE10hipError_tPvRmT3_T4_T5_T6_T7_T9_mT8_P12ihipStream_tbDpT10_ENKUlT_T0_E_clISt17integral_constantIbLb1EES1G_IbLb0EEEEDaS1C_S1D_EUlS1C_E_NS1_11comp_targetILNS1_3genE0ELNS1_11target_archE4294967295ELNS1_3gpuE0ELNS1_3repE0EEENS1_30default_config_static_selectorELNS0_4arch9wavefront6targetE1EEEvT1_,@function
_ZN7rocprim17ROCPRIM_400000_NS6detail17trampoline_kernelINS0_14default_configENS1_25partition_config_selectorILNS1_17partition_subalgoE6EiNS0_10empty_typeEbEEZZNS1_14partition_implILS5_6ELb0ES3_mPiPS6_SA_NS0_5tupleIJS9_S6_EEENSB_IJSA_SA_EEES6_PlJN6thrust23THRUST_200600_302600_NS6detail9not_fun_tINSH_10functional5actorINSJ_9compositeIJNSJ_27transparent_binary_operatorINSG_8equal_toIvEEEENSK_INSJ_8argumentILj0EEEEENSJ_5valueIiEEEEEEEEEEEE10hipError_tPvRmT3_T4_T5_T6_T7_T9_mT8_P12ihipStream_tbDpT10_ENKUlT_T0_E_clISt17integral_constantIbLb1EES1G_IbLb0EEEEDaS1C_S1D_EUlS1C_E_NS1_11comp_targetILNS1_3genE0ELNS1_11target_archE4294967295ELNS1_3gpuE0ELNS1_3repE0EEENS1_30default_config_static_selectorELNS0_4arch9wavefront6targetE1EEEvT1_: ; @_ZN7rocprim17ROCPRIM_400000_NS6detail17trampoline_kernelINS0_14default_configENS1_25partition_config_selectorILNS1_17partition_subalgoE6EiNS0_10empty_typeEbEEZZNS1_14partition_implILS5_6ELb0ES3_mPiPS6_SA_NS0_5tupleIJS9_S6_EEENSB_IJSA_SA_EEES6_PlJN6thrust23THRUST_200600_302600_NS6detail9not_fun_tINSH_10functional5actorINSJ_9compositeIJNSJ_27transparent_binary_operatorINSG_8equal_toIvEEEENSK_INSJ_8argumentILj0EEEEENSJ_5valueIiEEEEEEEEEEEE10hipError_tPvRmT3_T4_T5_T6_T7_T9_mT8_P12ihipStream_tbDpT10_ENKUlT_T0_E_clISt17integral_constantIbLb1EES1G_IbLb0EEEEDaS1C_S1D_EUlS1C_E_NS1_11comp_targetILNS1_3genE0ELNS1_11target_archE4294967295ELNS1_3gpuE0ELNS1_3repE0EEENS1_30default_config_static_selectorELNS0_4arch9wavefront6targetE1EEEvT1_
; %bb.0:
	.section	.rodata,"a",@progbits
	.p2align	6, 0x0
	.amdhsa_kernel _ZN7rocprim17ROCPRIM_400000_NS6detail17trampoline_kernelINS0_14default_configENS1_25partition_config_selectorILNS1_17partition_subalgoE6EiNS0_10empty_typeEbEEZZNS1_14partition_implILS5_6ELb0ES3_mPiPS6_SA_NS0_5tupleIJS9_S6_EEENSB_IJSA_SA_EEES6_PlJN6thrust23THRUST_200600_302600_NS6detail9not_fun_tINSH_10functional5actorINSJ_9compositeIJNSJ_27transparent_binary_operatorINSG_8equal_toIvEEEENSK_INSJ_8argumentILj0EEEEENSJ_5valueIiEEEEEEEEEEEE10hipError_tPvRmT3_T4_T5_T6_T7_T9_mT8_P12ihipStream_tbDpT10_ENKUlT_T0_E_clISt17integral_constantIbLb1EES1G_IbLb0EEEEDaS1C_S1D_EUlS1C_E_NS1_11comp_targetILNS1_3genE0ELNS1_11target_archE4294967295ELNS1_3gpuE0ELNS1_3repE0EEENS1_30default_config_static_selectorELNS0_4arch9wavefront6targetE1EEEvT1_
		.amdhsa_group_segment_fixed_size 0
		.amdhsa_private_segment_fixed_size 0
		.amdhsa_kernarg_size 120
		.amdhsa_user_sgpr_count 6
		.amdhsa_user_sgpr_private_segment_buffer 1
		.amdhsa_user_sgpr_dispatch_ptr 0
		.amdhsa_user_sgpr_queue_ptr 0
		.amdhsa_user_sgpr_kernarg_segment_ptr 1
		.amdhsa_user_sgpr_dispatch_id 0
		.amdhsa_user_sgpr_flat_scratch_init 0
		.amdhsa_user_sgpr_kernarg_preload_length 0
		.amdhsa_user_sgpr_kernarg_preload_offset 0
		.amdhsa_user_sgpr_private_segment_size 0
		.amdhsa_uses_dynamic_stack 0
		.amdhsa_system_sgpr_private_segment_wavefront_offset 0
		.amdhsa_system_sgpr_workgroup_id_x 1
		.amdhsa_system_sgpr_workgroup_id_y 0
		.amdhsa_system_sgpr_workgroup_id_z 0
		.amdhsa_system_sgpr_workgroup_info 0
		.amdhsa_system_vgpr_workitem_id 0
		.amdhsa_next_free_vgpr 1
		.amdhsa_next_free_sgpr 0
		.amdhsa_accum_offset 4
		.amdhsa_reserve_vcc 0
		.amdhsa_reserve_flat_scratch 0
		.amdhsa_float_round_mode_32 0
		.amdhsa_float_round_mode_16_64 0
		.amdhsa_float_denorm_mode_32 3
		.amdhsa_float_denorm_mode_16_64 3
		.amdhsa_dx10_clamp 1
		.amdhsa_ieee_mode 1
		.amdhsa_fp16_overflow 0
		.amdhsa_tg_split 0
		.amdhsa_exception_fp_ieee_invalid_op 0
		.amdhsa_exception_fp_denorm_src 0
		.amdhsa_exception_fp_ieee_div_zero 0
		.amdhsa_exception_fp_ieee_overflow 0
		.amdhsa_exception_fp_ieee_underflow 0
		.amdhsa_exception_fp_ieee_inexact 0
		.amdhsa_exception_int_div_zero 0
	.end_amdhsa_kernel
	.section	.text._ZN7rocprim17ROCPRIM_400000_NS6detail17trampoline_kernelINS0_14default_configENS1_25partition_config_selectorILNS1_17partition_subalgoE6EiNS0_10empty_typeEbEEZZNS1_14partition_implILS5_6ELb0ES3_mPiPS6_SA_NS0_5tupleIJS9_S6_EEENSB_IJSA_SA_EEES6_PlJN6thrust23THRUST_200600_302600_NS6detail9not_fun_tINSH_10functional5actorINSJ_9compositeIJNSJ_27transparent_binary_operatorINSG_8equal_toIvEEEENSK_INSJ_8argumentILj0EEEEENSJ_5valueIiEEEEEEEEEEEE10hipError_tPvRmT3_T4_T5_T6_T7_T9_mT8_P12ihipStream_tbDpT10_ENKUlT_T0_E_clISt17integral_constantIbLb1EES1G_IbLb0EEEEDaS1C_S1D_EUlS1C_E_NS1_11comp_targetILNS1_3genE0ELNS1_11target_archE4294967295ELNS1_3gpuE0ELNS1_3repE0EEENS1_30default_config_static_selectorELNS0_4arch9wavefront6targetE1EEEvT1_,"axG",@progbits,_ZN7rocprim17ROCPRIM_400000_NS6detail17trampoline_kernelINS0_14default_configENS1_25partition_config_selectorILNS1_17partition_subalgoE6EiNS0_10empty_typeEbEEZZNS1_14partition_implILS5_6ELb0ES3_mPiPS6_SA_NS0_5tupleIJS9_S6_EEENSB_IJSA_SA_EEES6_PlJN6thrust23THRUST_200600_302600_NS6detail9not_fun_tINSH_10functional5actorINSJ_9compositeIJNSJ_27transparent_binary_operatorINSG_8equal_toIvEEEENSK_INSJ_8argumentILj0EEEEENSJ_5valueIiEEEEEEEEEEEE10hipError_tPvRmT3_T4_T5_T6_T7_T9_mT8_P12ihipStream_tbDpT10_ENKUlT_T0_E_clISt17integral_constantIbLb1EES1G_IbLb0EEEEDaS1C_S1D_EUlS1C_E_NS1_11comp_targetILNS1_3genE0ELNS1_11target_archE4294967295ELNS1_3gpuE0ELNS1_3repE0EEENS1_30default_config_static_selectorELNS0_4arch9wavefront6targetE1EEEvT1_,comdat
.Lfunc_end267:
	.size	_ZN7rocprim17ROCPRIM_400000_NS6detail17trampoline_kernelINS0_14default_configENS1_25partition_config_selectorILNS1_17partition_subalgoE6EiNS0_10empty_typeEbEEZZNS1_14partition_implILS5_6ELb0ES3_mPiPS6_SA_NS0_5tupleIJS9_S6_EEENSB_IJSA_SA_EEES6_PlJN6thrust23THRUST_200600_302600_NS6detail9not_fun_tINSH_10functional5actorINSJ_9compositeIJNSJ_27transparent_binary_operatorINSG_8equal_toIvEEEENSK_INSJ_8argumentILj0EEEEENSJ_5valueIiEEEEEEEEEEEE10hipError_tPvRmT3_T4_T5_T6_T7_T9_mT8_P12ihipStream_tbDpT10_ENKUlT_T0_E_clISt17integral_constantIbLb1EES1G_IbLb0EEEEDaS1C_S1D_EUlS1C_E_NS1_11comp_targetILNS1_3genE0ELNS1_11target_archE4294967295ELNS1_3gpuE0ELNS1_3repE0EEENS1_30default_config_static_selectorELNS0_4arch9wavefront6targetE1EEEvT1_, .Lfunc_end267-_ZN7rocprim17ROCPRIM_400000_NS6detail17trampoline_kernelINS0_14default_configENS1_25partition_config_selectorILNS1_17partition_subalgoE6EiNS0_10empty_typeEbEEZZNS1_14partition_implILS5_6ELb0ES3_mPiPS6_SA_NS0_5tupleIJS9_S6_EEENSB_IJSA_SA_EEES6_PlJN6thrust23THRUST_200600_302600_NS6detail9not_fun_tINSH_10functional5actorINSJ_9compositeIJNSJ_27transparent_binary_operatorINSG_8equal_toIvEEEENSK_INSJ_8argumentILj0EEEEENSJ_5valueIiEEEEEEEEEEEE10hipError_tPvRmT3_T4_T5_T6_T7_T9_mT8_P12ihipStream_tbDpT10_ENKUlT_T0_E_clISt17integral_constantIbLb1EES1G_IbLb0EEEEDaS1C_S1D_EUlS1C_E_NS1_11comp_targetILNS1_3genE0ELNS1_11target_archE4294967295ELNS1_3gpuE0ELNS1_3repE0EEENS1_30default_config_static_selectorELNS0_4arch9wavefront6targetE1EEEvT1_
                                        ; -- End function
	.section	.AMDGPU.csdata,"",@progbits
; Kernel info:
; codeLenInByte = 0
; NumSgprs: 4
; NumVgprs: 0
; NumAgprs: 0
; TotalNumVgprs: 0
; ScratchSize: 0
; MemoryBound: 0
; FloatMode: 240
; IeeeMode: 1
; LDSByteSize: 0 bytes/workgroup (compile time only)
; SGPRBlocks: 0
; VGPRBlocks: 0
; NumSGPRsForWavesPerEU: 4
; NumVGPRsForWavesPerEU: 1
; AccumOffset: 4
; Occupancy: 8
; WaveLimiterHint : 0
; COMPUTE_PGM_RSRC2:SCRATCH_EN: 0
; COMPUTE_PGM_RSRC2:USER_SGPR: 6
; COMPUTE_PGM_RSRC2:TRAP_HANDLER: 0
; COMPUTE_PGM_RSRC2:TGID_X_EN: 1
; COMPUTE_PGM_RSRC2:TGID_Y_EN: 0
; COMPUTE_PGM_RSRC2:TGID_Z_EN: 0
; COMPUTE_PGM_RSRC2:TIDIG_COMP_CNT: 0
; COMPUTE_PGM_RSRC3_GFX90A:ACCUM_OFFSET: 0
; COMPUTE_PGM_RSRC3_GFX90A:TG_SPLIT: 0
	.section	.text._ZN7rocprim17ROCPRIM_400000_NS6detail17trampoline_kernelINS0_14default_configENS1_25partition_config_selectorILNS1_17partition_subalgoE6EiNS0_10empty_typeEbEEZZNS1_14partition_implILS5_6ELb0ES3_mPiPS6_SA_NS0_5tupleIJS9_S6_EEENSB_IJSA_SA_EEES6_PlJN6thrust23THRUST_200600_302600_NS6detail9not_fun_tINSH_10functional5actorINSJ_9compositeIJNSJ_27transparent_binary_operatorINSG_8equal_toIvEEEENSK_INSJ_8argumentILj0EEEEENSJ_5valueIiEEEEEEEEEEEE10hipError_tPvRmT3_T4_T5_T6_T7_T9_mT8_P12ihipStream_tbDpT10_ENKUlT_T0_E_clISt17integral_constantIbLb1EES1G_IbLb0EEEEDaS1C_S1D_EUlS1C_E_NS1_11comp_targetILNS1_3genE5ELNS1_11target_archE942ELNS1_3gpuE9ELNS1_3repE0EEENS1_30default_config_static_selectorELNS0_4arch9wavefront6targetE1EEEvT1_,"axG",@progbits,_ZN7rocprim17ROCPRIM_400000_NS6detail17trampoline_kernelINS0_14default_configENS1_25partition_config_selectorILNS1_17partition_subalgoE6EiNS0_10empty_typeEbEEZZNS1_14partition_implILS5_6ELb0ES3_mPiPS6_SA_NS0_5tupleIJS9_S6_EEENSB_IJSA_SA_EEES6_PlJN6thrust23THRUST_200600_302600_NS6detail9not_fun_tINSH_10functional5actorINSJ_9compositeIJNSJ_27transparent_binary_operatorINSG_8equal_toIvEEEENSK_INSJ_8argumentILj0EEEEENSJ_5valueIiEEEEEEEEEEEE10hipError_tPvRmT3_T4_T5_T6_T7_T9_mT8_P12ihipStream_tbDpT10_ENKUlT_T0_E_clISt17integral_constantIbLb1EES1G_IbLb0EEEEDaS1C_S1D_EUlS1C_E_NS1_11comp_targetILNS1_3genE5ELNS1_11target_archE942ELNS1_3gpuE9ELNS1_3repE0EEENS1_30default_config_static_selectorELNS0_4arch9wavefront6targetE1EEEvT1_,comdat
	.protected	_ZN7rocprim17ROCPRIM_400000_NS6detail17trampoline_kernelINS0_14default_configENS1_25partition_config_selectorILNS1_17partition_subalgoE6EiNS0_10empty_typeEbEEZZNS1_14partition_implILS5_6ELb0ES3_mPiPS6_SA_NS0_5tupleIJS9_S6_EEENSB_IJSA_SA_EEES6_PlJN6thrust23THRUST_200600_302600_NS6detail9not_fun_tINSH_10functional5actorINSJ_9compositeIJNSJ_27transparent_binary_operatorINSG_8equal_toIvEEEENSK_INSJ_8argumentILj0EEEEENSJ_5valueIiEEEEEEEEEEEE10hipError_tPvRmT3_T4_T5_T6_T7_T9_mT8_P12ihipStream_tbDpT10_ENKUlT_T0_E_clISt17integral_constantIbLb1EES1G_IbLb0EEEEDaS1C_S1D_EUlS1C_E_NS1_11comp_targetILNS1_3genE5ELNS1_11target_archE942ELNS1_3gpuE9ELNS1_3repE0EEENS1_30default_config_static_selectorELNS0_4arch9wavefront6targetE1EEEvT1_ ; -- Begin function _ZN7rocprim17ROCPRIM_400000_NS6detail17trampoline_kernelINS0_14default_configENS1_25partition_config_selectorILNS1_17partition_subalgoE6EiNS0_10empty_typeEbEEZZNS1_14partition_implILS5_6ELb0ES3_mPiPS6_SA_NS0_5tupleIJS9_S6_EEENSB_IJSA_SA_EEES6_PlJN6thrust23THRUST_200600_302600_NS6detail9not_fun_tINSH_10functional5actorINSJ_9compositeIJNSJ_27transparent_binary_operatorINSG_8equal_toIvEEEENSK_INSJ_8argumentILj0EEEEENSJ_5valueIiEEEEEEEEEEEE10hipError_tPvRmT3_T4_T5_T6_T7_T9_mT8_P12ihipStream_tbDpT10_ENKUlT_T0_E_clISt17integral_constantIbLb1EES1G_IbLb0EEEEDaS1C_S1D_EUlS1C_E_NS1_11comp_targetILNS1_3genE5ELNS1_11target_archE942ELNS1_3gpuE9ELNS1_3repE0EEENS1_30default_config_static_selectorELNS0_4arch9wavefront6targetE1EEEvT1_
	.globl	_ZN7rocprim17ROCPRIM_400000_NS6detail17trampoline_kernelINS0_14default_configENS1_25partition_config_selectorILNS1_17partition_subalgoE6EiNS0_10empty_typeEbEEZZNS1_14partition_implILS5_6ELb0ES3_mPiPS6_SA_NS0_5tupleIJS9_S6_EEENSB_IJSA_SA_EEES6_PlJN6thrust23THRUST_200600_302600_NS6detail9not_fun_tINSH_10functional5actorINSJ_9compositeIJNSJ_27transparent_binary_operatorINSG_8equal_toIvEEEENSK_INSJ_8argumentILj0EEEEENSJ_5valueIiEEEEEEEEEEEE10hipError_tPvRmT3_T4_T5_T6_T7_T9_mT8_P12ihipStream_tbDpT10_ENKUlT_T0_E_clISt17integral_constantIbLb1EES1G_IbLb0EEEEDaS1C_S1D_EUlS1C_E_NS1_11comp_targetILNS1_3genE5ELNS1_11target_archE942ELNS1_3gpuE9ELNS1_3repE0EEENS1_30default_config_static_selectorELNS0_4arch9wavefront6targetE1EEEvT1_
	.p2align	8
	.type	_ZN7rocprim17ROCPRIM_400000_NS6detail17trampoline_kernelINS0_14default_configENS1_25partition_config_selectorILNS1_17partition_subalgoE6EiNS0_10empty_typeEbEEZZNS1_14partition_implILS5_6ELb0ES3_mPiPS6_SA_NS0_5tupleIJS9_S6_EEENSB_IJSA_SA_EEES6_PlJN6thrust23THRUST_200600_302600_NS6detail9not_fun_tINSH_10functional5actorINSJ_9compositeIJNSJ_27transparent_binary_operatorINSG_8equal_toIvEEEENSK_INSJ_8argumentILj0EEEEENSJ_5valueIiEEEEEEEEEEEE10hipError_tPvRmT3_T4_T5_T6_T7_T9_mT8_P12ihipStream_tbDpT10_ENKUlT_T0_E_clISt17integral_constantIbLb1EES1G_IbLb0EEEEDaS1C_S1D_EUlS1C_E_NS1_11comp_targetILNS1_3genE5ELNS1_11target_archE942ELNS1_3gpuE9ELNS1_3repE0EEENS1_30default_config_static_selectorELNS0_4arch9wavefront6targetE1EEEvT1_,@function
_ZN7rocprim17ROCPRIM_400000_NS6detail17trampoline_kernelINS0_14default_configENS1_25partition_config_selectorILNS1_17partition_subalgoE6EiNS0_10empty_typeEbEEZZNS1_14partition_implILS5_6ELb0ES3_mPiPS6_SA_NS0_5tupleIJS9_S6_EEENSB_IJSA_SA_EEES6_PlJN6thrust23THRUST_200600_302600_NS6detail9not_fun_tINSH_10functional5actorINSJ_9compositeIJNSJ_27transparent_binary_operatorINSG_8equal_toIvEEEENSK_INSJ_8argumentILj0EEEEENSJ_5valueIiEEEEEEEEEEEE10hipError_tPvRmT3_T4_T5_T6_T7_T9_mT8_P12ihipStream_tbDpT10_ENKUlT_T0_E_clISt17integral_constantIbLb1EES1G_IbLb0EEEEDaS1C_S1D_EUlS1C_E_NS1_11comp_targetILNS1_3genE5ELNS1_11target_archE942ELNS1_3gpuE9ELNS1_3repE0EEENS1_30default_config_static_selectorELNS0_4arch9wavefront6targetE1EEEvT1_: ; @_ZN7rocprim17ROCPRIM_400000_NS6detail17trampoline_kernelINS0_14default_configENS1_25partition_config_selectorILNS1_17partition_subalgoE6EiNS0_10empty_typeEbEEZZNS1_14partition_implILS5_6ELb0ES3_mPiPS6_SA_NS0_5tupleIJS9_S6_EEENSB_IJSA_SA_EEES6_PlJN6thrust23THRUST_200600_302600_NS6detail9not_fun_tINSH_10functional5actorINSJ_9compositeIJNSJ_27transparent_binary_operatorINSG_8equal_toIvEEEENSK_INSJ_8argumentILj0EEEEENSJ_5valueIiEEEEEEEEEEEE10hipError_tPvRmT3_T4_T5_T6_T7_T9_mT8_P12ihipStream_tbDpT10_ENKUlT_T0_E_clISt17integral_constantIbLb1EES1G_IbLb0EEEEDaS1C_S1D_EUlS1C_E_NS1_11comp_targetILNS1_3genE5ELNS1_11target_archE942ELNS1_3gpuE9ELNS1_3repE0EEENS1_30default_config_static_selectorELNS0_4arch9wavefront6targetE1EEEvT1_
; %bb.0:
	.section	.rodata,"a",@progbits
	.p2align	6, 0x0
	.amdhsa_kernel _ZN7rocprim17ROCPRIM_400000_NS6detail17trampoline_kernelINS0_14default_configENS1_25partition_config_selectorILNS1_17partition_subalgoE6EiNS0_10empty_typeEbEEZZNS1_14partition_implILS5_6ELb0ES3_mPiPS6_SA_NS0_5tupleIJS9_S6_EEENSB_IJSA_SA_EEES6_PlJN6thrust23THRUST_200600_302600_NS6detail9not_fun_tINSH_10functional5actorINSJ_9compositeIJNSJ_27transparent_binary_operatorINSG_8equal_toIvEEEENSK_INSJ_8argumentILj0EEEEENSJ_5valueIiEEEEEEEEEEEE10hipError_tPvRmT3_T4_T5_T6_T7_T9_mT8_P12ihipStream_tbDpT10_ENKUlT_T0_E_clISt17integral_constantIbLb1EES1G_IbLb0EEEEDaS1C_S1D_EUlS1C_E_NS1_11comp_targetILNS1_3genE5ELNS1_11target_archE942ELNS1_3gpuE9ELNS1_3repE0EEENS1_30default_config_static_selectorELNS0_4arch9wavefront6targetE1EEEvT1_
		.amdhsa_group_segment_fixed_size 0
		.amdhsa_private_segment_fixed_size 0
		.amdhsa_kernarg_size 120
		.amdhsa_user_sgpr_count 6
		.amdhsa_user_sgpr_private_segment_buffer 1
		.amdhsa_user_sgpr_dispatch_ptr 0
		.amdhsa_user_sgpr_queue_ptr 0
		.amdhsa_user_sgpr_kernarg_segment_ptr 1
		.amdhsa_user_sgpr_dispatch_id 0
		.amdhsa_user_sgpr_flat_scratch_init 0
		.amdhsa_user_sgpr_kernarg_preload_length 0
		.amdhsa_user_sgpr_kernarg_preload_offset 0
		.amdhsa_user_sgpr_private_segment_size 0
		.amdhsa_uses_dynamic_stack 0
		.amdhsa_system_sgpr_private_segment_wavefront_offset 0
		.amdhsa_system_sgpr_workgroup_id_x 1
		.amdhsa_system_sgpr_workgroup_id_y 0
		.amdhsa_system_sgpr_workgroup_id_z 0
		.amdhsa_system_sgpr_workgroup_info 0
		.amdhsa_system_vgpr_workitem_id 0
		.amdhsa_next_free_vgpr 1
		.amdhsa_next_free_sgpr 0
		.amdhsa_accum_offset 4
		.amdhsa_reserve_vcc 0
		.amdhsa_reserve_flat_scratch 0
		.amdhsa_float_round_mode_32 0
		.amdhsa_float_round_mode_16_64 0
		.amdhsa_float_denorm_mode_32 3
		.amdhsa_float_denorm_mode_16_64 3
		.amdhsa_dx10_clamp 1
		.amdhsa_ieee_mode 1
		.amdhsa_fp16_overflow 0
		.amdhsa_tg_split 0
		.amdhsa_exception_fp_ieee_invalid_op 0
		.amdhsa_exception_fp_denorm_src 0
		.amdhsa_exception_fp_ieee_div_zero 0
		.amdhsa_exception_fp_ieee_overflow 0
		.amdhsa_exception_fp_ieee_underflow 0
		.amdhsa_exception_fp_ieee_inexact 0
		.amdhsa_exception_int_div_zero 0
	.end_amdhsa_kernel
	.section	.text._ZN7rocprim17ROCPRIM_400000_NS6detail17trampoline_kernelINS0_14default_configENS1_25partition_config_selectorILNS1_17partition_subalgoE6EiNS0_10empty_typeEbEEZZNS1_14partition_implILS5_6ELb0ES3_mPiPS6_SA_NS0_5tupleIJS9_S6_EEENSB_IJSA_SA_EEES6_PlJN6thrust23THRUST_200600_302600_NS6detail9not_fun_tINSH_10functional5actorINSJ_9compositeIJNSJ_27transparent_binary_operatorINSG_8equal_toIvEEEENSK_INSJ_8argumentILj0EEEEENSJ_5valueIiEEEEEEEEEEEE10hipError_tPvRmT3_T4_T5_T6_T7_T9_mT8_P12ihipStream_tbDpT10_ENKUlT_T0_E_clISt17integral_constantIbLb1EES1G_IbLb0EEEEDaS1C_S1D_EUlS1C_E_NS1_11comp_targetILNS1_3genE5ELNS1_11target_archE942ELNS1_3gpuE9ELNS1_3repE0EEENS1_30default_config_static_selectorELNS0_4arch9wavefront6targetE1EEEvT1_,"axG",@progbits,_ZN7rocprim17ROCPRIM_400000_NS6detail17trampoline_kernelINS0_14default_configENS1_25partition_config_selectorILNS1_17partition_subalgoE6EiNS0_10empty_typeEbEEZZNS1_14partition_implILS5_6ELb0ES3_mPiPS6_SA_NS0_5tupleIJS9_S6_EEENSB_IJSA_SA_EEES6_PlJN6thrust23THRUST_200600_302600_NS6detail9not_fun_tINSH_10functional5actorINSJ_9compositeIJNSJ_27transparent_binary_operatorINSG_8equal_toIvEEEENSK_INSJ_8argumentILj0EEEEENSJ_5valueIiEEEEEEEEEEEE10hipError_tPvRmT3_T4_T5_T6_T7_T9_mT8_P12ihipStream_tbDpT10_ENKUlT_T0_E_clISt17integral_constantIbLb1EES1G_IbLb0EEEEDaS1C_S1D_EUlS1C_E_NS1_11comp_targetILNS1_3genE5ELNS1_11target_archE942ELNS1_3gpuE9ELNS1_3repE0EEENS1_30default_config_static_selectorELNS0_4arch9wavefront6targetE1EEEvT1_,comdat
.Lfunc_end268:
	.size	_ZN7rocprim17ROCPRIM_400000_NS6detail17trampoline_kernelINS0_14default_configENS1_25partition_config_selectorILNS1_17partition_subalgoE6EiNS0_10empty_typeEbEEZZNS1_14partition_implILS5_6ELb0ES3_mPiPS6_SA_NS0_5tupleIJS9_S6_EEENSB_IJSA_SA_EEES6_PlJN6thrust23THRUST_200600_302600_NS6detail9not_fun_tINSH_10functional5actorINSJ_9compositeIJNSJ_27transparent_binary_operatorINSG_8equal_toIvEEEENSK_INSJ_8argumentILj0EEEEENSJ_5valueIiEEEEEEEEEEEE10hipError_tPvRmT3_T4_T5_T6_T7_T9_mT8_P12ihipStream_tbDpT10_ENKUlT_T0_E_clISt17integral_constantIbLb1EES1G_IbLb0EEEEDaS1C_S1D_EUlS1C_E_NS1_11comp_targetILNS1_3genE5ELNS1_11target_archE942ELNS1_3gpuE9ELNS1_3repE0EEENS1_30default_config_static_selectorELNS0_4arch9wavefront6targetE1EEEvT1_, .Lfunc_end268-_ZN7rocprim17ROCPRIM_400000_NS6detail17trampoline_kernelINS0_14default_configENS1_25partition_config_selectorILNS1_17partition_subalgoE6EiNS0_10empty_typeEbEEZZNS1_14partition_implILS5_6ELb0ES3_mPiPS6_SA_NS0_5tupleIJS9_S6_EEENSB_IJSA_SA_EEES6_PlJN6thrust23THRUST_200600_302600_NS6detail9not_fun_tINSH_10functional5actorINSJ_9compositeIJNSJ_27transparent_binary_operatorINSG_8equal_toIvEEEENSK_INSJ_8argumentILj0EEEEENSJ_5valueIiEEEEEEEEEEEE10hipError_tPvRmT3_T4_T5_T6_T7_T9_mT8_P12ihipStream_tbDpT10_ENKUlT_T0_E_clISt17integral_constantIbLb1EES1G_IbLb0EEEEDaS1C_S1D_EUlS1C_E_NS1_11comp_targetILNS1_3genE5ELNS1_11target_archE942ELNS1_3gpuE9ELNS1_3repE0EEENS1_30default_config_static_selectorELNS0_4arch9wavefront6targetE1EEEvT1_
                                        ; -- End function
	.section	.AMDGPU.csdata,"",@progbits
; Kernel info:
; codeLenInByte = 0
; NumSgprs: 4
; NumVgprs: 0
; NumAgprs: 0
; TotalNumVgprs: 0
; ScratchSize: 0
; MemoryBound: 0
; FloatMode: 240
; IeeeMode: 1
; LDSByteSize: 0 bytes/workgroup (compile time only)
; SGPRBlocks: 0
; VGPRBlocks: 0
; NumSGPRsForWavesPerEU: 4
; NumVGPRsForWavesPerEU: 1
; AccumOffset: 4
; Occupancy: 8
; WaveLimiterHint : 0
; COMPUTE_PGM_RSRC2:SCRATCH_EN: 0
; COMPUTE_PGM_RSRC2:USER_SGPR: 6
; COMPUTE_PGM_RSRC2:TRAP_HANDLER: 0
; COMPUTE_PGM_RSRC2:TGID_X_EN: 1
; COMPUTE_PGM_RSRC2:TGID_Y_EN: 0
; COMPUTE_PGM_RSRC2:TGID_Z_EN: 0
; COMPUTE_PGM_RSRC2:TIDIG_COMP_CNT: 0
; COMPUTE_PGM_RSRC3_GFX90A:ACCUM_OFFSET: 0
; COMPUTE_PGM_RSRC3_GFX90A:TG_SPLIT: 0
	.section	.text._ZN7rocprim17ROCPRIM_400000_NS6detail17trampoline_kernelINS0_14default_configENS1_25partition_config_selectorILNS1_17partition_subalgoE6EiNS0_10empty_typeEbEEZZNS1_14partition_implILS5_6ELb0ES3_mPiPS6_SA_NS0_5tupleIJS9_S6_EEENSB_IJSA_SA_EEES6_PlJN6thrust23THRUST_200600_302600_NS6detail9not_fun_tINSH_10functional5actorINSJ_9compositeIJNSJ_27transparent_binary_operatorINSG_8equal_toIvEEEENSK_INSJ_8argumentILj0EEEEENSJ_5valueIiEEEEEEEEEEEE10hipError_tPvRmT3_T4_T5_T6_T7_T9_mT8_P12ihipStream_tbDpT10_ENKUlT_T0_E_clISt17integral_constantIbLb1EES1G_IbLb0EEEEDaS1C_S1D_EUlS1C_E_NS1_11comp_targetILNS1_3genE4ELNS1_11target_archE910ELNS1_3gpuE8ELNS1_3repE0EEENS1_30default_config_static_selectorELNS0_4arch9wavefront6targetE1EEEvT1_,"axG",@progbits,_ZN7rocprim17ROCPRIM_400000_NS6detail17trampoline_kernelINS0_14default_configENS1_25partition_config_selectorILNS1_17partition_subalgoE6EiNS0_10empty_typeEbEEZZNS1_14partition_implILS5_6ELb0ES3_mPiPS6_SA_NS0_5tupleIJS9_S6_EEENSB_IJSA_SA_EEES6_PlJN6thrust23THRUST_200600_302600_NS6detail9not_fun_tINSH_10functional5actorINSJ_9compositeIJNSJ_27transparent_binary_operatorINSG_8equal_toIvEEEENSK_INSJ_8argumentILj0EEEEENSJ_5valueIiEEEEEEEEEEEE10hipError_tPvRmT3_T4_T5_T6_T7_T9_mT8_P12ihipStream_tbDpT10_ENKUlT_T0_E_clISt17integral_constantIbLb1EES1G_IbLb0EEEEDaS1C_S1D_EUlS1C_E_NS1_11comp_targetILNS1_3genE4ELNS1_11target_archE910ELNS1_3gpuE8ELNS1_3repE0EEENS1_30default_config_static_selectorELNS0_4arch9wavefront6targetE1EEEvT1_,comdat
	.protected	_ZN7rocprim17ROCPRIM_400000_NS6detail17trampoline_kernelINS0_14default_configENS1_25partition_config_selectorILNS1_17partition_subalgoE6EiNS0_10empty_typeEbEEZZNS1_14partition_implILS5_6ELb0ES3_mPiPS6_SA_NS0_5tupleIJS9_S6_EEENSB_IJSA_SA_EEES6_PlJN6thrust23THRUST_200600_302600_NS6detail9not_fun_tINSH_10functional5actorINSJ_9compositeIJNSJ_27transparent_binary_operatorINSG_8equal_toIvEEEENSK_INSJ_8argumentILj0EEEEENSJ_5valueIiEEEEEEEEEEEE10hipError_tPvRmT3_T4_T5_T6_T7_T9_mT8_P12ihipStream_tbDpT10_ENKUlT_T0_E_clISt17integral_constantIbLb1EES1G_IbLb0EEEEDaS1C_S1D_EUlS1C_E_NS1_11comp_targetILNS1_3genE4ELNS1_11target_archE910ELNS1_3gpuE8ELNS1_3repE0EEENS1_30default_config_static_selectorELNS0_4arch9wavefront6targetE1EEEvT1_ ; -- Begin function _ZN7rocprim17ROCPRIM_400000_NS6detail17trampoline_kernelINS0_14default_configENS1_25partition_config_selectorILNS1_17partition_subalgoE6EiNS0_10empty_typeEbEEZZNS1_14partition_implILS5_6ELb0ES3_mPiPS6_SA_NS0_5tupleIJS9_S6_EEENSB_IJSA_SA_EEES6_PlJN6thrust23THRUST_200600_302600_NS6detail9not_fun_tINSH_10functional5actorINSJ_9compositeIJNSJ_27transparent_binary_operatorINSG_8equal_toIvEEEENSK_INSJ_8argumentILj0EEEEENSJ_5valueIiEEEEEEEEEEEE10hipError_tPvRmT3_T4_T5_T6_T7_T9_mT8_P12ihipStream_tbDpT10_ENKUlT_T0_E_clISt17integral_constantIbLb1EES1G_IbLb0EEEEDaS1C_S1D_EUlS1C_E_NS1_11comp_targetILNS1_3genE4ELNS1_11target_archE910ELNS1_3gpuE8ELNS1_3repE0EEENS1_30default_config_static_selectorELNS0_4arch9wavefront6targetE1EEEvT1_
	.globl	_ZN7rocprim17ROCPRIM_400000_NS6detail17trampoline_kernelINS0_14default_configENS1_25partition_config_selectorILNS1_17partition_subalgoE6EiNS0_10empty_typeEbEEZZNS1_14partition_implILS5_6ELb0ES3_mPiPS6_SA_NS0_5tupleIJS9_S6_EEENSB_IJSA_SA_EEES6_PlJN6thrust23THRUST_200600_302600_NS6detail9not_fun_tINSH_10functional5actorINSJ_9compositeIJNSJ_27transparent_binary_operatorINSG_8equal_toIvEEEENSK_INSJ_8argumentILj0EEEEENSJ_5valueIiEEEEEEEEEEEE10hipError_tPvRmT3_T4_T5_T6_T7_T9_mT8_P12ihipStream_tbDpT10_ENKUlT_T0_E_clISt17integral_constantIbLb1EES1G_IbLb0EEEEDaS1C_S1D_EUlS1C_E_NS1_11comp_targetILNS1_3genE4ELNS1_11target_archE910ELNS1_3gpuE8ELNS1_3repE0EEENS1_30default_config_static_selectorELNS0_4arch9wavefront6targetE1EEEvT1_
	.p2align	8
	.type	_ZN7rocprim17ROCPRIM_400000_NS6detail17trampoline_kernelINS0_14default_configENS1_25partition_config_selectorILNS1_17partition_subalgoE6EiNS0_10empty_typeEbEEZZNS1_14partition_implILS5_6ELb0ES3_mPiPS6_SA_NS0_5tupleIJS9_S6_EEENSB_IJSA_SA_EEES6_PlJN6thrust23THRUST_200600_302600_NS6detail9not_fun_tINSH_10functional5actorINSJ_9compositeIJNSJ_27transparent_binary_operatorINSG_8equal_toIvEEEENSK_INSJ_8argumentILj0EEEEENSJ_5valueIiEEEEEEEEEEEE10hipError_tPvRmT3_T4_T5_T6_T7_T9_mT8_P12ihipStream_tbDpT10_ENKUlT_T0_E_clISt17integral_constantIbLb1EES1G_IbLb0EEEEDaS1C_S1D_EUlS1C_E_NS1_11comp_targetILNS1_3genE4ELNS1_11target_archE910ELNS1_3gpuE8ELNS1_3repE0EEENS1_30default_config_static_selectorELNS0_4arch9wavefront6targetE1EEEvT1_,@function
_ZN7rocprim17ROCPRIM_400000_NS6detail17trampoline_kernelINS0_14default_configENS1_25partition_config_selectorILNS1_17partition_subalgoE6EiNS0_10empty_typeEbEEZZNS1_14partition_implILS5_6ELb0ES3_mPiPS6_SA_NS0_5tupleIJS9_S6_EEENSB_IJSA_SA_EEES6_PlJN6thrust23THRUST_200600_302600_NS6detail9not_fun_tINSH_10functional5actorINSJ_9compositeIJNSJ_27transparent_binary_operatorINSG_8equal_toIvEEEENSK_INSJ_8argumentILj0EEEEENSJ_5valueIiEEEEEEEEEEEE10hipError_tPvRmT3_T4_T5_T6_T7_T9_mT8_P12ihipStream_tbDpT10_ENKUlT_T0_E_clISt17integral_constantIbLb1EES1G_IbLb0EEEEDaS1C_S1D_EUlS1C_E_NS1_11comp_targetILNS1_3genE4ELNS1_11target_archE910ELNS1_3gpuE8ELNS1_3repE0EEENS1_30default_config_static_selectorELNS0_4arch9wavefront6targetE1EEEvT1_: ; @_ZN7rocprim17ROCPRIM_400000_NS6detail17trampoline_kernelINS0_14default_configENS1_25partition_config_selectorILNS1_17partition_subalgoE6EiNS0_10empty_typeEbEEZZNS1_14partition_implILS5_6ELb0ES3_mPiPS6_SA_NS0_5tupleIJS9_S6_EEENSB_IJSA_SA_EEES6_PlJN6thrust23THRUST_200600_302600_NS6detail9not_fun_tINSH_10functional5actorINSJ_9compositeIJNSJ_27transparent_binary_operatorINSG_8equal_toIvEEEENSK_INSJ_8argumentILj0EEEEENSJ_5valueIiEEEEEEEEEEEE10hipError_tPvRmT3_T4_T5_T6_T7_T9_mT8_P12ihipStream_tbDpT10_ENKUlT_T0_E_clISt17integral_constantIbLb1EES1G_IbLb0EEEEDaS1C_S1D_EUlS1C_E_NS1_11comp_targetILNS1_3genE4ELNS1_11target_archE910ELNS1_3gpuE8ELNS1_3repE0EEENS1_30default_config_static_selectorELNS0_4arch9wavefront6targetE1EEEvT1_
; %bb.0:
	s_load_dwordx2 s[8:9], s[4:5], 0x50
	s_load_dwordx4 s[0:3], s[4:5], 0x8
	s_load_dwordx4 s[24:27], s[4:5], 0x40
	s_load_dword s7, s[4:5], 0x68
	v_lshlrev_b32_e32 v1, 2, v0
	s_waitcnt lgkmcnt(0)
	v_mov_b32_e32 v3, s9
	s_lshl_b64 s[10:11], s[2:3], 2
	s_add_u32 s12, s0, s10
	s_mul_i32 s0, s7, 0x1400
	s_addc_u32 s13, s1, s11
	s_add_i32 s1, s0, s2
	s_add_i32 s9, s7, -1
	s_sub_i32 s7, s8, s1
	s_add_u32 s0, s2, s0
	s_addc_u32 s1, s3, 0
	v_mov_b32_e32 v2, s8
	s_cmp_eq_u32 s6, s9
	s_load_dwordx2 s[26:27], s[26:27], 0x0
	v_cmp_ge_u64_e32 vcc, s[0:1], v[2:3]
	s_cselect_b64 s[28:29], -1, 0
	s_mul_i32 s10, s6, 0x1400
	s_mov_b32 s11, 0
	s_and_b64 s[30:31], s[28:29], vcc
	s_xor_b64 s[0:1], s[30:31], -1
	s_lshl_b64 s[2:3], s[10:11], 2
	s_add_u32 s2, s12, s2
	s_mov_b64 s[8:9], -1
	s_addc_u32 s3, s13, s3
	s_and_b64 vcc, exec, s[0:1]
	s_cbranch_vccz .LBB269_2
; %bb.1:
	v_mov_b32_e32 v2, s3
	v_add_co_u32_e32 v8, vcc, s2, v1
	v_addc_co_u32_e32 v9, vcc, 0, v2, vcc
	v_add_co_u32_e32 v2, vcc, 0x1000, v8
	v_addc_co_u32_e32 v3, vcc, 0, v9, vcc
	v_add_co_u32_e32 v4, vcc, 0x2000, v8
	v_addc_co_u32_e32 v5, vcc, 0, v9, vcc
	v_add_co_u32_e32 v6, vcc, 0x3000, v8
	v_addc_co_u32_e32 v7, vcc, 0, v9, vcc
	v_add_co_u32_e32 v8, vcc, 0x4000, v8
	global_load_dword v10, v1, s[2:3]
	global_load_dword v11, v1, s[2:3] offset:2048
	v_addc_co_u32_e32 v9, vcc, 0, v9, vcc
	global_load_dword v12, v[2:3], off
	global_load_dword v13, v[2:3], off offset:2048
	global_load_dword v14, v[4:5], off
	global_load_dword v15, v[4:5], off offset:2048
	;; [unrolled: 2-line block ×4, first 2 shown]
	s_mov_b64 s[8:9], 0
	s_waitcnt vmcnt(8)
	ds_write2st64_b32 v1, v10, v11 offset1:8
	s_waitcnt vmcnt(6)
	ds_write2st64_b32 v1, v12, v13 offset0:16 offset1:24
	s_waitcnt vmcnt(4)
	ds_write2st64_b32 v1, v14, v15 offset0:32 offset1:40
	;; [unrolled: 2-line block ×4, first 2 shown]
	s_waitcnt lgkmcnt(0)
	s_barrier
.LBB269_2:
	s_andn2_b64 vcc, exec, s[8:9]
	s_addk_i32 s7, 0x1400
	s_cbranch_vccnz .LBB269_24
; %bb.3:
	v_cmp_gt_u32_e32 vcc, s7, v0
                                        ; implicit-def: $vgpr2_vgpr3_vgpr4_vgpr5_vgpr6_vgpr7_vgpr8_vgpr9_vgpr10_vgpr11
	s_and_saveexec_b64 s[8:9], vcc
	s_cbranch_execz .LBB269_5
; %bb.4:
	global_load_dword v2, v1, s[2:3]
                                        ; kill: def $vgpr3 killed $sgpr0 killed $exec
.LBB269_5:
	s_or_b64 exec, exec, s[8:9]
	v_or_b32_e32 v12, 0x200, v0
	v_cmp_gt_u32_e32 vcc, s7, v12
	s_and_saveexec_b64 s[8:9], vcc
	s_cbranch_execz .LBB269_7
; %bb.6:
	global_load_dword v3, v1, s[2:3] offset:2048
.LBB269_7:
	s_or_b64 exec, exec, s[8:9]
	v_or_b32_e32 v12, 0x400, v0
	v_cmp_gt_u32_e32 vcc, s7, v12
	s_and_saveexec_b64 s[8:9], vcc
	s_cbranch_execz .LBB269_9
; %bb.8:
	v_lshlrev_b32_e32 v4, 2, v12
	global_load_dword v4, v4, s[2:3]
.LBB269_9:
	s_or_b64 exec, exec, s[8:9]
	v_or_b32_e32 v12, 0x600, v0
	v_cmp_gt_u32_e32 vcc, s7, v12
	s_and_saveexec_b64 s[8:9], vcc
	s_cbranch_execz .LBB269_11
; %bb.10:
	v_lshlrev_b32_e32 v5, 2, v12
	global_load_dword v5, v5, s[2:3]
.LBB269_11:
	;; [unrolled: 9-line block ×8, first 2 shown]
	s_or_b64 exec, exec, s[8:9]
	s_waitcnt vmcnt(0)
	ds_write2st64_b32 v1, v2, v3 offset1:8
	ds_write2st64_b32 v1, v4, v5 offset0:16 offset1:24
	ds_write2st64_b32 v1, v6, v7 offset0:32 offset1:40
	;; [unrolled: 1-line block ×4, first 2 shown]
	s_waitcnt lgkmcnt(0)
	s_barrier
.LBB269_24:
	v_mul_u32_u24_e32 v1, 10, v0
	v_lshlrev_b32_e32 v21, 2, v1
	s_load_dword s33, s[4:5], 0x74
	s_waitcnt lgkmcnt(0)
	ds_read2_b64 v[6:9], v21 offset1:1
	ds_read2_b64 v[2:5], v21 offset0:2 offset1:3
	ds_read_b64 v[18:19], v21 offset:32
	s_andn2_b64 vcc, exec, s[0:1]
	s_waitcnt lgkmcnt(0)
	v_cmp_ne_u32_e64 s[2:3], s33, v6
	v_cmp_ne_u32_e64 s[0:1], s33, v7
	;; [unrolled: 1-line block ×10, first 2 shown]
	s_barrier
	s_cbranch_vccnz .LBB269_26
; %bb.25:
	s_and_b64 s[20:21], s[20:21], exec
	s_and_b64 s[18:19], s[18:19], exec
	;; [unrolled: 1-line block ×10, first 2 shown]
	s_load_dwordx2 s[46:47], s[4:5], 0x60
	s_cbranch_execz .LBB269_27
	s_branch .LBB269_28
.LBB269_26:
                                        ; implicit-def: $sgpr42_sgpr43
                                        ; implicit-def: $sgpr44_sgpr45
                                        ; implicit-def: $sgpr22_sgpr23
                                        ; implicit-def: $sgpr40_sgpr41
                                        ; implicit-def: $sgpr38_sgpr39
                                        ; implicit-def: $sgpr36_sgpr37
                                        ; implicit-def: $sgpr34_sgpr35
                                        ; implicit-def: $sgpr16_sgpr17
                                        ; implicit-def: $sgpr18_sgpr19
                                        ; implicit-def: $sgpr20_sgpr21
	s_load_dwordx2 s[46:47], s[4:5], 0x60
.LBB269_27:
	v_or_b32_e32 v10, 1, v1
	v_cmp_gt_u32_e32 vcc, s7, v1
	v_cmp_ne_u32_e64 s[0:1], s33, v6
	s_and_b64 s[2:3], vcc, s[0:1]
	v_cmp_gt_u32_e32 vcc, s7, v10
	v_cmp_ne_u32_e64 s[0:1], s33, v7
	v_add_u32_e32 v11, 2, v1
	s_and_b64 s[8:9], vcc, s[0:1]
	v_add_u32_e32 v12, 3, v1
	v_cmp_gt_u32_e32 vcc, s7, v11
	v_cmp_ne_u32_e64 s[0:1], s33, v8
	s_andn2_b64 s[42:43], s[42:43], exec
	s_and_b64 s[8:9], s[8:9], exec
	v_add_u32_e32 v13, 4, v1
	s_and_b64 s[10:11], vcc, s[0:1]
	v_cmp_gt_u32_e32 vcc, s7, v12
	v_cmp_ne_u32_e64 s[0:1], s33, v9
	s_or_b64 s[42:43], s[42:43], s[8:9]
	s_andn2_b64 s[8:9], s[44:45], exec
	s_and_b64 s[2:3], s[2:3], exec
	v_add_u32_e32 v14, 5, v1
	s_and_b64 s[12:13], vcc, s[0:1]
	v_cmp_gt_u32_e32 vcc, s7, v13
	v_cmp_ne_u32_e64 s[0:1], s33, v2
	s_or_b64 s[44:45], s[8:9], s[2:3]
	s_andn2_b64 s[2:3], s[22:23], exec
	s_and_b64 s[8:9], s[10:11], exec
	v_add_u32_e32 v15, 6, v1
	s_and_b64 s[14:15], vcc, s[0:1]
	v_cmp_gt_u32_e32 vcc, s7, v14
	v_cmp_ne_u32_e64 s[0:1], s33, v3
	s_or_b64 s[22:23], s[2:3], s[8:9]
	s_andn2_b64 s[2:3], s[40:41], exec
	s_and_b64 s[8:9], s[12:13], exec
	v_add_u32_e32 v16, 7, v1
	s_and_b64 s[48:49], vcc, s[0:1]
	v_cmp_gt_u32_e32 vcc, s7, v15
	v_cmp_ne_u32_e64 s[0:1], s33, v4
	s_or_b64 s[40:41], s[2:3], s[8:9]
	s_andn2_b64 s[2:3], s[38:39], exec
	s_and_b64 s[8:9], s[14:15], exec
	v_add_u32_e32 v17, 8, v1
	s_and_b64 s[50:51], vcc, s[0:1]
	v_cmp_gt_u32_e32 vcc, s7, v16
	v_cmp_ne_u32_e64 s[0:1], s33, v5
	s_or_b64 s[38:39], s[2:3], s[8:9]
	s_andn2_b64 s[2:3], s[36:37], exec
	s_and_b64 s[8:9], s[48:49], exec
	v_add_u32_e32 v20, 9, v1
	s_and_b64 s[52:53], vcc, s[0:1]
	v_cmp_gt_u32_e32 vcc, s7, v17
	v_cmp_ne_u32_e64 s[0:1], s33, v18
	s_or_b64 s[36:37], s[2:3], s[8:9]
	s_andn2_b64 s[2:3], s[34:35], exec
	s_and_b64 s[8:9], s[50:51], exec
	s_and_b64 s[54:55], vcc, s[0:1]
	v_cmp_gt_u32_e32 vcc, s7, v20
	v_cmp_ne_u32_e64 s[0:1], s33, v19
	s_or_b64 s[34:35], s[2:3], s[8:9]
	s_andn2_b64 s[2:3], s[16:17], exec
	s_and_b64 s[8:9], s[52:53], exec
	s_and_b64 s[0:1], vcc, s[0:1]
	s_or_b64 s[16:17], s[2:3], s[8:9]
	s_andn2_b64 s[2:3], s[18:19], exec
	s_and_b64 s[8:9], s[54:55], exec
	s_or_b64 s[18:19], s[2:3], s[8:9]
	s_andn2_b64 s[2:3], s[20:21], exec
	s_and_b64 s[0:1], s[0:1], exec
	s_or_b64 s[20:21], s[2:3], s[0:1]
.LBB269_28:
	v_cndmask_b32_e64 v36, 0, 1, s[44:45]
	v_cndmask_b32_e64 v34, 0, 1, s[42:43]
	;; [unrolled: 1-line block ×3, first 2 shown]
	v_add_co_u32_e32 v10, vcc, v36, v34
	v_addc_co_u32_e64 v11, s[0:1], 0, 0, vcc
	v_add_co_u32_e32 v10, vcc, v10, v32
	v_cndmask_b32_e64 v30, 0, 1, s[40:41]
	v_addc_co_u32_e32 v11, vcc, 0, v11, vcc
	v_add_co_u32_e32 v10, vcc, v10, v30
	v_cndmask_b32_e64 v28, 0, 1, s[38:39]
	v_addc_co_u32_e32 v11, vcc, 0, v11, vcc
	;; [unrolled: 3-line block ×7, first 2 shown]
	v_add_co_u32_e32 v38, vcc, v10, v1
	v_mbcnt_lo_u32_b32 v1, -1, 0
	v_mbcnt_hi_u32_b32 v23, -1, v1
	v_addc_co_u32_e32 v39, vcc, 0, v11, vcc
	v_and_b32_e32 v27, 15, v23
	s_cmp_lg_u32 s6, 0
	v_cmp_eq_u32_e64 s[2:3], 0, v27
	v_cmp_lt_u32_e64 s[0:1], 1, v27
	v_cmp_lt_u32_e64 s[10:11], 3, v27
	;; [unrolled: 1-line block ×3, first 2 shown]
	v_and_b32_e32 v25, 16, v23
	v_cmp_eq_u32_e64 s[12:13], 0, v23
	v_cmp_ne_u32_e32 vcc, 0, v23
	s_cbranch_scc0 .LBB269_63
; %bb.29:
	v_mov_b32_dpp v1, v38 row_shr:1 row_mask:0xf bank_mask:0xf
	v_add_co_u32_e64 v1, s[14:15], v38, v1
	v_mov_b32_e32 v10, 0
	v_addc_co_u32_e64 v11, s[14:15], 0, v39, s[14:15]
	s_nop 0
	v_mov_b32_dpp v10, v10 row_shr:1 row_mask:0xf bank_mask:0xf
	v_add_co_u32_e64 v12, s[14:15], 0, v1
	v_addc_co_u32_e64 v10, s[14:15], v10, v11, s[14:15]
	v_cndmask_b32_e64 v1, v1, v38, s[2:3]
	v_cndmask_b32_e64 v11, v10, 0, s[2:3]
	v_cndmask_b32_e64 v12, v12, v38, s[2:3]
	v_mov_b32_dpp v13, v1 row_shr:2 row_mask:0xf bank_mask:0xf
	v_cndmask_b32_e64 v10, v10, v39, s[2:3]
	v_mov_b32_dpp v14, v11 row_shr:2 row_mask:0xf bank_mask:0xf
	v_add_co_u32_e64 v13, s[14:15], v13, v12
	v_addc_co_u32_e64 v14, s[14:15], v14, v10, s[14:15]
	v_cndmask_b32_e64 v1, v1, v13, s[0:1]
	v_cndmask_b32_e64 v11, v11, v14, s[0:1]
	v_cndmask_b32_e64 v12, v12, v13, s[0:1]
	v_mov_b32_dpp v13, v1 row_shr:4 row_mask:0xf bank_mask:0xf
	v_cndmask_b32_e64 v10, v10, v14, s[0:1]
	v_mov_b32_dpp v14, v11 row_shr:4 row_mask:0xf bank_mask:0xf
	v_add_co_u32_e64 v13, s[14:15], v13, v12
	v_addc_co_u32_e64 v14, s[14:15], v14, v10, s[14:15]
	v_cndmask_b32_e64 v1, v1, v13, s[10:11]
	v_cndmask_b32_e64 v11, v11, v14, s[10:11]
	v_cndmask_b32_e64 v12, v12, v13, s[10:11]
	v_mov_b32_dpp v13, v1 row_shr:8 row_mask:0xf bank_mask:0xf
	v_cndmask_b32_e64 v10, v10, v14, s[10:11]
	v_mov_b32_dpp v14, v11 row_shr:8 row_mask:0xf bank_mask:0xf
	v_add_co_u32_e64 v13, s[10:11], v13, v12
	v_addc_co_u32_e64 v14, s[10:11], v14, v10, s[10:11]
	v_cndmask_b32_e64 v15, v1, v13, s[8:9]
	v_cndmask_b32_e64 v11, v11, v14, s[8:9]
	;; [unrolled: 1-line block ×4, first 2 shown]
	v_mov_b32_dpp v10, v15 row_bcast:15 row_mask:0xf bank_mask:0xf
	v_mov_b32_dpp v14, v11 row_bcast:15 row_mask:0xf bank_mask:0xf
	v_add_co_u32_e64 v13, s[8:9], v10, v12
	v_addc_co_u32_e64 v14, s[8:9], v14, v1, s[8:9]
	v_cmp_eq_u32_e64 s[8:9], 0, v25
	v_cndmask_b32_e64 v10, v14, v11, s[8:9]
	v_cndmask_b32_e64 v11, v13, v15, s[8:9]
	s_nop 0
	v_mov_b32_dpp v16, v10 row_bcast:31 row_mask:0xf bank_mask:0xf
	v_mov_b32_dpp v15, v11 row_bcast:31 row_mask:0xf bank_mask:0xf
	v_pk_mov_b32 v[10:11], v[38:39], v[38:39] op_sel:[0,1]
	s_and_saveexec_b64 s[10:11], vcc
; %bb.30:
	v_cmp_lt_u32_e32 vcc, 31, v23
	v_cndmask_b32_e64 v10, v13, v12, s[8:9]
	v_cndmask_b32_e32 v12, 0, v15, vcc
	v_cndmask_b32_e64 v1, v14, v1, s[8:9]
	v_cndmask_b32_e32 v11, 0, v16, vcc
	v_add_co_u32_e32 v10, vcc, v12, v10
	v_addc_co_u32_e32 v11, vcc, v11, v1, vcc
; %bb.31:
	s_or_b64 exec, exec, s[10:11]
	v_or_b32_e32 v12, 63, v0
	v_lshrrev_b32_e32 v1, 6, v0
	v_cmp_eq_u32_e32 vcc, v12, v0
	s_and_saveexec_b64 s[8:9], vcc
	s_cbranch_execz .LBB269_33
; %bb.32:
	v_lshlrev_b32_e32 v12, 3, v1
	ds_write_b64 v12, v[10:11]
.LBB269_33:
	s_or_b64 exec, exec, s[8:9]
	v_cmp_gt_u32_e32 vcc, 8, v0
	s_waitcnt lgkmcnt(0)
	s_barrier
	s_and_saveexec_b64 s[10:11], vcc
	s_cbranch_execz .LBB269_37
; %bb.34:
	v_lshlrev_b32_e32 v14, 3, v0
	ds_read_b64 v[12:13], v14
	v_and_b32_e32 v15, 7, v23
	v_cmp_ne_u32_e64 s[8:9], 0, v15
	s_waitcnt lgkmcnt(0)
	v_mov_b32_dpp v16, v12 row_shr:1 row_mask:0xf bank_mask:0xf
	v_add_co_u32_e32 v29, vcc, v12, v16
	v_addc_co_u32_e32 v31, vcc, 0, v13, vcc
	v_mov_b32_dpp v17, v13 row_shr:1 row_mask:0xf bank_mask:0xf
	v_add_co_u32_e32 v16, vcc, 0, v29
	v_addc_co_u32_e32 v17, vcc, v17, v31, vcc
	v_cmp_eq_u32_e32 vcc, 0, v15
	v_cndmask_b32_e32 v33, v29, v12, vcc
	v_cndmask_b32_e32 v35, v17, v13, vcc
	;; [unrolled: 1-line block ×3, first 2 shown]
	v_mov_b32_dpp v31, v33 row_shr:2 row_mask:0xf bank_mask:0xf
	v_mov_b32_dpp v37, v35 row_shr:2 row_mask:0xf bank_mask:0xf
	v_add_co_u32_e32 v29, vcc, v31, v29
	v_addc_co_u32_e32 v31, vcc, v37, v35, vcc
	v_cmp_lt_u32_e32 vcc, 1, v15
	v_cndmask_b32_e32 v35, v35, v31, vcc
	v_cndmask_b32_e32 v33, v33, v29, vcc
                                        ; kill: def $vgpr37 killed $sgpr0 killed $exec
	s_nop 0
	v_mov_b32_dpp v35, v35 row_shr:4 row_mask:0xf bank_mask:0xf
	v_mov_b32_dpp v33, v33 row_shr:4 row_mask:0xf bank_mask:0xf
	s_and_saveexec_b64 s[14:15], s[8:9]
; %bb.35:
	v_cndmask_b32_e32 v13, v17, v31, vcc
	v_cndmask_b32_e32 v12, v16, v29, vcc
	v_cmp_lt_u32_e32 vcc, 3, v15
	v_cndmask_b32_e32 v16, 0, v33, vcc
	v_cndmask_b32_e32 v15, 0, v35, vcc
	v_add_co_u32_e32 v12, vcc, v16, v12
	v_addc_co_u32_e32 v13, vcc, v15, v13, vcc
; %bb.36:
	s_or_b64 exec, exec, s[14:15]
	ds_write_b64 v14, v[12:13]
.LBB269_37:
	s_or_b64 exec, exec, s[10:11]
	v_cmp_gt_u32_e32 vcc, 64, v0
	v_cmp_lt_u32_e64 s[8:9], 63, v0
	s_waitcnt lgkmcnt(0)
	s_barrier
	s_waitcnt lgkmcnt(0)
                                        ; implicit-def: $vgpr40_vgpr41
	s_and_saveexec_b64 s[10:11], s[8:9]
	s_cbranch_execz .LBB269_39
; %bb.38:
	v_lshl_add_u32 v1, v1, 3, -8
	ds_read_b64 v[40:41], v1
	s_waitcnt lgkmcnt(0)
	v_add_co_u32_e64 v10, s[8:9], v40, v10
	v_addc_co_u32_e64 v11, s[8:9], v41, v11, s[8:9]
.LBB269_39:
	s_or_b64 exec, exec, s[10:11]
	v_add_u32_e32 v1, -1, v23
	v_and_b32_e32 v12, 64, v23
	v_cmp_lt_i32_e64 s[8:9], v1, v12
	v_cndmask_b32_e64 v1, v1, v23, s[8:9]
	v_lshlrev_b32_e32 v12, 2, v1
	ds_bpermute_b32 v1, v12, v10
	ds_bpermute_b32 v29, v12, v11
	s_and_saveexec_b64 s[14:15], vcc
	s_cbranch_execz .LBB269_62
; %bb.40:
	v_mov_b32_e32 v13, 0
	ds_read_b64 v[10:11], v13 offset:56
	s_and_saveexec_b64 s[8:9], s[12:13]
	s_cbranch_execz .LBB269_42
; %bb.41:
	s_add_i32 s10, s6, 64
	s_mov_b32 s11, 0
	s_lshl_b64 s[10:11], s[10:11], 4
	s_add_u32 s10, s46, s10
	s_addc_u32 s11, s47, s11
	v_mov_b32_e32 v12, 1
	v_pk_mov_b32 v[14:15], s[10:11], s[10:11] op_sel:[0,1]
	s_waitcnt lgkmcnt(0)
	;;#ASMSTART
	global_store_dwordx4 v[14:15], v[10:13] off	
s_waitcnt vmcnt(0)
	;;#ASMEND
.LBB269_42:
	s_or_b64 exec, exec, s[8:9]
	v_xad_u32 v42, v23, -1, s6
	v_add_u32_e32 v12, 64, v42
	v_lshlrev_b64 v[14:15], 4, v[12:13]
	v_mov_b32_e32 v12, s47
	v_add_co_u32_e32 v44, vcc, s46, v14
	v_addc_co_u32_e32 v45, vcc, v12, v15, vcc
	;;#ASMSTART
	global_load_dwordx4 v[14:17], v[44:45] off glc	
s_waitcnt vmcnt(0)
	;;#ASMEND
	v_and_b32_e32 v12, 0xff, v15
	v_and_b32_e32 v17, 0xff00, v15
	v_or3_b32 v12, 0, v12, v17
	v_or3_b32 v14, v14, 0, 0
	v_and_b32_e32 v17, 0xff000000, v15
	v_and_b32_e32 v15, 0xff0000, v15
	v_or3_b32 v15, v12, v15, v17
	v_or3_b32 v14, v14, 0, 0
	v_cmp_eq_u16_sdwa s[10:11], v16, v13 src0_sel:BYTE_0 src1_sel:DWORD
	s_and_saveexec_b64 s[8:9], s[10:11]
	s_cbranch_execz .LBB269_48
; %bb.43:
	s_mov_b32 s7, 1
	s_mov_b64 s[10:11], 0
	v_mov_b32_e32 v12, 0
.LBB269_44:                             ; =>This Loop Header: Depth=1
                                        ;     Child Loop BB269_45 Depth 2
	s_max_u32 s33, s7, 1
.LBB269_45:                             ;   Parent Loop BB269_44 Depth=1
                                        ; =>  This Inner Loop Header: Depth=2
	s_add_i32 s33, s33, -1
	s_cmp_eq_u32 s33, 0
	s_sleep 1
	s_cbranch_scc0 .LBB269_45
; %bb.46:                               ;   in Loop: Header=BB269_44 Depth=1
	s_cmp_lt_u32 s7, 32
	s_cselect_b64 s[48:49], -1, 0
	s_cmp_lg_u64 s[48:49], 0
	s_addc_u32 s7, s7, 0
	;;#ASMSTART
	global_load_dwordx4 v[14:17], v[44:45] off glc	
s_waitcnt vmcnt(0)
	;;#ASMEND
	v_cmp_ne_u16_sdwa s[48:49], v16, v12 src0_sel:BYTE_0 src1_sel:DWORD
	s_or_b64 s[10:11], s[48:49], s[10:11]
	s_andn2_b64 exec, exec, s[10:11]
	s_cbranch_execnz .LBB269_44
; %bb.47:
	s_or_b64 exec, exec, s[10:11]
.LBB269_48:
	s_or_b64 exec, exec, s[8:9]
	v_and_b32_e32 v33, 63, v23
	v_mov_b32_e32 v31, 2
	v_cmp_ne_u32_e32 vcc, 63, v33
	v_cmp_eq_u16_sdwa s[8:9], v16, v31 src0_sel:BYTE_0 src1_sel:DWORD
	v_lshlrev_b64 v[44:45], v23, -1
	v_addc_co_u32_e32 v17, vcc, 0, v23, vcc
	v_and_b32_e32 v12, s9, v45
	v_lshlrev_b32_e32 v35, 2, v17
	v_or_b32_e32 v12, 0x80000000, v12
	ds_bpermute_b32 v17, v35, v14
	v_and_b32_e32 v13, s8, v44
	v_ffbl_b32_e32 v12, v12
	v_add_u32_e32 v12, 32, v12
	v_ffbl_b32_e32 v13, v13
	v_min_u32_e32 v12, v13, v12
	ds_bpermute_b32 v13, v35, v15
	s_waitcnt lgkmcnt(1)
	v_add_co_u32_e32 v17, vcc, v14, v17
	v_addc_co_u32_e32 v37, vcc, 0, v15, vcc
	v_add_co_u32_e32 v46, vcc, 0, v17
	v_cmp_gt_u32_e64 s[8:9], 62, v33
	s_waitcnt lgkmcnt(0)
	v_addc_co_u32_e32 v13, vcc, v13, v37, vcc
	v_cndmask_b32_e64 v37, 0, 1, s[8:9]
	v_cmp_lt_u32_e32 vcc, v33, v12
	v_lshlrev_b32_e32 v37, 1, v37
	v_cndmask_b32_e32 v17, v14, v17, vcc
	v_add_lshl_u32 v37, v37, v23, 2
	v_cndmask_b32_e32 v13, v15, v13, vcc
	ds_bpermute_b32 v47, v37, v17
	ds_bpermute_b32 v49, v37, v13
	v_cndmask_b32_e32 v46, v14, v46, vcc
	v_add_u32_e32 v48, 2, v33
	v_cmp_gt_u32_e64 s[10:11], 60, v33
	s_waitcnt lgkmcnt(1)
	v_add_co_u32_e64 v47, s[8:9], v47, v46
	s_waitcnt lgkmcnt(0)
	v_addc_co_u32_e64 v49, s[8:9], v49, v13, s[8:9]
	v_cmp_gt_u32_e64 s[8:9], v48, v12
	v_cndmask_b32_e64 v13, v49, v13, s[8:9]
	v_cndmask_b32_e64 v49, 0, 1, s[10:11]
	v_lshlrev_b32_e32 v49, 2, v49
	v_cndmask_b32_e64 v17, v47, v17, s[8:9]
	v_add_lshl_u32 v49, v49, v23, 2
	ds_bpermute_b32 v51, v49, v17
	v_cndmask_b32_e64 v46, v47, v46, s[8:9]
	ds_bpermute_b32 v47, v49, v13
	v_add_u32_e32 v50, 4, v33
	v_cmp_gt_u32_e64 s[10:11], 56, v33
	s_waitcnt lgkmcnt(1)
	v_add_co_u32_e64 v52, s[8:9], v51, v46
	s_waitcnt lgkmcnt(0)
	v_addc_co_u32_e64 v47, s[8:9], v47, v13, s[8:9]
	v_cmp_gt_u32_e64 s[8:9], v50, v12
	v_cndmask_b32_e64 v13, v47, v13, s[8:9]
	v_cndmask_b32_e64 v47, 0, 1, s[10:11]
	v_lshlrev_b32_e32 v47, 3, v47
	v_cndmask_b32_e64 v17, v52, v17, s[8:9]
	v_add_lshl_u32 v51, v47, v23, 2
	ds_bpermute_b32 v47, v51, v17
	ds_bpermute_b32 v53, v51, v13
	v_cndmask_b32_e64 v46, v52, v46, s[8:9]
	v_add_u32_e32 v52, 8, v33
	v_cmp_gt_u32_e64 s[10:11], 48, v33
	s_waitcnt lgkmcnt(1)
	v_add_co_u32_e64 v47, s[8:9], v47, v46
	s_waitcnt lgkmcnt(0)
	v_addc_co_u32_e64 v53, s[8:9], v53, v13, s[8:9]
	v_cmp_gt_u32_e64 s[8:9], v52, v12
	v_cndmask_b32_e64 v13, v53, v13, s[8:9]
	v_cndmask_b32_e64 v53, 0, 1, s[10:11]
	v_lshlrev_b32_e32 v53, 4, v53
	v_cndmask_b32_e64 v17, v47, v17, s[8:9]
	v_add_lshl_u32 v53, v53, v23, 2
	ds_bpermute_b32 v55, v53, v17
	v_cndmask_b32_e64 v46, v47, v46, s[8:9]
	ds_bpermute_b32 v47, v53, v13
	v_cmp_gt_u32_e64 s[10:11], 32, v33
	v_add_u32_e32 v54, 16, v33
	s_waitcnt lgkmcnt(1)
	v_add_co_u32_e64 v57, s[8:9], v55, v46
	s_waitcnt lgkmcnt(0)
	v_addc_co_u32_e64 v47, s[8:9], v47, v13, s[8:9]
	v_cndmask_b32_e64 v55, 0, 1, s[10:11]
	v_cmp_gt_u32_e64 s[8:9], v54, v12
	v_lshlrev_b32_e32 v55, 5, v55
	v_cndmask_b32_e64 v17, v57, v17, s[8:9]
	v_add_lshl_u32 v55, v55, v23, 2
	v_cndmask_b32_e64 v13, v47, v13, s[8:9]
	ds_bpermute_b32 v17, v55, v17
	ds_bpermute_b32 v47, v55, v13
	v_add_u32_e32 v56, 32, v33
	v_cndmask_b32_e64 v46, v57, v46, s[8:9]
	v_cmp_le_u32_e64 s[8:9], v56, v12
	s_waitcnt lgkmcnt(1)
	v_cndmask_b32_e64 v17, 0, v17, s[8:9]
	s_waitcnt lgkmcnt(0)
	v_cndmask_b32_e64 v12, 0, v47, s[8:9]
	v_add_co_u32_e64 v17, s[8:9], v17, v46
	v_addc_co_u32_e64 v12, s[8:9], v12, v13, s[8:9]
	v_mov_b32_e32 v43, 0
	v_cndmask_b32_e32 v15, v15, v12, vcc
	v_cndmask_b32_e32 v14, v14, v17, vcc
	s_branch .LBB269_50
.LBB269_49:                             ;   in Loop: Header=BB269_50 Depth=1
	s_or_b64 exec, exec, s[8:9]
	v_cmp_eq_u16_sdwa s[8:9], v16, v31 src0_sel:BYTE_0 src1_sel:DWORD
	v_and_b32_e32 v17, s9, v45
	v_or_b32_e32 v17, 0x80000000, v17
	ds_bpermute_b32 v47, v35, v14
	v_and_b32_e32 v46, s8, v44
	v_ffbl_b32_e32 v17, v17
	v_add_u32_e32 v17, 32, v17
	v_ffbl_b32_e32 v46, v46
	v_min_u32_e32 v17, v46, v17
	ds_bpermute_b32 v46, v35, v15
	s_waitcnt lgkmcnt(1)
	v_add_co_u32_e32 v47, vcc, v14, v47
	v_addc_co_u32_e32 v57, vcc, 0, v15, vcc
	v_add_co_u32_e32 v58, vcc, 0, v47
	s_waitcnt lgkmcnt(0)
	v_addc_co_u32_e32 v46, vcc, v46, v57, vcc
	v_cmp_lt_u32_e32 vcc, v33, v17
	v_cndmask_b32_e32 v47, v14, v47, vcc
	ds_bpermute_b32 v57, v37, v47
	v_cndmask_b32_e32 v46, v15, v46, vcc
	ds_bpermute_b32 v59, v37, v46
	v_cndmask_b32_e32 v58, v14, v58, vcc
	v_subrev_u32_e32 v42, 64, v42
	s_waitcnt lgkmcnt(1)
	v_add_co_u32_e64 v57, s[8:9], v57, v58
	s_waitcnt lgkmcnt(0)
	v_addc_co_u32_e64 v59, s[8:9], v59, v46, s[8:9]
	v_cmp_gt_u32_e64 s[8:9], v48, v17
	v_cndmask_b32_e64 v47, v57, v47, s[8:9]
	ds_bpermute_b32 v60, v49, v47
	v_cndmask_b32_e64 v46, v59, v46, s[8:9]
	ds_bpermute_b32 v59, v49, v46
	v_cndmask_b32_e64 v57, v57, v58, s[8:9]
	s_waitcnt lgkmcnt(1)
	v_add_co_u32_e64 v58, s[8:9], v60, v57
	s_waitcnt lgkmcnt(0)
	v_addc_co_u32_e64 v59, s[8:9], v59, v46, s[8:9]
	v_cmp_gt_u32_e64 s[8:9], v50, v17
	v_cndmask_b32_e64 v47, v58, v47, s[8:9]
	ds_bpermute_b32 v60, v51, v47
	v_cndmask_b32_e64 v46, v59, v46, s[8:9]
	ds_bpermute_b32 v59, v51, v46
	v_cndmask_b32_e64 v57, v58, v57, s[8:9]
	;; [unrolled: 10-line block ×3, first 2 shown]
	s_waitcnt lgkmcnt(1)
	v_add_co_u32_e64 v58, s[8:9], v60, v57
	s_waitcnt lgkmcnt(0)
	v_addc_co_u32_e64 v59, s[8:9], v59, v46, s[8:9]
	v_cmp_gt_u32_e64 s[8:9], v54, v17
	v_cndmask_b32_e64 v47, v58, v47, s[8:9]
	v_cndmask_b32_e64 v46, v59, v46, s[8:9]
	ds_bpermute_b32 v47, v55, v47
	ds_bpermute_b32 v59, v55, v46
	v_cndmask_b32_e64 v57, v58, v57, s[8:9]
	v_cmp_le_u32_e64 s[8:9], v56, v17
	s_waitcnt lgkmcnt(1)
	v_cndmask_b32_e64 v47, 0, v47, s[8:9]
	s_waitcnt lgkmcnt(0)
	v_cndmask_b32_e64 v17, 0, v59, s[8:9]
	v_add_co_u32_e64 v47, s[8:9], v47, v57
	v_addc_co_u32_e64 v17, s[8:9], v17, v46, s[8:9]
	v_cndmask_b32_e32 v14, v14, v47, vcc
	v_cndmask_b32_e32 v15, v15, v17, vcc
	v_add_co_u32_e32 v14, vcc, v14, v12
	v_addc_co_u32_e32 v15, vcc, v15, v13, vcc
.LBB269_50:                             ; =>This Loop Header: Depth=1
                                        ;     Child Loop BB269_53 Depth 2
                                        ;       Child Loop BB269_54 Depth 3
	v_cmp_ne_u16_sdwa s[8:9], v16, v31 src0_sel:BYTE_0 src1_sel:DWORD
	v_cndmask_b32_e64 v12, 0, 1, s[8:9]
	;;#ASMSTART
	;;#ASMEND
	v_cmp_ne_u32_e32 vcc, 0, v12
	s_cmp_lg_u64 vcc, exec
	v_pk_mov_b32 v[12:13], v[14:15], v[14:15] op_sel:[0,1]
	s_cbranch_scc1 .LBB269_57
; %bb.51:                               ;   in Loop: Header=BB269_50 Depth=1
	v_lshlrev_b64 v[14:15], 4, v[42:43]
	v_mov_b32_e32 v16, s47
	v_add_co_u32_e32 v46, vcc, s46, v14
	v_addc_co_u32_e32 v47, vcc, v16, v15, vcc
	;;#ASMSTART
	global_load_dwordx4 v[14:17], v[46:47] off glc	
s_waitcnt vmcnt(0)
	;;#ASMEND
	v_and_b32_e32 v17, 0xff, v15
	v_and_b32_e32 v57, 0xff00, v15
	v_or3_b32 v17, 0, v17, v57
	v_or3_b32 v14, v14, 0, 0
	v_and_b32_e32 v57, 0xff000000, v15
	v_and_b32_e32 v15, 0xff0000, v15
	v_or3_b32 v15, v17, v15, v57
	v_or3_b32 v14, v14, 0, 0
	v_cmp_eq_u16_sdwa s[10:11], v16, v43 src0_sel:BYTE_0 src1_sel:DWORD
	s_and_saveexec_b64 s[8:9], s[10:11]
	s_cbranch_execz .LBB269_49
; %bb.52:                               ;   in Loop: Header=BB269_50 Depth=1
	s_mov_b32 s7, 1
	s_mov_b64 s[10:11], 0
.LBB269_53:                             ;   Parent Loop BB269_50 Depth=1
                                        ; =>  This Loop Header: Depth=2
                                        ;       Child Loop BB269_54 Depth 3
	s_max_u32 s33, s7, 1
.LBB269_54:                             ;   Parent Loop BB269_50 Depth=1
                                        ;     Parent Loop BB269_53 Depth=2
                                        ; =>    This Inner Loop Header: Depth=3
	s_add_i32 s33, s33, -1
	s_cmp_eq_u32 s33, 0
	s_sleep 1
	s_cbranch_scc0 .LBB269_54
; %bb.55:                               ;   in Loop: Header=BB269_53 Depth=2
	s_cmp_lt_u32 s7, 32
	s_cselect_b64 s[48:49], -1, 0
	s_cmp_lg_u64 s[48:49], 0
	s_addc_u32 s7, s7, 0
	;;#ASMSTART
	global_load_dwordx4 v[14:17], v[46:47] off glc	
s_waitcnt vmcnt(0)
	;;#ASMEND
	v_cmp_ne_u16_sdwa s[48:49], v16, v43 src0_sel:BYTE_0 src1_sel:DWORD
	s_or_b64 s[10:11], s[48:49], s[10:11]
	s_andn2_b64 exec, exec, s[10:11]
	s_cbranch_execnz .LBB269_53
; %bb.56:                               ;   in Loop: Header=BB269_50 Depth=1
	s_or_b64 exec, exec, s[10:11]
	s_branch .LBB269_49
.LBB269_57:                             ;   in Loop: Header=BB269_50 Depth=1
                                        ; implicit-def: $vgpr14_vgpr15
                                        ; implicit-def: $vgpr16
	s_cbranch_execz .LBB269_50
; %bb.58:
	s_and_saveexec_b64 s[8:9], s[12:13]
	s_cbranch_execz .LBB269_60
; %bb.59:
	s_add_i32 s6, s6, 64
	s_mov_b32 s7, 0
	s_lshl_b64 s[6:7], s[6:7], 4
	s_add_u32 s6, s46, s6
	v_add_co_u32_e32 v14, vcc, v12, v10
	s_addc_u32 s7, s47, s7
	v_addc_co_u32_e32 v15, vcc, v13, v11, vcc
	v_mov_b32_e32 v16, 2
	v_mov_b32_e32 v17, 0
	v_pk_mov_b32 v[42:43], s[6:7], s[6:7] op_sel:[0,1]
	;;#ASMSTART
	global_store_dwordx4 v[42:43], v[14:17] off	
s_waitcnt vmcnt(0)
	;;#ASMEND
	ds_write_b128 v17, v[10:13] offset:20480
.LBB269_60:
	s_or_b64 exec, exec, s[8:9]
	v_cmp_eq_u32_e32 vcc, 0, v0
	s_and_b64 exec, exec, vcc
	s_cbranch_execz .LBB269_62
; %bb.61:
	v_mov_b32_e32 v10, 0
	ds_write_b64 v10, v[12:13] offset:56
.LBB269_62:
	s_or_b64 exec, exec, s[14:15]
	v_mov_b32_e32 v13, 0
	s_waitcnt lgkmcnt(0)
	s_barrier
	ds_read_b64 v[10:11], v13 offset:56
	v_cndmask_b32_e64 v1, v1, v40, s[12:13]
	v_cmp_ne_u32_e32 vcc, 0, v0
	v_cndmask_b32_e64 v12, v29, v41, s[12:13]
	v_cndmask_b32_e32 v1, 0, v1, vcc
	v_cndmask_b32_e32 v12, 0, v12, vcc
	s_waitcnt lgkmcnt(0)
	v_add_co_u32_e32 v54, vcc, v10, v1
	v_addc_co_u32_e32 v55, vcc, v11, v12, vcc
	v_add_co_u32_e32 v52, vcc, v54, v36
	v_addc_co_u32_e32 v53, vcc, 0, v55, vcc
	;; [unrolled: 2-line block ×7, first 2 shown]
	v_add_co_u32_e32 v40, vcc, v42, v24
	s_barrier
	ds_read_b128 v[10:13], v13 offset:20480
	v_addc_co_u32_e32 v41, vcc, 0, v43, vcc
	v_add_co_u32_e32 v14, vcc, v40, v22
	v_addc_co_u32_e32 v15, vcc, 0, v41, vcc
	v_add_co_u32_e32 v16, vcc, v14, v20
	v_addc_co_u32_e32 v17, vcc, 0, v15, vcc
	s_waitcnt lgkmcnt(0)
	v_readfirstlane_b32 s9, v13
	v_readfirstlane_b32 s8, v12
	s_load_dwordx2 s[6:7], s[4:5], 0x28
	s_branch .LBB269_77
.LBB269_63:
                                        ; implicit-def: $sgpr8_sgpr9
                                        ; implicit-def: $vgpr10_vgpr11
                                        ; implicit-def: $vgpr16_vgpr17
                                        ; implicit-def: $vgpr14_vgpr15
                                        ; implicit-def: $vgpr40_vgpr41
                                        ; implicit-def: $vgpr42_vgpr43
                                        ; implicit-def: $vgpr44_vgpr45
                                        ; implicit-def: $vgpr46_vgpr47
                                        ; implicit-def: $vgpr48_vgpr49
                                        ; implicit-def: $vgpr50_vgpr51
                                        ; implicit-def: $vgpr52_vgpr53
                                        ; implicit-def: $vgpr54_vgpr55
	s_load_dwordx2 s[6:7], s[4:5], 0x28
	s_cbranch_execz .LBB269_77
; %bb.64:
	v_mov_b32_dpp v1, v38 row_shr:1 row_mask:0xf bank_mask:0xf
	v_add_co_u32_e32 v1, vcc, v38, v1
	v_mov_b32_e32 v10, 0
	v_addc_co_u32_e32 v11, vcc, 0, v39, vcc
	s_nop 0
	v_mov_b32_dpp v10, v10 row_shr:1 row_mask:0xf bank_mask:0xf
	v_add_co_u32_e32 v12, vcc, 0, v1
	v_addc_co_u32_e32 v10, vcc, v10, v11, vcc
	v_cndmask_b32_e64 v1, v1, v38, s[2:3]
	v_cndmask_b32_e64 v11, v10, 0, s[2:3]
	;; [unrolled: 1-line block ×3, first 2 shown]
	v_mov_b32_dpp v13, v1 row_shr:2 row_mask:0xf bank_mask:0xf
	v_cndmask_b32_e64 v10, v10, v39, s[2:3]
	v_mov_b32_dpp v14, v11 row_shr:2 row_mask:0xf bank_mask:0xf
	v_add_co_u32_e32 v13, vcc, v13, v12
	v_addc_co_u32_e32 v14, vcc, v14, v10, vcc
	v_cndmask_b32_e64 v1, v1, v13, s[0:1]
	v_cndmask_b32_e64 v11, v11, v14, s[0:1]
	;; [unrolled: 1-line block ×3, first 2 shown]
	v_mov_b32_dpp v13, v1 row_shr:4 row_mask:0xf bank_mask:0xf
	v_cndmask_b32_e64 v10, v10, v14, s[0:1]
	v_mov_b32_dpp v14, v11 row_shr:4 row_mask:0xf bank_mask:0xf
	v_add_co_u32_e32 v13, vcc, v13, v12
	v_addc_co_u32_e32 v14, vcc, v14, v10, vcc
	v_cmp_lt_u32_e32 vcc, 3, v27
	v_cndmask_b32_e32 v1, v1, v13, vcc
	v_cndmask_b32_e32 v11, v11, v14, vcc
	;; [unrolled: 1-line block ×3, first 2 shown]
	v_mov_b32_dpp v13, v1 row_shr:8 row_mask:0xf bank_mask:0xf
	v_cndmask_b32_e32 v10, v10, v14, vcc
	v_mov_b32_dpp v14, v11 row_shr:8 row_mask:0xf bank_mask:0xf
	v_add_co_u32_e32 v13, vcc, v13, v12
	v_addc_co_u32_e32 v14, vcc, v14, v10, vcc
	v_cmp_lt_u32_e32 vcc, 7, v27
	v_cndmask_b32_e32 v16, v1, v13, vcc
	v_cndmask_b32_e32 v15, v11, v14, vcc
	;; [unrolled: 1-line block ×4, first 2 shown]
	v_mov_b32_dpp v11, v16 row_bcast:15 row_mask:0xf bank_mask:0xf
	v_mov_b32_dpp v12, v15 row_bcast:15 row_mask:0xf bank_mask:0xf
	v_add_co_u32_e32 v11, vcc, v11, v10
	v_addc_co_u32_e32 v12, vcc, v12, v1, vcc
	v_cmp_eq_u32_e64 s[0:1], 0, v25
	v_cndmask_b32_e64 v14, v12, v15, s[0:1]
	v_cndmask_b32_e64 v13, v11, v16, s[0:1]
	v_cmp_eq_u32_e32 vcc, 0, v23
	v_mov_b32_dpp v14, v14 row_bcast:31 row_mask:0xf bank_mask:0xf
	v_mov_b32_dpp v13, v13 row_bcast:31 row_mask:0xf bank_mask:0xf
	v_cmp_ne_u32_e64 s[2:3], 0, v23
	s_and_saveexec_b64 s[4:5], s[2:3]
; %bb.65:
	v_cndmask_b32_e64 v1, v12, v1, s[0:1]
	v_cndmask_b32_e64 v10, v11, v10, s[0:1]
	v_cmp_lt_u32_e64 s[0:1], 31, v23
	v_cndmask_b32_e64 v12, 0, v13, s[0:1]
	v_cndmask_b32_e64 v11, 0, v14, s[0:1]
	v_add_co_u32_e64 v38, s[0:1], v12, v10
	v_addc_co_u32_e64 v39, s[0:1], v11, v1, s[0:1]
; %bb.66:
	s_or_b64 exec, exec, s[4:5]
	v_or_b32_e32 v10, 63, v0
	v_lshrrev_b32_e32 v1, 6, v0
	v_cmp_eq_u32_e64 s[0:1], v10, v0
	s_and_saveexec_b64 s[2:3], s[0:1]
	s_cbranch_execz .LBB269_68
; %bb.67:
	v_lshlrev_b32_e32 v10, 3, v1
	ds_write_b64 v10, v[38:39]
.LBB269_68:
	s_or_b64 exec, exec, s[2:3]
	v_cmp_gt_u32_e64 s[0:1], 8, v0
	s_waitcnt lgkmcnt(0)
	s_barrier
	s_and_saveexec_b64 s[4:5], s[0:1]
	s_cbranch_execz .LBB269_72
; %bb.69:
	v_lshlrev_b32_e32 v12, 5, v0
	v_sub_u32_e32 v10, v21, v12
	ds_read_b64 v[10:11], v10
	v_and_b32_e32 v13, 7, v23
	v_sub_u32_e32 v12, 0, v12
	v_cmp_ne_u32_e64 s[2:3], 0, v13
	s_waitcnt lgkmcnt(0)
	v_mov_b32_dpp v14, v10 row_shr:1 row_mask:0xf bank_mask:0xf
	v_add_co_u32_e64 v16, s[0:1], v10, v14
	v_addc_co_u32_e64 v17, s[0:1], 0, v11, s[0:1]
	v_mov_b32_dpp v15, v11 row_shr:1 row_mask:0xf bank_mask:0xf
	v_add_co_u32_e64 v14, s[0:1], 0, v16
	v_addc_co_u32_e64 v15, s[0:1], v15, v17, s[0:1]
	v_cmp_eq_u32_e64 s[0:1], 0, v13
	v_cndmask_b32_e64 v25, v16, v10, s[0:1]
	v_cndmask_b32_e64 v27, v15, v11, s[0:1]
	;; [unrolled: 1-line block ×3, first 2 shown]
	v_mov_b32_dpp v17, v25 row_shr:2 row_mask:0xf bank_mask:0xf
	v_mov_b32_dpp v29, v27 row_shr:2 row_mask:0xf bank_mask:0xf
	v_add_co_u32_e64 v16, s[0:1], v17, v16
	v_addc_co_u32_e64 v17, s[0:1], v29, v27, s[0:1]
	v_cmp_lt_u32_e64 s[0:1], 1, v13
	v_cndmask_b32_e64 v27, v27, v17, s[0:1]
	v_cndmask_b32_e64 v25, v25, v16, s[0:1]
                                        ; kill: def $vgpr29 killed $sgpr0 killed $exec
	s_nop 0
	v_mov_b32_dpp v27, v27 row_shr:4 row_mask:0xf bank_mask:0xf
	v_mov_b32_dpp v25, v25 row_shr:4 row_mask:0xf bank_mask:0xf
	s_and_saveexec_b64 s[8:9], s[2:3]
; %bb.70:
	v_cndmask_b32_e64 v11, v15, v17, s[0:1]
	v_cndmask_b32_e64 v10, v14, v16, s[0:1]
	v_cmp_lt_u32_e64 s[0:1], 3, v13
	v_cndmask_b32_e64 v14, 0, v25, s[0:1]
	v_cndmask_b32_e64 v13, 0, v27, s[0:1]
	v_add_co_u32_e64 v10, s[0:1], v14, v10
	v_addc_co_u32_e64 v11, s[0:1], v13, v11, s[0:1]
; %bb.71:
	s_or_b64 exec, exec, s[8:9]
	v_add_u32_e32 v12, v21, v12
	ds_write_b64 v12, v[10:11]
.LBB269_72:
	s_or_b64 exec, exec, s[4:5]
	v_cmp_lt_u32_e64 s[0:1], 63, v0
	v_pk_mov_b32 v[14:15], 0, 0
	s_waitcnt lgkmcnt(0)
	s_barrier
	s_and_saveexec_b64 s[2:3], s[0:1]
	s_cbranch_execz .LBB269_74
; %bb.73:
	v_lshl_add_u32 v1, v1, 3, -8
	ds_read_b64 v[14:15], v1
.LBB269_74:
	s_or_b64 exec, exec, s[2:3]
	s_waitcnt lgkmcnt(0)
	v_add_co_u32_e64 v1, s[0:1], v14, v38
	v_addc_co_u32_e64 v10, s[0:1], v15, v39, s[0:1]
	v_add_u32_e32 v11, -1, v23
	v_and_b32_e32 v12, 64, v23
	v_cmp_lt_i32_e64 s[0:1], v11, v12
	v_cndmask_b32_e64 v11, v11, v23, s[0:1]
	v_lshlrev_b32_e32 v11, 2, v11
	v_mov_b32_e32 v13, 0
	ds_bpermute_b32 v1, v11, v1
	ds_bpermute_b32 v16, v11, v10
	ds_read_b64 v[10:11], v13 offset:56
	v_cmp_eq_u32_e64 s[0:1], 0, v0
	s_and_saveexec_b64 s[2:3], s[0:1]
	s_cbranch_execz .LBB269_76
; %bb.75:
	s_add_u32 s4, s46, 0x400
	s_addc_u32 s5, s47, 0
	v_mov_b32_e32 v12, 2
	v_pk_mov_b32 v[38:39], s[4:5], s[4:5] op_sel:[0,1]
	s_waitcnt lgkmcnt(0)
	;;#ASMSTART
	global_store_dwordx4 v[38:39], v[10:13] off	
s_waitcnt vmcnt(0)
	;;#ASMEND
.LBB269_76:
	s_or_b64 exec, exec, s[2:3]
	s_waitcnt lgkmcnt(2)
	v_cndmask_b32_e32 v1, v1, v14, vcc
	s_waitcnt lgkmcnt(1)
	v_cndmask_b32_e32 v12, v16, v15, vcc
	v_cndmask_b32_e64 v54, v1, 0, s[0:1]
	v_cndmask_b32_e64 v55, v12, 0, s[0:1]
	v_add_co_u32_e32 v52, vcc, v54, v36
	v_addc_co_u32_e32 v53, vcc, 0, v55, vcc
	v_add_co_u32_e32 v50, vcc, v52, v34
	v_addc_co_u32_e32 v51, vcc, 0, v53, vcc
	;; [unrolled: 2-line block ×9, first 2 shown]
	s_waitcnt lgkmcnt(0)
	s_barrier
	s_mov_b64 s[8:9], 0
.LBB269_77:
	s_mov_b64 s[0:1], 0x201
	v_cmp_gt_u64_e32 vcc, s[0:1], v[10:11]
	s_mov_b64 s[0:1], -1
	s_cbranch_vccnz .LBB269_81
; %bb.78:
	s_and_b64 vcc, exec, s[0:1]
	s_cbranch_vccnz .LBB269_102
.LBB269_79:
	v_cmp_eq_u32_e32 vcc, 0, v0
	s_and_b64 s[0:1], vcc, s[28:29]
	s_and_saveexec_b64 s[2:3], s[0:1]
	s_cbranch_execnz .LBB269_124
.LBB269_80:
	s_endpgm
.LBB269_81:
	v_mov_b32_e32 v1, s9
	v_add_co_u32_e32 v12, vcc, s8, v10
	v_addc_co_u32_e32 v13, vcc, v1, v11, vcc
	s_lshl_b64 s[0:1], s[26:27], 2
	s_waitcnt lgkmcnt(0)
	s_add_u32 s2, s6, s0
	v_cmp_ge_u64_e32 vcc, v[54:55], v[12:13]
	s_addc_u32 s3, s7, s1
	s_and_b64 s[0:1], s[30:31], vcc
	s_xor_b64 s[4:5], s[44:45], -1
	s_or_b64 s[0:1], s[0:1], s[4:5]
	s_xor_b64 s[4:5], s[0:1], -1
	s_and_saveexec_b64 s[0:1], s[4:5]
	s_cbranch_execz .LBB269_83
; %bb.82:
	v_lshlrev_b64 v[20:21], 2, v[54:55]
	v_mov_b32_e32 v1, s3
	v_add_co_u32_e32 v20, vcc, s2, v20
	v_addc_co_u32_e32 v21, vcc, v1, v21, vcc
	global_store_dword v[20:21], v6, off
.LBB269_83:
	s_or_b64 exec, exec, s[0:1]
	v_cmp_ge_u64_e32 vcc, v[52:53], v[12:13]
	s_and_b64 s[0:1], s[30:31], vcc
	s_xor_b64 s[4:5], s[42:43], -1
	s_or_b64 s[0:1], s[0:1], s[4:5]
	s_xor_b64 s[4:5], s[0:1], -1
	s_and_saveexec_b64 s[0:1], s[4:5]
	s_cbranch_execz .LBB269_85
; %bb.84:
	v_lshlrev_b64 v[20:21], 2, v[52:53]
	v_mov_b32_e32 v1, s3
	v_add_co_u32_e32 v20, vcc, s2, v20
	v_addc_co_u32_e32 v21, vcc, v1, v21, vcc
	global_store_dword v[20:21], v7, off
.LBB269_85:
	s_or_b64 exec, exec, s[0:1]
	v_cmp_ge_u64_e32 vcc, v[50:51], v[12:13]
	;; [unrolled: 15-line block ×9, first 2 shown]
	s_and_b64 s[0:1], s[30:31], vcc
	s_xor_b64 s[4:5], s[20:21], -1
	s_or_b64 s[0:1], s[0:1], s[4:5]
	s_xor_b64 s[4:5], s[0:1], -1
	s_and_saveexec_b64 s[0:1], s[4:5]
	s_cbranch_execz .LBB269_101
; %bb.100:
	v_lshlrev_b64 v[12:13], 2, v[16:17]
	v_mov_b32_e32 v1, s3
	v_add_co_u32_e32 v12, vcc, s2, v12
	v_addc_co_u32_e32 v13, vcc, v1, v13, vcc
	global_store_dword v[12:13], v19, off
.LBB269_101:
	s_or_b64 exec, exec, s[0:1]
	s_branch .LBB269_79
.LBB269_102:
	s_and_saveexec_b64 s[0:1], s[44:45]
	s_cbranch_execnz .LBB269_125
; %bb.103:
	s_or_b64 exec, exec, s[0:1]
	s_and_saveexec_b64 s[0:1], s[42:43]
	s_cbranch_execnz .LBB269_126
.LBB269_104:
	s_or_b64 exec, exec, s[0:1]
	s_and_saveexec_b64 s[0:1], s[22:23]
	s_cbranch_execnz .LBB269_127
.LBB269_105:
	s_or_b64 exec, exec, s[0:1]
	s_and_saveexec_b64 s[0:1], s[40:41]
	s_cbranch_execnz .LBB269_128
.LBB269_106:
	s_or_b64 exec, exec, s[0:1]
	s_and_saveexec_b64 s[0:1], s[38:39]
	s_cbranch_execnz .LBB269_129
.LBB269_107:
	s_or_b64 exec, exec, s[0:1]
	s_and_saveexec_b64 s[0:1], s[36:37]
	s_cbranch_execnz .LBB269_130
.LBB269_108:
	s_or_b64 exec, exec, s[0:1]
	s_and_saveexec_b64 s[0:1], s[34:35]
	s_cbranch_execnz .LBB269_131
.LBB269_109:
	s_or_b64 exec, exec, s[0:1]
	s_and_saveexec_b64 s[0:1], s[16:17]
	s_cbranch_execnz .LBB269_132
.LBB269_110:
	s_or_b64 exec, exec, s[0:1]
	s_and_saveexec_b64 s[0:1], s[18:19]
	s_cbranch_execnz .LBB269_133
.LBB269_111:
	s_or_b64 exec, exec, s[0:1]
	s_and_saveexec_b64 s[0:1], s[20:21]
	s_cbranch_execz .LBB269_113
.LBB269_112:
	v_subrev_u32_e32 v1, s8, v16
	v_lshlrev_b32_e32 v1, 2, v1
	ds_write_b32 v1, v19
.LBB269_113:
	s_or_b64 exec, exec, s[0:1]
	v_mov_b32_e32 v1, 0
	v_cmp_gt_u64_e32 vcc, v[10:11], v[0:1]
	s_waitcnt lgkmcnt(0)
	s_barrier
	s_and_saveexec_b64 s[10:11], vcc
	s_cbranch_execz .LBB269_123
; %bb.114:
	v_not_b32_e32 v3, v0
	v_not_b32_e32 v2, 0
	v_add_co_u32_e32 v4, vcc, v10, v3
	v_addc_co_u32_e32 v5, vcc, v11, v2, vcc
	s_mov_b64 s[0:1], 0x5e00
	s_mov_b64 s[2:3], 0x5dff
	v_cmp_gt_u64_e64 s[0:1], s[0:1], v[4:5]
	v_cmp_lt_u64_e32 vcc, s[2:3], v[4:5]
	v_mov_b32_e32 v12, v0
	v_pk_mov_b32 v[2:3], v[0:1], v[0:1] op_sel:[0,1]
	s_and_saveexec_b64 s[12:13], vcc
	s_cbranch_execz .LBB269_120
; %bb.115:
	v_alignbit_b32 v2, v5, v4, 9
	s_mov_b32 s2, 0x7fffff
	s_mov_b32 s4, -1
	v_lshlrev_b32_e32 v3, 9, v2
	v_cmp_lt_u32_e32 vcc, s2, v2
	v_not_b32_e32 v2, v0
	s_movk_i32 s5, 0x1ff
	v_cmp_gt_u32_e64 s[2:3], v3, v2
	v_xor_b32_e32 v2, 0xfffffdff, v0
	v_cmp_lt_u64_e64 s[4:5], s[4:5], v[4:5]
	s_or_b64 s[14:15], s[2:3], vcc
	v_cmp_lt_u32_e64 s[2:3], v2, v3
	s_or_b64 s[4:5], vcc, s[4:5]
	s_or_b64 s[2:3], s[4:5], s[2:3]
	s_or_b64 s[4:5], s[14:15], s[2:3]
	s_mov_b64 s[2:3], -1
	s_xor_b64 s[14:15], s[4:5], -1
	v_mov_b32_e32 v12, v0
	v_pk_mov_b32 v[2:3], v[0:1], v[0:1] op_sel:[0,1]
	s_and_saveexec_b64 s[4:5], s[14:15]
	s_cbranch_execz .LBB269_119
; %bb.116:
	s_lshl_b64 s[2:3], s[8:9], 2
	s_lshl_b64 s[14:15], s[26:27], 2
	s_add_u32 s2, s2, s14
	v_lshrrev_b64 v[2:3], 9, v[4:5]
	s_addc_u32 s3, s3, s15
	v_add_co_u32_e32 v6, vcc, 1, v2
	s_add_u32 s2, s6, s2
	v_addc_co_u32_e32 v7, vcc, 0, v3, vcc
	v_lshlrev_b32_e32 v4, 2, v0
	s_addc_u32 s3, s7, s3
	v_mov_b32_e32 v5, s3
	v_add_co_u32_e32 v4, vcc, s2, v4
	v_addc_co_u32_e32 v5, vcc, 0, v5, vcc
	s_movk_i32 s2, 0x800
	v_or_b32_e32 v2, 0x200, v0
	v_mov_b32_e32 v3, v1
	v_add_co_u32_e32 v12, vcc, s2, v4
	v_and_b32_e32 v8, -2, v6
	v_mov_b32_e32 v9, v7
	v_addc_co_u32_e32 v13, vcc, 0, v5, vcc
	v_pk_mov_b32 v[4:5], v[2:3], v[2:3] op_sel:[0,1]
	s_mov_b64 s[14:15], 0
	v_pk_mov_b32 v[14:15], v[8:9], v[8:9] op_sel:[0,1]
	v_pk_mov_b32 v[2:3], v[0:1], v[0:1] op_sel:[0,1]
.LBB269_117:                            ; =>This Inner Loop Header: Depth=1
	v_lshlrev_b32_e32 v1, 2, v2
	v_lshlrev_b32_e32 v16, 2, v4
	ds_read_b32 v1, v1
	ds_read_b32 v16, v16
	v_add_co_u32_e32 v4, vcc, 0x400, v4
	v_addc_co_u32_e32 v5, vcc, 0, v5, vcc
	v_add_co_u32_e64 v14, s[2:3], -2, v14
	v_add_co_u32_e32 v2, vcc, 0x400, v2
	v_addc_co_u32_e64 v15, s[2:3], -1, v15, s[2:3]
	v_addc_co_u32_e32 v3, vcc, 0, v3, vcc
	v_cmp_eq_u64_e64 s[2:3], 0, v[14:15]
	s_waitcnt lgkmcnt(1)
	global_store_dword v[12:13], v1, off offset:-2048
	s_waitcnt lgkmcnt(0)
	global_store_dword v[12:13], v16, off
	v_add_co_u32_e32 v12, vcc, 0x1000, v12
	s_or_b64 s[14:15], s[2:3], s[14:15]
	v_addc_co_u32_e32 v13, vcc, 0, v13, vcc
	s_andn2_b64 exec, exec, s[14:15]
	s_cbranch_execnz .LBB269_117
; %bb.118:
	s_or_b64 exec, exec, s[14:15]
	v_lshlrev_b64 v[2:3], 9, v[8:9]
	v_cmp_ne_u64_e32 vcc, v[6:7], v[8:9]
	v_or_b32_e32 v3, 0, v3
	v_or_b32_e32 v2, v2, v0
	v_lshl_or_b32 v12, v8, 9, v0
	s_orn2_b64 s[2:3], vcc, exec
.LBB269_119:
	s_or_b64 exec, exec, s[4:5]
	s_andn2_b64 s[0:1], s[0:1], exec
	s_and_b64 s[2:3], s[2:3], exec
	s_or_b64 s[0:1], s[0:1], s[2:3]
.LBB269_120:
	s_or_b64 exec, exec, s[12:13]
	s_and_b64 exec, exec, s[0:1]
	s_cbranch_execz .LBB269_123
; %bb.121:
	s_lshl_b64 s[0:1], s[8:9], 2
	s_add_u32 s2, s6, s0
	s_addc_u32 s3, s7, s1
	s_lshl_b64 s[0:1], s[26:27], 2
	s_add_u32 s4, s2, s0
	s_addc_u32 s0, s3, s1
	v_add_u32_e32 v4, 0x200, v12
	s_mov_b64 s[2:3], 0
	v_mov_b32_e32 v1, s0
	v_mov_b32_e32 v5, 0
.LBB269_122:                            ; =>This Inner Loop Header: Depth=1
	v_lshlrev_b32_e32 v8, 2, v2
	ds_read_b32 v8, v8
	v_lshlrev_b64 v[6:7], 2, v[2:3]
	v_cmp_le_u64_e32 vcc, v[10:11], v[4:5]
	v_add_co_u32_e64 v6, s[0:1], s4, v6
	v_pk_mov_b32 v[2:3], v[4:5], v[4:5] op_sel:[0,1]
	v_add_u32_e32 v4, 0x200, v4
	v_addc_co_u32_e64 v7, s[0:1], v1, v7, s[0:1]
	s_or_b64 s[2:3], vcc, s[2:3]
	s_waitcnt lgkmcnt(0)
	global_store_dword v[6:7], v8, off
	s_andn2_b64 exec, exec, s[2:3]
	s_cbranch_execnz .LBB269_122
.LBB269_123:
	s_or_b64 exec, exec, s[10:11]
	v_cmp_eq_u32_e32 vcc, 0, v0
	s_and_b64 s[0:1], vcc, s[28:29]
	s_and_saveexec_b64 s[2:3], s[0:1]
	s_cbranch_execz .LBB269_80
.LBB269_124:
	v_mov_b32_e32 v0, s9
	v_add_co_u32_e32 v1, vcc, s8, v10
	v_addc_co_u32_e32 v3, vcc, v0, v11, vcc
	v_mov_b32_e32 v4, s27
	v_add_co_u32_e32 v0, vcc, s26, v1
	v_mov_b32_e32 v2, 0
	v_addc_co_u32_e32 v1, vcc, v3, v4, vcc
	global_store_dwordx2 v2, v[0:1], s[24:25]
	s_endpgm
.LBB269_125:
	v_subrev_u32_e32 v1, s8, v54
	v_lshlrev_b32_e32 v1, 2, v1
	ds_write_b32 v1, v6
	s_or_b64 exec, exec, s[0:1]
	s_and_saveexec_b64 s[0:1], s[42:43]
	s_cbranch_execz .LBB269_104
.LBB269_126:
	v_subrev_u32_e32 v1, s8, v52
	v_lshlrev_b32_e32 v1, 2, v1
	ds_write_b32 v1, v7
	s_or_b64 exec, exec, s[0:1]
	s_and_saveexec_b64 s[0:1], s[22:23]
	s_cbranch_execz .LBB269_105
.LBB269_127:
	v_subrev_u32_e32 v1, s8, v50
	v_lshlrev_b32_e32 v1, 2, v1
	ds_write_b32 v1, v8
	s_or_b64 exec, exec, s[0:1]
	s_and_saveexec_b64 s[0:1], s[40:41]
	s_cbranch_execz .LBB269_106
.LBB269_128:
	v_subrev_u32_e32 v1, s8, v48
	v_lshlrev_b32_e32 v1, 2, v1
	ds_write_b32 v1, v9
	s_or_b64 exec, exec, s[0:1]
	s_and_saveexec_b64 s[0:1], s[38:39]
	s_cbranch_execz .LBB269_107
.LBB269_129:
	v_subrev_u32_e32 v1, s8, v46
	v_lshlrev_b32_e32 v1, 2, v1
	ds_write_b32 v1, v2
	s_or_b64 exec, exec, s[0:1]
	s_and_saveexec_b64 s[0:1], s[36:37]
	s_cbranch_execz .LBB269_108
.LBB269_130:
	v_subrev_u32_e32 v1, s8, v44
	v_lshlrev_b32_e32 v1, 2, v1
	ds_write_b32 v1, v3
	s_or_b64 exec, exec, s[0:1]
	s_and_saveexec_b64 s[0:1], s[34:35]
	s_cbranch_execz .LBB269_109
.LBB269_131:
	v_subrev_u32_e32 v1, s8, v42
	v_lshlrev_b32_e32 v1, 2, v1
	ds_write_b32 v1, v4
	s_or_b64 exec, exec, s[0:1]
	s_and_saveexec_b64 s[0:1], s[16:17]
	s_cbranch_execz .LBB269_110
.LBB269_132:
	v_subrev_u32_e32 v1, s8, v40
	v_lshlrev_b32_e32 v1, 2, v1
	ds_write_b32 v1, v5
	s_or_b64 exec, exec, s[0:1]
	s_and_saveexec_b64 s[0:1], s[18:19]
	s_cbranch_execz .LBB269_111
.LBB269_133:
	v_subrev_u32_e32 v1, s8, v14
	v_lshlrev_b32_e32 v1, 2, v1
	ds_write_b32 v1, v18
	s_or_b64 exec, exec, s[0:1]
	s_and_saveexec_b64 s[0:1], s[20:21]
	s_cbranch_execnz .LBB269_112
	s_branch .LBB269_113
	.section	.rodata,"a",@progbits
	.p2align	6, 0x0
	.amdhsa_kernel _ZN7rocprim17ROCPRIM_400000_NS6detail17trampoline_kernelINS0_14default_configENS1_25partition_config_selectorILNS1_17partition_subalgoE6EiNS0_10empty_typeEbEEZZNS1_14partition_implILS5_6ELb0ES3_mPiPS6_SA_NS0_5tupleIJS9_S6_EEENSB_IJSA_SA_EEES6_PlJN6thrust23THRUST_200600_302600_NS6detail9not_fun_tINSH_10functional5actorINSJ_9compositeIJNSJ_27transparent_binary_operatorINSG_8equal_toIvEEEENSK_INSJ_8argumentILj0EEEEENSJ_5valueIiEEEEEEEEEEEE10hipError_tPvRmT3_T4_T5_T6_T7_T9_mT8_P12ihipStream_tbDpT10_ENKUlT_T0_E_clISt17integral_constantIbLb1EES1G_IbLb0EEEEDaS1C_S1D_EUlS1C_E_NS1_11comp_targetILNS1_3genE4ELNS1_11target_archE910ELNS1_3gpuE8ELNS1_3repE0EEENS1_30default_config_static_selectorELNS0_4arch9wavefront6targetE1EEEvT1_
		.amdhsa_group_segment_fixed_size 20496
		.amdhsa_private_segment_fixed_size 0
		.amdhsa_kernarg_size 120
		.amdhsa_user_sgpr_count 6
		.amdhsa_user_sgpr_private_segment_buffer 1
		.amdhsa_user_sgpr_dispatch_ptr 0
		.amdhsa_user_sgpr_queue_ptr 0
		.amdhsa_user_sgpr_kernarg_segment_ptr 1
		.amdhsa_user_sgpr_dispatch_id 0
		.amdhsa_user_sgpr_flat_scratch_init 0
		.amdhsa_user_sgpr_kernarg_preload_length 0
		.amdhsa_user_sgpr_kernarg_preload_offset 0
		.amdhsa_user_sgpr_private_segment_size 0
		.amdhsa_uses_dynamic_stack 0
		.amdhsa_system_sgpr_private_segment_wavefront_offset 0
		.amdhsa_system_sgpr_workgroup_id_x 1
		.amdhsa_system_sgpr_workgroup_id_y 0
		.amdhsa_system_sgpr_workgroup_id_z 0
		.amdhsa_system_sgpr_workgroup_info 0
		.amdhsa_system_vgpr_workitem_id 0
		.amdhsa_next_free_vgpr 61
		.amdhsa_next_free_sgpr 56
		.amdhsa_accum_offset 64
		.amdhsa_reserve_vcc 1
		.amdhsa_reserve_flat_scratch 0
		.amdhsa_float_round_mode_32 0
		.amdhsa_float_round_mode_16_64 0
		.amdhsa_float_denorm_mode_32 3
		.amdhsa_float_denorm_mode_16_64 3
		.amdhsa_dx10_clamp 1
		.amdhsa_ieee_mode 1
		.amdhsa_fp16_overflow 0
		.amdhsa_tg_split 0
		.amdhsa_exception_fp_ieee_invalid_op 0
		.amdhsa_exception_fp_denorm_src 0
		.amdhsa_exception_fp_ieee_div_zero 0
		.amdhsa_exception_fp_ieee_overflow 0
		.amdhsa_exception_fp_ieee_underflow 0
		.amdhsa_exception_fp_ieee_inexact 0
		.amdhsa_exception_int_div_zero 0
	.end_amdhsa_kernel
	.section	.text._ZN7rocprim17ROCPRIM_400000_NS6detail17trampoline_kernelINS0_14default_configENS1_25partition_config_selectorILNS1_17partition_subalgoE6EiNS0_10empty_typeEbEEZZNS1_14partition_implILS5_6ELb0ES3_mPiPS6_SA_NS0_5tupleIJS9_S6_EEENSB_IJSA_SA_EEES6_PlJN6thrust23THRUST_200600_302600_NS6detail9not_fun_tINSH_10functional5actorINSJ_9compositeIJNSJ_27transparent_binary_operatorINSG_8equal_toIvEEEENSK_INSJ_8argumentILj0EEEEENSJ_5valueIiEEEEEEEEEEEE10hipError_tPvRmT3_T4_T5_T6_T7_T9_mT8_P12ihipStream_tbDpT10_ENKUlT_T0_E_clISt17integral_constantIbLb1EES1G_IbLb0EEEEDaS1C_S1D_EUlS1C_E_NS1_11comp_targetILNS1_3genE4ELNS1_11target_archE910ELNS1_3gpuE8ELNS1_3repE0EEENS1_30default_config_static_selectorELNS0_4arch9wavefront6targetE1EEEvT1_,"axG",@progbits,_ZN7rocprim17ROCPRIM_400000_NS6detail17trampoline_kernelINS0_14default_configENS1_25partition_config_selectorILNS1_17partition_subalgoE6EiNS0_10empty_typeEbEEZZNS1_14partition_implILS5_6ELb0ES3_mPiPS6_SA_NS0_5tupleIJS9_S6_EEENSB_IJSA_SA_EEES6_PlJN6thrust23THRUST_200600_302600_NS6detail9not_fun_tINSH_10functional5actorINSJ_9compositeIJNSJ_27transparent_binary_operatorINSG_8equal_toIvEEEENSK_INSJ_8argumentILj0EEEEENSJ_5valueIiEEEEEEEEEEEE10hipError_tPvRmT3_T4_T5_T6_T7_T9_mT8_P12ihipStream_tbDpT10_ENKUlT_T0_E_clISt17integral_constantIbLb1EES1G_IbLb0EEEEDaS1C_S1D_EUlS1C_E_NS1_11comp_targetILNS1_3genE4ELNS1_11target_archE910ELNS1_3gpuE8ELNS1_3repE0EEENS1_30default_config_static_selectorELNS0_4arch9wavefront6targetE1EEEvT1_,comdat
.Lfunc_end269:
	.size	_ZN7rocprim17ROCPRIM_400000_NS6detail17trampoline_kernelINS0_14default_configENS1_25partition_config_selectorILNS1_17partition_subalgoE6EiNS0_10empty_typeEbEEZZNS1_14partition_implILS5_6ELb0ES3_mPiPS6_SA_NS0_5tupleIJS9_S6_EEENSB_IJSA_SA_EEES6_PlJN6thrust23THRUST_200600_302600_NS6detail9not_fun_tINSH_10functional5actorINSJ_9compositeIJNSJ_27transparent_binary_operatorINSG_8equal_toIvEEEENSK_INSJ_8argumentILj0EEEEENSJ_5valueIiEEEEEEEEEEEE10hipError_tPvRmT3_T4_T5_T6_T7_T9_mT8_P12ihipStream_tbDpT10_ENKUlT_T0_E_clISt17integral_constantIbLb1EES1G_IbLb0EEEEDaS1C_S1D_EUlS1C_E_NS1_11comp_targetILNS1_3genE4ELNS1_11target_archE910ELNS1_3gpuE8ELNS1_3repE0EEENS1_30default_config_static_selectorELNS0_4arch9wavefront6targetE1EEEvT1_, .Lfunc_end269-_ZN7rocprim17ROCPRIM_400000_NS6detail17trampoline_kernelINS0_14default_configENS1_25partition_config_selectorILNS1_17partition_subalgoE6EiNS0_10empty_typeEbEEZZNS1_14partition_implILS5_6ELb0ES3_mPiPS6_SA_NS0_5tupleIJS9_S6_EEENSB_IJSA_SA_EEES6_PlJN6thrust23THRUST_200600_302600_NS6detail9not_fun_tINSH_10functional5actorINSJ_9compositeIJNSJ_27transparent_binary_operatorINSG_8equal_toIvEEEENSK_INSJ_8argumentILj0EEEEENSJ_5valueIiEEEEEEEEEEEE10hipError_tPvRmT3_T4_T5_T6_T7_T9_mT8_P12ihipStream_tbDpT10_ENKUlT_T0_E_clISt17integral_constantIbLb1EES1G_IbLb0EEEEDaS1C_S1D_EUlS1C_E_NS1_11comp_targetILNS1_3genE4ELNS1_11target_archE910ELNS1_3gpuE8ELNS1_3repE0EEENS1_30default_config_static_selectorELNS0_4arch9wavefront6targetE1EEEvT1_
                                        ; -- End function
	.section	.AMDGPU.csdata,"",@progbits
; Kernel info:
; codeLenInByte = 7000
; NumSgprs: 60
; NumVgprs: 61
; NumAgprs: 0
; TotalNumVgprs: 61
; ScratchSize: 0
; MemoryBound: 0
; FloatMode: 240
; IeeeMode: 1
; LDSByteSize: 20496 bytes/workgroup (compile time only)
; SGPRBlocks: 7
; VGPRBlocks: 7
; NumSGPRsForWavesPerEU: 60
; NumVGPRsForWavesPerEU: 61
; AccumOffset: 64
; Occupancy: 6
; WaveLimiterHint : 1
; COMPUTE_PGM_RSRC2:SCRATCH_EN: 0
; COMPUTE_PGM_RSRC2:USER_SGPR: 6
; COMPUTE_PGM_RSRC2:TRAP_HANDLER: 0
; COMPUTE_PGM_RSRC2:TGID_X_EN: 1
; COMPUTE_PGM_RSRC2:TGID_Y_EN: 0
; COMPUTE_PGM_RSRC2:TGID_Z_EN: 0
; COMPUTE_PGM_RSRC2:TIDIG_COMP_CNT: 0
; COMPUTE_PGM_RSRC3_GFX90A:ACCUM_OFFSET: 15
; COMPUTE_PGM_RSRC3_GFX90A:TG_SPLIT: 0
	.section	.text._ZN7rocprim17ROCPRIM_400000_NS6detail17trampoline_kernelINS0_14default_configENS1_25partition_config_selectorILNS1_17partition_subalgoE6EiNS0_10empty_typeEbEEZZNS1_14partition_implILS5_6ELb0ES3_mPiPS6_SA_NS0_5tupleIJS9_S6_EEENSB_IJSA_SA_EEES6_PlJN6thrust23THRUST_200600_302600_NS6detail9not_fun_tINSH_10functional5actorINSJ_9compositeIJNSJ_27transparent_binary_operatorINSG_8equal_toIvEEEENSK_INSJ_8argumentILj0EEEEENSJ_5valueIiEEEEEEEEEEEE10hipError_tPvRmT3_T4_T5_T6_T7_T9_mT8_P12ihipStream_tbDpT10_ENKUlT_T0_E_clISt17integral_constantIbLb1EES1G_IbLb0EEEEDaS1C_S1D_EUlS1C_E_NS1_11comp_targetILNS1_3genE3ELNS1_11target_archE908ELNS1_3gpuE7ELNS1_3repE0EEENS1_30default_config_static_selectorELNS0_4arch9wavefront6targetE1EEEvT1_,"axG",@progbits,_ZN7rocprim17ROCPRIM_400000_NS6detail17trampoline_kernelINS0_14default_configENS1_25partition_config_selectorILNS1_17partition_subalgoE6EiNS0_10empty_typeEbEEZZNS1_14partition_implILS5_6ELb0ES3_mPiPS6_SA_NS0_5tupleIJS9_S6_EEENSB_IJSA_SA_EEES6_PlJN6thrust23THRUST_200600_302600_NS6detail9not_fun_tINSH_10functional5actorINSJ_9compositeIJNSJ_27transparent_binary_operatorINSG_8equal_toIvEEEENSK_INSJ_8argumentILj0EEEEENSJ_5valueIiEEEEEEEEEEEE10hipError_tPvRmT3_T4_T5_T6_T7_T9_mT8_P12ihipStream_tbDpT10_ENKUlT_T0_E_clISt17integral_constantIbLb1EES1G_IbLb0EEEEDaS1C_S1D_EUlS1C_E_NS1_11comp_targetILNS1_3genE3ELNS1_11target_archE908ELNS1_3gpuE7ELNS1_3repE0EEENS1_30default_config_static_selectorELNS0_4arch9wavefront6targetE1EEEvT1_,comdat
	.protected	_ZN7rocprim17ROCPRIM_400000_NS6detail17trampoline_kernelINS0_14default_configENS1_25partition_config_selectorILNS1_17partition_subalgoE6EiNS0_10empty_typeEbEEZZNS1_14partition_implILS5_6ELb0ES3_mPiPS6_SA_NS0_5tupleIJS9_S6_EEENSB_IJSA_SA_EEES6_PlJN6thrust23THRUST_200600_302600_NS6detail9not_fun_tINSH_10functional5actorINSJ_9compositeIJNSJ_27transparent_binary_operatorINSG_8equal_toIvEEEENSK_INSJ_8argumentILj0EEEEENSJ_5valueIiEEEEEEEEEEEE10hipError_tPvRmT3_T4_T5_T6_T7_T9_mT8_P12ihipStream_tbDpT10_ENKUlT_T0_E_clISt17integral_constantIbLb1EES1G_IbLb0EEEEDaS1C_S1D_EUlS1C_E_NS1_11comp_targetILNS1_3genE3ELNS1_11target_archE908ELNS1_3gpuE7ELNS1_3repE0EEENS1_30default_config_static_selectorELNS0_4arch9wavefront6targetE1EEEvT1_ ; -- Begin function _ZN7rocprim17ROCPRIM_400000_NS6detail17trampoline_kernelINS0_14default_configENS1_25partition_config_selectorILNS1_17partition_subalgoE6EiNS0_10empty_typeEbEEZZNS1_14partition_implILS5_6ELb0ES3_mPiPS6_SA_NS0_5tupleIJS9_S6_EEENSB_IJSA_SA_EEES6_PlJN6thrust23THRUST_200600_302600_NS6detail9not_fun_tINSH_10functional5actorINSJ_9compositeIJNSJ_27transparent_binary_operatorINSG_8equal_toIvEEEENSK_INSJ_8argumentILj0EEEEENSJ_5valueIiEEEEEEEEEEEE10hipError_tPvRmT3_T4_T5_T6_T7_T9_mT8_P12ihipStream_tbDpT10_ENKUlT_T0_E_clISt17integral_constantIbLb1EES1G_IbLb0EEEEDaS1C_S1D_EUlS1C_E_NS1_11comp_targetILNS1_3genE3ELNS1_11target_archE908ELNS1_3gpuE7ELNS1_3repE0EEENS1_30default_config_static_selectorELNS0_4arch9wavefront6targetE1EEEvT1_
	.globl	_ZN7rocprim17ROCPRIM_400000_NS6detail17trampoline_kernelINS0_14default_configENS1_25partition_config_selectorILNS1_17partition_subalgoE6EiNS0_10empty_typeEbEEZZNS1_14partition_implILS5_6ELb0ES3_mPiPS6_SA_NS0_5tupleIJS9_S6_EEENSB_IJSA_SA_EEES6_PlJN6thrust23THRUST_200600_302600_NS6detail9not_fun_tINSH_10functional5actorINSJ_9compositeIJNSJ_27transparent_binary_operatorINSG_8equal_toIvEEEENSK_INSJ_8argumentILj0EEEEENSJ_5valueIiEEEEEEEEEEEE10hipError_tPvRmT3_T4_T5_T6_T7_T9_mT8_P12ihipStream_tbDpT10_ENKUlT_T0_E_clISt17integral_constantIbLb1EES1G_IbLb0EEEEDaS1C_S1D_EUlS1C_E_NS1_11comp_targetILNS1_3genE3ELNS1_11target_archE908ELNS1_3gpuE7ELNS1_3repE0EEENS1_30default_config_static_selectorELNS0_4arch9wavefront6targetE1EEEvT1_
	.p2align	8
	.type	_ZN7rocprim17ROCPRIM_400000_NS6detail17trampoline_kernelINS0_14default_configENS1_25partition_config_selectorILNS1_17partition_subalgoE6EiNS0_10empty_typeEbEEZZNS1_14partition_implILS5_6ELb0ES3_mPiPS6_SA_NS0_5tupleIJS9_S6_EEENSB_IJSA_SA_EEES6_PlJN6thrust23THRUST_200600_302600_NS6detail9not_fun_tINSH_10functional5actorINSJ_9compositeIJNSJ_27transparent_binary_operatorINSG_8equal_toIvEEEENSK_INSJ_8argumentILj0EEEEENSJ_5valueIiEEEEEEEEEEEE10hipError_tPvRmT3_T4_T5_T6_T7_T9_mT8_P12ihipStream_tbDpT10_ENKUlT_T0_E_clISt17integral_constantIbLb1EES1G_IbLb0EEEEDaS1C_S1D_EUlS1C_E_NS1_11comp_targetILNS1_3genE3ELNS1_11target_archE908ELNS1_3gpuE7ELNS1_3repE0EEENS1_30default_config_static_selectorELNS0_4arch9wavefront6targetE1EEEvT1_,@function
_ZN7rocprim17ROCPRIM_400000_NS6detail17trampoline_kernelINS0_14default_configENS1_25partition_config_selectorILNS1_17partition_subalgoE6EiNS0_10empty_typeEbEEZZNS1_14partition_implILS5_6ELb0ES3_mPiPS6_SA_NS0_5tupleIJS9_S6_EEENSB_IJSA_SA_EEES6_PlJN6thrust23THRUST_200600_302600_NS6detail9not_fun_tINSH_10functional5actorINSJ_9compositeIJNSJ_27transparent_binary_operatorINSG_8equal_toIvEEEENSK_INSJ_8argumentILj0EEEEENSJ_5valueIiEEEEEEEEEEEE10hipError_tPvRmT3_T4_T5_T6_T7_T9_mT8_P12ihipStream_tbDpT10_ENKUlT_T0_E_clISt17integral_constantIbLb1EES1G_IbLb0EEEEDaS1C_S1D_EUlS1C_E_NS1_11comp_targetILNS1_3genE3ELNS1_11target_archE908ELNS1_3gpuE7ELNS1_3repE0EEENS1_30default_config_static_selectorELNS0_4arch9wavefront6targetE1EEEvT1_: ; @_ZN7rocprim17ROCPRIM_400000_NS6detail17trampoline_kernelINS0_14default_configENS1_25partition_config_selectorILNS1_17partition_subalgoE6EiNS0_10empty_typeEbEEZZNS1_14partition_implILS5_6ELb0ES3_mPiPS6_SA_NS0_5tupleIJS9_S6_EEENSB_IJSA_SA_EEES6_PlJN6thrust23THRUST_200600_302600_NS6detail9not_fun_tINSH_10functional5actorINSJ_9compositeIJNSJ_27transparent_binary_operatorINSG_8equal_toIvEEEENSK_INSJ_8argumentILj0EEEEENSJ_5valueIiEEEEEEEEEEEE10hipError_tPvRmT3_T4_T5_T6_T7_T9_mT8_P12ihipStream_tbDpT10_ENKUlT_T0_E_clISt17integral_constantIbLb1EES1G_IbLb0EEEEDaS1C_S1D_EUlS1C_E_NS1_11comp_targetILNS1_3genE3ELNS1_11target_archE908ELNS1_3gpuE7ELNS1_3repE0EEENS1_30default_config_static_selectorELNS0_4arch9wavefront6targetE1EEEvT1_
; %bb.0:
	.section	.rodata,"a",@progbits
	.p2align	6, 0x0
	.amdhsa_kernel _ZN7rocprim17ROCPRIM_400000_NS6detail17trampoline_kernelINS0_14default_configENS1_25partition_config_selectorILNS1_17partition_subalgoE6EiNS0_10empty_typeEbEEZZNS1_14partition_implILS5_6ELb0ES3_mPiPS6_SA_NS0_5tupleIJS9_S6_EEENSB_IJSA_SA_EEES6_PlJN6thrust23THRUST_200600_302600_NS6detail9not_fun_tINSH_10functional5actorINSJ_9compositeIJNSJ_27transparent_binary_operatorINSG_8equal_toIvEEEENSK_INSJ_8argumentILj0EEEEENSJ_5valueIiEEEEEEEEEEEE10hipError_tPvRmT3_T4_T5_T6_T7_T9_mT8_P12ihipStream_tbDpT10_ENKUlT_T0_E_clISt17integral_constantIbLb1EES1G_IbLb0EEEEDaS1C_S1D_EUlS1C_E_NS1_11comp_targetILNS1_3genE3ELNS1_11target_archE908ELNS1_3gpuE7ELNS1_3repE0EEENS1_30default_config_static_selectorELNS0_4arch9wavefront6targetE1EEEvT1_
		.amdhsa_group_segment_fixed_size 0
		.amdhsa_private_segment_fixed_size 0
		.amdhsa_kernarg_size 120
		.amdhsa_user_sgpr_count 6
		.amdhsa_user_sgpr_private_segment_buffer 1
		.amdhsa_user_sgpr_dispatch_ptr 0
		.amdhsa_user_sgpr_queue_ptr 0
		.amdhsa_user_sgpr_kernarg_segment_ptr 1
		.amdhsa_user_sgpr_dispatch_id 0
		.amdhsa_user_sgpr_flat_scratch_init 0
		.amdhsa_user_sgpr_kernarg_preload_length 0
		.amdhsa_user_sgpr_kernarg_preload_offset 0
		.amdhsa_user_sgpr_private_segment_size 0
		.amdhsa_uses_dynamic_stack 0
		.amdhsa_system_sgpr_private_segment_wavefront_offset 0
		.amdhsa_system_sgpr_workgroup_id_x 1
		.amdhsa_system_sgpr_workgroup_id_y 0
		.amdhsa_system_sgpr_workgroup_id_z 0
		.amdhsa_system_sgpr_workgroup_info 0
		.amdhsa_system_vgpr_workitem_id 0
		.amdhsa_next_free_vgpr 1
		.amdhsa_next_free_sgpr 0
		.amdhsa_accum_offset 4
		.amdhsa_reserve_vcc 0
		.amdhsa_reserve_flat_scratch 0
		.amdhsa_float_round_mode_32 0
		.amdhsa_float_round_mode_16_64 0
		.amdhsa_float_denorm_mode_32 3
		.amdhsa_float_denorm_mode_16_64 3
		.amdhsa_dx10_clamp 1
		.amdhsa_ieee_mode 1
		.amdhsa_fp16_overflow 0
		.amdhsa_tg_split 0
		.amdhsa_exception_fp_ieee_invalid_op 0
		.amdhsa_exception_fp_denorm_src 0
		.amdhsa_exception_fp_ieee_div_zero 0
		.amdhsa_exception_fp_ieee_overflow 0
		.amdhsa_exception_fp_ieee_underflow 0
		.amdhsa_exception_fp_ieee_inexact 0
		.amdhsa_exception_int_div_zero 0
	.end_amdhsa_kernel
	.section	.text._ZN7rocprim17ROCPRIM_400000_NS6detail17trampoline_kernelINS0_14default_configENS1_25partition_config_selectorILNS1_17partition_subalgoE6EiNS0_10empty_typeEbEEZZNS1_14partition_implILS5_6ELb0ES3_mPiPS6_SA_NS0_5tupleIJS9_S6_EEENSB_IJSA_SA_EEES6_PlJN6thrust23THRUST_200600_302600_NS6detail9not_fun_tINSH_10functional5actorINSJ_9compositeIJNSJ_27transparent_binary_operatorINSG_8equal_toIvEEEENSK_INSJ_8argumentILj0EEEEENSJ_5valueIiEEEEEEEEEEEE10hipError_tPvRmT3_T4_T5_T6_T7_T9_mT8_P12ihipStream_tbDpT10_ENKUlT_T0_E_clISt17integral_constantIbLb1EES1G_IbLb0EEEEDaS1C_S1D_EUlS1C_E_NS1_11comp_targetILNS1_3genE3ELNS1_11target_archE908ELNS1_3gpuE7ELNS1_3repE0EEENS1_30default_config_static_selectorELNS0_4arch9wavefront6targetE1EEEvT1_,"axG",@progbits,_ZN7rocprim17ROCPRIM_400000_NS6detail17trampoline_kernelINS0_14default_configENS1_25partition_config_selectorILNS1_17partition_subalgoE6EiNS0_10empty_typeEbEEZZNS1_14partition_implILS5_6ELb0ES3_mPiPS6_SA_NS0_5tupleIJS9_S6_EEENSB_IJSA_SA_EEES6_PlJN6thrust23THRUST_200600_302600_NS6detail9not_fun_tINSH_10functional5actorINSJ_9compositeIJNSJ_27transparent_binary_operatorINSG_8equal_toIvEEEENSK_INSJ_8argumentILj0EEEEENSJ_5valueIiEEEEEEEEEEEE10hipError_tPvRmT3_T4_T5_T6_T7_T9_mT8_P12ihipStream_tbDpT10_ENKUlT_T0_E_clISt17integral_constantIbLb1EES1G_IbLb0EEEEDaS1C_S1D_EUlS1C_E_NS1_11comp_targetILNS1_3genE3ELNS1_11target_archE908ELNS1_3gpuE7ELNS1_3repE0EEENS1_30default_config_static_selectorELNS0_4arch9wavefront6targetE1EEEvT1_,comdat
.Lfunc_end270:
	.size	_ZN7rocprim17ROCPRIM_400000_NS6detail17trampoline_kernelINS0_14default_configENS1_25partition_config_selectorILNS1_17partition_subalgoE6EiNS0_10empty_typeEbEEZZNS1_14partition_implILS5_6ELb0ES3_mPiPS6_SA_NS0_5tupleIJS9_S6_EEENSB_IJSA_SA_EEES6_PlJN6thrust23THRUST_200600_302600_NS6detail9not_fun_tINSH_10functional5actorINSJ_9compositeIJNSJ_27transparent_binary_operatorINSG_8equal_toIvEEEENSK_INSJ_8argumentILj0EEEEENSJ_5valueIiEEEEEEEEEEEE10hipError_tPvRmT3_T4_T5_T6_T7_T9_mT8_P12ihipStream_tbDpT10_ENKUlT_T0_E_clISt17integral_constantIbLb1EES1G_IbLb0EEEEDaS1C_S1D_EUlS1C_E_NS1_11comp_targetILNS1_3genE3ELNS1_11target_archE908ELNS1_3gpuE7ELNS1_3repE0EEENS1_30default_config_static_selectorELNS0_4arch9wavefront6targetE1EEEvT1_, .Lfunc_end270-_ZN7rocprim17ROCPRIM_400000_NS6detail17trampoline_kernelINS0_14default_configENS1_25partition_config_selectorILNS1_17partition_subalgoE6EiNS0_10empty_typeEbEEZZNS1_14partition_implILS5_6ELb0ES3_mPiPS6_SA_NS0_5tupleIJS9_S6_EEENSB_IJSA_SA_EEES6_PlJN6thrust23THRUST_200600_302600_NS6detail9not_fun_tINSH_10functional5actorINSJ_9compositeIJNSJ_27transparent_binary_operatorINSG_8equal_toIvEEEENSK_INSJ_8argumentILj0EEEEENSJ_5valueIiEEEEEEEEEEEE10hipError_tPvRmT3_T4_T5_T6_T7_T9_mT8_P12ihipStream_tbDpT10_ENKUlT_T0_E_clISt17integral_constantIbLb1EES1G_IbLb0EEEEDaS1C_S1D_EUlS1C_E_NS1_11comp_targetILNS1_3genE3ELNS1_11target_archE908ELNS1_3gpuE7ELNS1_3repE0EEENS1_30default_config_static_selectorELNS0_4arch9wavefront6targetE1EEEvT1_
                                        ; -- End function
	.section	.AMDGPU.csdata,"",@progbits
; Kernel info:
; codeLenInByte = 0
; NumSgprs: 4
; NumVgprs: 0
; NumAgprs: 0
; TotalNumVgprs: 0
; ScratchSize: 0
; MemoryBound: 0
; FloatMode: 240
; IeeeMode: 1
; LDSByteSize: 0 bytes/workgroup (compile time only)
; SGPRBlocks: 0
; VGPRBlocks: 0
; NumSGPRsForWavesPerEU: 4
; NumVGPRsForWavesPerEU: 1
; AccumOffset: 4
; Occupancy: 8
; WaveLimiterHint : 0
; COMPUTE_PGM_RSRC2:SCRATCH_EN: 0
; COMPUTE_PGM_RSRC2:USER_SGPR: 6
; COMPUTE_PGM_RSRC2:TRAP_HANDLER: 0
; COMPUTE_PGM_RSRC2:TGID_X_EN: 1
; COMPUTE_PGM_RSRC2:TGID_Y_EN: 0
; COMPUTE_PGM_RSRC2:TGID_Z_EN: 0
; COMPUTE_PGM_RSRC2:TIDIG_COMP_CNT: 0
; COMPUTE_PGM_RSRC3_GFX90A:ACCUM_OFFSET: 0
; COMPUTE_PGM_RSRC3_GFX90A:TG_SPLIT: 0
	.section	.text._ZN7rocprim17ROCPRIM_400000_NS6detail17trampoline_kernelINS0_14default_configENS1_25partition_config_selectorILNS1_17partition_subalgoE6EiNS0_10empty_typeEbEEZZNS1_14partition_implILS5_6ELb0ES3_mPiPS6_SA_NS0_5tupleIJS9_S6_EEENSB_IJSA_SA_EEES6_PlJN6thrust23THRUST_200600_302600_NS6detail9not_fun_tINSH_10functional5actorINSJ_9compositeIJNSJ_27transparent_binary_operatorINSG_8equal_toIvEEEENSK_INSJ_8argumentILj0EEEEENSJ_5valueIiEEEEEEEEEEEE10hipError_tPvRmT3_T4_T5_T6_T7_T9_mT8_P12ihipStream_tbDpT10_ENKUlT_T0_E_clISt17integral_constantIbLb1EES1G_IbLb0EEEEDaS1C_S1D_EUlS1C_E_NS1_11comp_targetILNS1_3genE2ELNS1_11target_archE906ELNS1_3gpuE6ELNS1_3repE0EEENS1_30default_config_static_selectorELNS0_4arch9wavefront6targetE1EEEvT1_,"axG",@progbits,_ZN7rocprim17ROCPRIM_400000_NS6detail17trampoline_kernelINS0_14default_configENS1_25partition_config_selectorILNS1_17partition_subalgoE6EiNS0_10empty_typeEbEEZZNS1_14partition_implILS5_6ELb0ES3_mPiPS6_SA_NS0_5tupleIJS9_S6_EEENSB_IJSA_SA_EEES6_PlJN6thrust23THRUST_200600_302600_NS6detail9not_fun_tINSH_10functional5actorINSJ_9compositeIJNSJ_27transparent_binary_operatorINSG_8equal_toIvEEEENSK_INSJ_8argumentILj0EEEEENSJ_5valueIiEEEEEEEEEEEE10hipError_tPvRmT3_T4_T5_T6_T7_T9_mT8_P12ihipStream_tbDpT10_ENKUlT_T0_E_clISt17integral_constantIbLb1EES1G_IbLb0EEEEDaS1C_S1D_EUlS1C_E_NS1_11comp_targetILNS1_3genE2ELNS1_11target_archE906ELNS1_3gpuE6ELNS1_3repE0EEENS1_30default_config_static_selectorELNS0_4arch9wavefront6targetE1EEEvT1_,comdat
	.protected	_ZN7rocprim17ROCPRIM_400000_NS6detail17trampoline_kernelINS0_14default_configENS1_25partition_config_selectorILNS1_17partition_subalgoE6EiNS0_10empty_typeEbEEZZNS1_14partition_implILS5_6ELb0ES3_mPiPS6_SA_NS0_5tupleIJS9_S6_EEENSB_IJSA_SA_EEES6_PlJN6thrust23THRUST_200600_302600_NS6detail9not_fun_tINSH_10functional5actorINSJ_9compositeIJNSJ_27transparent_binary_operatorINSG_8equal_toIvEEEENSK_INSJ_8argumentILj0EEEEENSJ_5valueIiEEEEEEEEEEEE10hipError_tPvRmT3_T4_T5_T6_T7_T9_mT8_P12ihipStream_tbDpT10_ENKUlT_T0_E_clISt17integral_constantIbLb1EES1G_IbLb0EEEEDaS1C_S1D_EUlS1C_E_NS1_11comp_targetILNS1_3genE2ELNS1_11target_archE906ELNS1_3gpuE6ELNS1_3repE0EEENS1_30default_config_static_selectorELNS0_4arch9wavefront6targetE1EEEvT1_ ; -- Begin function _ZN7rocprim17ROCPRIM_400000_NS6detail17trampoline_kernelINS0_14default_configENS1_25partition_config_selectorILNS1_17partition_subalgoE6EiNS0_10empty_typeEbEEZZNS1_14partition_implILS5_6ELb0ES3_mPiPS6_SA_NS0_5tupleIJS9_S6_EEENSB_IJSA_SA_EEES6_PlJN6thrust23THRUST_200600_302600_NS6detail9not_fun_tINSH_10functional5actorINSJ_9compositeIJNSJ_27transparent_binary_operatorINSG_8equal_toIvEEEENSK_INSJ_8argumentILj0EEEEENSJ_5valueIiEEEEEEEEEEEE10hipError_tPvRmT3_T4_T5_T6_T7_T9_mT8_P12ihipStream_tbDpT10_ENKUlT_T0_E_clISt17integral_constantIbLb1EES1G_IbLb0EEEEDaS1C_S1D_EUlS1C_E_NS1_11comp_targetILNS1_3genE2ELNS1_11target_archE906ELNS1_3gpuE6ELNS1_3repE0EEENS1_30default_config_static_selectorELNS0_4arch9wavefront6targetE1EEEvT1_
	.globl	_ZN7rocprim17ROCPRIM_400000_NS6detail17trampoline_kernelINS0_14default_configENS1_25partition_config_selectorILNS1_17partition_subalgoE6EiNS0_10empty_typeEbEEZZNS1_14partition_implILS5_6ELb0ES3_mPiPS6_SA_NS0_5tupleIJS9_S6_EEENSB_IJSA_SA_EEES6_PlJN6thrust23THRUST_200600_302600_NS6detail9not_fun_tINSH_10functional5actorINSJ_9compositeIJNSJ_27transparent_binary_operatorINSG_8equal_toIvEEEENSK_INSJ_8argumentILj0EEEEENSJ_5valueIiEEEEEEEEEEEE10hipError_tPvRmT3_T4_T5_T6_T7_T9_mT8_P12ihipStream_tbDpT10_ENKUlT_T0_E_clISt17integral_constantIbLb1EES1G_IbLb0EEEEDaS1C_S1D_EUlS1C_E_NS1_11comp_targetILNS1_3genE2ELNS1_11target_archE906ELNS1_3gpuE6ELNS1_3repE0EEENS1_30default_config_static_selectorELNS0_4arch9wavefront6targetE1EEEvT1_
	.p2align	8
	.type	_ZN7rocprim17ROCPRIM_400000_NS6detail17trampoline_kernelINS0_14default_configENS1_25partition_config_selectorILNS1_17partition_subalgoE6EiNS0_10empty_typeEbEEZZNS1_14partition_implILS5_6ELb0ES3_mPiPS6_SA_NS0_5tupleIJS9_S6_EEENSB_IJSA_SA_EEES6_PlJN6thrust23THRUST_200600_302600_NS6detail9not_fun_tINSH_10functional5actorINSJ_9compositeIJNSJ_27transparent_binary_operatorINSG_8equal_toIvEEEENSK_INSJ_8argumentILj0EEEEENSJ_5valueIiEEEEEEEEEEEE10hipError_tPvRmT3_T4_T5_T6_T7_T9_mT8_P12ihipStream_tbDpT10_ENKUlT_T0_E_clISt17integral_constantIbLb1EES1G_IbLb0EEEEDaS1C_S1D_EUlS1C_E_NS1_11comp_targetILNS1_3genE2ELNS1_11target_archE906ELNS1_3gpuE6ELNS1_3repE0EEENS1_30default_config_static_selectorELNS0_4arch9wavefront6targetE1EEEvT1_,@function
_ZN7rocprim17ROCPRIM_400000_NS6detail17trampoline_kernelINS0_14default_configENS1_25partition_config_selectorILNS1_17partition_subalgoE6EiNS0_10empty_typeEbEEZZNS1_14partition_implILS5_6ELb0ES3_mPiPS6_SA_NS0_5tupleIJS9_S6_EEENSB_IJSA_SA_EEES6_PlJN6thrust23THRUST_200600_302600_NS6detail9not_fun_tINSH_10functional5actorINSJ_9compositeIJNSJ_27transparent_binary_operatorINSG_8equal_toIvEEEENSK_INSJ_8argumentILj0EEEEENSJ_5valueIiEEEEEEEEEEEE10hipError_tPvRmT3_T4_T5_T6_T7_T9_mT8_P12ihipStream_tbDpT10_ENKUlT_T0_E_clISt17integral_constantIbLb1EES1G_IbLb0EEEEDaS1C_S1D_EUlS1C_E_NS1_11comp_targetILNS1_3genE2ELNS1_11target_archE906ELNS1_3gpuE6ELNS1_3repE0EEENS1_30default_config_static_selectorELNS0_4arch9wavefront6targetE1EEEvT1_: ; @_ZN7rocprim17ROCPRIM_400000_NS6detail17trampoline_kernelINS0_14default_configENS1_25partition_config_selectorILNS1_17partition_subalgoE6EiNS0_10empty_typeEbEEZZNS1_14partition_implILS5_6ELb0ES3_mPiPS6_SA_NS0_5tupleIJS9_S6_EEENSB_IJSA_SA_EEES6_PlJN6thrust23THRUST_200600_302600_NS6detail9not_fun_tINSH_10functional5actorINSJ_9compositeIJNSJ_27transparent_binary_operatorINSG_8equal_toIvEEEENSK_INSJ_8argumentILj0EEEEENSJ_5valueIiEEEEEEEEEEEE10hipError_tPvRmT3_T4_T5_T6_T7_T9_mT8_P12ihipStream_tbDpT10_ENKUlT_T0_E_clISt17integral_constantIbLb1EES1G_IbLb0EEEEDaS1C_S1D_EUlS1C_E_NS1_11comp_targetILNS1_3genE2ELNS1_11target_archE906ELNS1_3gpuE6ELNS1_3repE0EEENS1_30default_config_static_selectorELNS0_4arch9wavefront6targetE1EEEvT1_
; %bb.0:
	.section	.rodata,"a",@progbits
	.p2align	6, 0x0
	.amdhsa_kernel _ZN7rocprim17ROCPRIM_400000_NS6detail17trampoline_kernelINS0_14default_configENS1_25partition_config_selectorILNS1_17partition_subalgoE6EiNS0_10empty_typeEbEEZZNS1_14partition_implILS5_6ELb0ES3_mPiPS6_SA_NS0_5tupleIJS9_S6_EEENSB_IJSA_SA_EEES6_PlJN6thrust23THRUST_200600_302600_NS6detail9not_fun_tINSH_10functional5actorINSJ_9compositeIJNSJ_27transparent_binary_operatorINSG_8equal_toIvEEEENSK_INSJ_8argumentILj0EEEEENSJ_5valueIiEEEEEEEEEEEE10hipError_tPvRmT3_T4_T5_T6_T7_T9_mT8_P12ihipStream_tbDpT10_ENKUlT_T0_E_clISt17integral_constantIbLb1EES1G_IbLb0EEEEDaS1C_S1D_EUlS1C_E_NS1_11comp_targetILNS1_3genE2ELNS1_11target_archE906ELNS1_3gpuE6ELNS1_3repE0EEENS1_30default_config_static_selectorELNS0_4arch9wavefront6targetE1EEEvT1_
		.amdhsa_group_segment_fixed_size 0
		.amdhsa_private_segment_fixed_size 0
		.amdhsa_kernarg_size 120
		.amdhsa_user_sgpr_count 6
		.amdhsa_user_sgpr_private_segment_buffer 1
		.amdhsa_user_sgpr_dispatch_ptr 0
		.amdhsa_user_sgpr_queue_ptr 0
		.amdhsa_user_sgpr_kernarg_segment_ptr 1
		.amdhsa_user_sgpr_dispatch_id 0
		.amdhsa_user_sgpr_flat_scratch_init 0
		.amdhsa_user_sgpr_kernarg_preload_length 0
		.amdhsa_user_sgpr_kernarg_preload_offset 0
		.amdhsa_user_sgpr_private_segment_size 0
		.amdhsa_uses_dynamic_stack 0
		.amdhsa_system_sgpr_private_segment_wavefront_offset 0
		.amdhsa_system_sgpr_workgroup_id_x 1
		.amdhsa_system_sgpr_workgroup_id_y 0
		.amdhsa_system_sgpr_workgroup_id_z 0
		.amdhsa_system_sgpr_workgroup_info 0
		.amdhsa_system_vgpr_workitem_id 0
		.amdhsa_next_free_vgpr 1
		.amdhsa_next_free_sgpr 0
		.amdhsa_accum_offset 4
		.amdhsa_reserve_vcc 0
		.amdhsa_reserve_flat_scratch 0
		.amdhsa_float_round_mode_32 0
		.amdhsa_float_round_mode_16_64 0
		.amdhsa_float_denorm_mode_32 3
		.amdhsa_float_denorm_mode_16_64 3
		.amdhsa_dx10_clamp 1
		.amdhsa_ieee_mode 1
		.amdhsa_fp16_overflow 0
		.amdhsa_tg_split 0
		.amdhsa_exception_fp_ieee_invalid_op 0
		.amdhsa_exception_fp_denorm_src 0
		.amdhsa_exception_fp_ieee_div_zero 0
		.amdhsa_exception_fp_ieee_overflow 0
		.amdhsa_exception_fp_ieee_underflow 0
		.amdhsa_exception_fp_ieee_inexact 0
		.amdhsa_exception_int_div_zero 0
	.end_amdhsa_kernel
	.section	.text._ZN7rocprim17ROCPRIM_400000_NS6detail17trampoline_kernelINS0_14default_configENS1_25partition_config_selectorILNS1_17partition_subalgoE6EiNS0_10empty_typeEbEEZZNS1_14partition_implILS5_6ELb0ES3_mPiPS6_SA_NS0_5tupleIJS9_S6_EEENSB_IJSA_SA_EEES6_PlJN6thrust23THRUST_200600_302600_NS6detail9not_fun_tINSH_10functional5actorINSJ_9compositeIJNSJ_27transparent_binary_operatorINSG_8equal_toIvEEEENSK_INSJ_8argumentILj0EEEEENSJ_5valueIiEEEEEEEEEEEE10hipError_tPvRmT3_T4_T5_T6_T7_T9_mT8_P12ihipStream_tbDpT10_ENKUlT_T0_E_clISt17integral_constantIbLb1EES1G_IbLb0EEEEDaS1C_S1D_EUlS1C_E_NS1_11comp_targetILNS1_3genE2ELNS1_11target_archE906ELNS1_3gpuE6ELNS1_3repE0EEENS1_30default_config_static_selectorELNS0_4arch9wavefront6targetE1EEEvT1_,"axG",@progbits,_ZN7rocprim17ROCPRIM_400000_NS6detail17trampoline_kernelINS0_14default_configENS1_25partition_config_selectorILNS1_17partition_subalgoE6EiNS0_10empty_typeEbEEZZNS1_14partition_implILS5_6ELb0ES3_mPiPS6_SA_NS0_5tupleIJS9_S6_EEENSB_IJSA_SA_EEES6_PlJN6thrust23THRUST_200600_302600_NS6detail9not_fun_tINSH_10functional5actorINSJ_9compositeIJNSJ_27transparent_binary_operatorINSG_8equal_toIvEEEENSK_INSJ_8argumentILj0EEEEENSJ_5valueIiEEEEEEEEEEEE10hipError_tPvRmT3_T4_T5_T6_T7_T9_mT8_P12ihipStream_tbDpT10_ENKUlT_T0_E_clISt17integral_constantIbLb1EES1G_IbLb0EEEEDaS1C_S1D_EUlS1C_E_NS1_11comp_targetILNS1_3genE2ELNS1_11target_archE906ELNS1_3gpuE6ELNS1_3repE0EEENS1_30default_config_static_selectorELNS0_4arch9wavefront6targetE1EEEvT1_,comdat
.Lfunc_end271:
	.size	_ZN7rocprim17ROCPRIM_400000_NS6detail17trampoline_kernelINS0_14default_configENS1_25partition_config_selectorILNS1_17partition_subalgoE6EiNS0_10empty_typeEbEEZZNS1_14partition_implILS5_6ELb0ES3_mPiPS6_SA_NS0_5tupleIJS9_S6_EEENSB_IJSA_SA_EEES6_PlJN6thrust23THRUST_200600_302600_NS6detail9not_fun_tINSH_10functional5actorINSJ_9compositeIJNSJ_27transparent_binary_operatorINSG_8equal_toIvEEEENSK_INSJ_8argumentILj0EEEEENSJ_5valueIiEEEEEEEEEEEE10hipError_tPvRmT3_T4_T5_T6_T7_T9_mT8_P12ihipStream_tbDpT10_ENKUlT_T0_E_clISt17integral_constantIbLb1EES1G_IbLb0EEEEDaS1C_S1D_EUlS1C_E_NS1_11comp_targetILNS1_3genE2ELNS1_11target_archE906ELNS1_3gpuE6ELNS1_3repE0EEENS1_30default_config_static_selectorELNS0_4arch9wavefront6targetE1EEEvT1_, .Lfunc_end271-_ZN7rocprim17ROCPRIM_400000_NS6detail17trampoline_kernelINS0_14default_configENS1_25partition_config_selectorILNS1_17partition_subalgoE6EiNS0_10empty_typeEbEEZZNS1_14partition_implILS5_6ELb0ES3_mPiPS6_SA_NS0_5tupleIJS9_S6_EEENSB_IJSA_SA_EEES6_PlJN6thrust23THRUST_200600_302600_NS6detail9not_fun_tINSH_10functional5actorINSJ_9compositeIJNSJ_27transparent_binary_operatorINSG_8equal_toIvEEEENSK_INSJ_8argumentILj0EEEEENSJ_5valueIiEEEEEEEEEEEE10hipError_tPvRmT3_T4_T5_T6_T7_T9_mT8_P12ihipStream_tbDpT10_ENKUlT_T0_E_clISt17integral_constantIbLb1EES1G_IbLb0EEEEDaS1C_S1D_EUlS1C_E_NS1_11comp_targetILNS1_3genE2ELNS1_11target_archE906ELNS1_3gpuE6ELNS1_3repE0EEENS1_30default_config_static_selectorELNS0_4arch9wavefront6targetE1EEEvT1_
                                        ; -- End function
	.section	.AMDGPU.csdata,"",@progbits
; Kernel info:
; codeLenInByte = 0
; NumSgprs: 4
; NumVgprs: 0
; NumAgprs: 0
; TotalNumVgprs: 0
; ScratchSize: 0
; MemoryBound: 0
; FloatMode: 240
; IeeeMode: 1
; LDSByteSize: 0 bytes/workgroup (compile time only)
; SGPRBlocks: 0
; VGPRBlocks: 0
; NumSGPRsForWavesPerEU: 4
; NumVGPRsForWavesPerEU: 1
; AccumOffset: 4
; Occupancy: 8
; WaveLimiterHint : 0
; COMPUTE_PGM_RSRC2:SCRATCH_EN: 0
; COMPUTE_PGM_RSRC2:USER_SGPR: 6
; COMPUTE_PGM_RSRC2:TRAP_HANDLER: 0
; COMPUTE_PGM_RSRC2:TGID_X_EN: 1
; COMPUTE_PGM_RSRC2:TGID_Y_EN: 0
; COMPUTE_PGM_RSRC2:TGID_Z_EN: 0
; COMPUTE_PGM_RSRC2:TIDIG_COMP_CNT: 0
; COMPUTE_PGM_RSRC3_GFX90A:ACCUM_OFFSET: 0
; COMPUTE_PGM_RSRC3_GFX90A:TG_SPLIT: 0
	.section	.text._ZN7rocprim17ROCPRIM_400000_NS6detail17trampoline_kernelINS0_14default_configENS1_25partition_config_selectorILNS1_17partition_subalgoE6EiNS0_10empty_typeEbEEZZNS1_14partition_implILS5_6ELb0ES3_mPiPS6_SA_NS0_5tupleIJS9_S6_EEENSB_IJSA_SA_EEES6_PlJN6thrust23THRUST_200600_302600_NS6detail9not_fun_tINSH_10functional5actorINSJ_9compositeIJNSJ_27transparent_binary_operatorINSG_8equal_toIvEEEENSK_INSJ_8argumentILj0EEEEENSJ_5valueIiEEEEEEEEEEEE10hipError_tPvRmT3_T4_T5_T6_T7_T9_mT8_P12ihipStream_tbDpT10_ENKUlT_T0_E_clISt17integral_constantIbLb1EES1G_IbLb0EEEEDaS1C_S1D_EUlS1C_E_NS1_11comp_targetILNS1_3genE10ELNS1_11target_archE1200ELNS1_3gpuE4ELNS1_3repE0EEENS1_30default_config_static_selectorELNS0_4arch9wavefront6targetE1EEEvT1_,"axG",@progbits,_ZN7rocprim17ROCPRIM_400000_NS6detail17trampoline_kernelINS0_14default_configENS1_25partition_config_selectorILNS1_17partition_subalgoE6EiNS0_10empty_typeEbEEZZNS1_14partition_implILS5_6ELb0ES3_mPiPS6_SA_NS0_5tupleIJS9_S6_EEENSB_IJSA_SA_EEES6_PlJN6thrust23THRUST_200600_302600_NS6detail9not_fun_tINSH_10functional5actorINSJ_9compositeIJNSJ_27transparent_binary_operatorINSG_8equal_toIvEEEENSK_INSJ_8argumentILj0EEEEENSJ_5valueIiEEEEEEEEEEEE10hipError_tPvRmT3_T4_T5_T6_T7_T9_mT8_P12ihipStream_tbDpT10_ENKUlT_T0_E_clISt17integral_constantIbLb1EES1G_IbLb0EEEEDaS1C_S1D_EUlS1C_E_NS1_11comp_targetILNS1_3genE10ELNS1_11target_archE1200ELNS1_3gpuE4ELNS1_3repE0EEENS1_30default_config_static_selectorELNS0_4arch9wavefront6targetE1EEEvT1_,comdat
	.protected	_ZN7rocprim17ROCPRIM_400000_NS6detail17trampoline_kernelINS0_14default_configENS1_25partition_config_selectorILNS1_17partition_subalgoE6EiNS0_10empty_typeEbEEZZNS1_14partition_implILS5_6ELb0ES3_mPiPS6_SA_NS0_5tupleIJS9_S6_EEENSB_IJSA_SA_EEES6_PlJN6thrust23THRUST_200600_302600_NS6detail9not_fun_tINSH_10functional5actorINSJ_9compositeIJNSJ_27transparent_binary_operatorINSG_8equal_toIvEEEENSK_INSJ_8argumentILj0EEEEENSJ_5valueIiEEEEEEEEEEEE10hipError_tPvRmT3_T4_T5_T6_T7_T9_mT8_P12ihipStream_tbDpT10_ENKUlT_T0_E_clISt17integral_constantIbLb1EES1G_IbLb0EEEEDaS1C_S1D_EUlS1C_E_NS1_11comp_targetILNS1_3genE10ELNS1_11target_archE1200ELNS1_3gpuE4ELNS1_3repE0EEENS1_30default_config_static_selectorELNS0_4arch9wavefront6targetE1EEEvT1_ ; -- Begin function _ZN7rocprim17ROCPRIM_400000_NS6detail17trampoline_kernelINS0_14default_configENS1_25partition_config_selectorILNS1_17partition_subalgoE6EiNS0_10empty_typeEbEEZZNS1_14partition_implILS5_6ELb0ES3_mPiPS6_SA_NS0_5tupleIJS9_S6_EEENSB_IJSA_SA_EEES6_PlJN6thrust23THRUST_200600_302600_NS6detail9not_fun_tINSH_10functional5actorINSJ_9compositeIJNSJ_27transparent_binary_operatorINSG_8equal_toIvEEEENSK_INSJ_8argumentILj0EEEEENSJ_5valueIiEEEEEEEEEEEE10hipError_tPvRmT3_T4_T5_T6_T7_T9_mT8_P12ihipStream_tbDpT10_ENKUlT_T0_E_clISt17integral_constantIbLb1EES1G_IbLb0EEEEDaS1C_S1D_EUlS1C_E_NS1_11comp_targetILNS1_3genE10ELNS1_11target_archE1200ELNS1_3gpuE4ELNS1_3repE0EEENS1_30default_config_static_selectorELNS0_4arch9wavefront6targetE1EEEvT1_
	.globl	_ZN7rocprim17ROCPRIM_400000_NS6detail17trampoline_kernelINS0_14default_configENS1_25partition_config_selectorILNS1_17partition_subalgoE6EiNS0_10empty_typeEbEEZZNS1_14partition_implILS5_6ELb0ES3_mPiPS6_SA_NS0_5tupleIJS9_S6_EEENSB_IJSA_SA_EEES6_PlJN6thrust23THRUST_200600_302600_NS6detail9not_fun_tINSH_10functional5actorINSJ_9compositeIJNSJ_27transparent_binary_operatorINSG_8equal_toIvEEEENSK_INSJ_8argumentILj0EEEEENSJ_5valueIiEEEEEEEEEEEE10hipError_tPvRmT3_T4_T5_T6_T7_T9_mT8_P12ihipStream_tbDpT10_ENKUlT_T0_E_clISt17integral_constantIbLb1EES1G_IbLb0EEEEDaS1C_S1D_EUlS1C_E_NS1_11comp_targetILNS1_3genE10ELNS1_11target_archE1200ELNS1_3gpuE4ELNS1_3repE0EEENS1_30default_config_static_selectorELNS0_4arch9wavefront6targetE1EEEvT1_
	.p2align	8
	.type	_ZN7rocprim17ROCPRIM_400000_NS6detail17trampoline_kernelINS0_14default_configENS1_25partition_config_selectorILNS1_17partition_subalgoE6EiNS0_10empty_typeEbEEZZNS1_14partition_implILS5_6ELb0ES3_mPiPS6_SA_NS0_5tupleIJS9_S6_EEENSB_IJSA_SA_EEES6_PlJN6thrust23THRUST_200600_302600_NS6detail9not_fun_tINSH_10functional5actorINSJ_9compositeIJNSJ_27transparent_binary_operatorINSG_8equal_toIvEEEENSK_INSJ_8argumentILj0EEEEENSJ_5valueIiEEEEEEEEEEEE10hipError_tPvRmT3_T4_T5_T6_T7_T9_mT8_P12ihipStream_tbDpT10_ENKUlT_T0_E_clISt17integral_constantIbLb1EES1G_IbLb0EEEEDaS1C_S1D_EUlS1C_E_NS1_11comp_targetILNS1_3genE10ELNS1_11target_archE1200ELNS1_3gpuE4ELNS1_3repE0EEENS1_30default_config_static_selectorELNS0_4arch9wavefront6targetE1EEEvT1_,@function
_ZN7rocprim17ROCPRIM_400000_NS6detail17trampoline_kernelINS0_14default_configENS1_25partition_config_selectorILNS1_17partition_subalgoE6EiNS0_10empty_typeEbEEZZNS1_14partition_implILS5_6ELb0ES3_mPiPS6_SA_NS0_5tupleIJS9_S6_EEENSB_IJSA_SA_EEES6_PlJN6thrust23THRUST_200600_302600_NS6detail9not_fun_tINSH_10functional5actorINSJ_9compositeIJNSJ_27transparent_binary_operatorINSG_8equal_toIvEEEENSK_INSJ_8argumentILj0EEEEENSJ_5valueIiEEEEEEEEEEEE10hipError_tPvRmT3_T4_T5_T6_T7_T9_mT8_P12ihipStream_tbDpT10_ENKUlT_T0_E_clISt17integral_constantIbLb1EES1G_IbLb0EEEEDaS1C_S1D_EUlS1C_E_NS1_11comp_targetILNS1_3genE10ELNS1_11target_archE1200ELNS1_3gpuE4ELNS1_3repE0EEENS1_30default_config_static_selectorELNS0_4arch9wavefront6targetE1EEEvT1_: ; @_ZN7rocprim17ROCPRIM_400000_NS6detail17trampoline_kernelINS0_14default_configENS1_25partition_config_selectorILNS1_17partition_subalgoE6EiNS0_10empty_typeEbEEZZNS1_14partition_implILS5_6ELb0ES3_mPiPS6_SA_NS0_5tupleIJS9_S6_EEENSB_IJSA_SA_EEES6_PlJN6thrust23THRUST_200600_302600_NS6detail9not_fun_tINSH_10functional5actorINSJ_9compositeIJNSJ_27transparent_binary_operatorINSG_8equal_toIvEEEENSK_INSJ_8argumentILj0EEEEENSJ_5valueIiEEEEEEEEEEEE10hipError_tPvRmT3_T4_T5_T6_T7_T9_mT8_P12ihipStream_tbDpT10_ENKUlT_T0_E_clISt17integral_constantIbLb1EES1G_IbLb0EEEEDaS1C_S1D_EUlS1C_E_NS1_11comp_targetILNS1_3genE10ELNS1_11target_archE1200ELNS1_3gpuE4ELNS1_3repE0EEENS1_30default_config_static_selectorELNS0_4arch9wavefront6targetE1EEEvT1_
; %bb.0:
	.section	.rodata,"a",@progbits
	.p2align	6, 0x0
	.amdhsa_kernel _ZN7rocprim17ROCPRIM_400000_NS6detail17trampoline_kernelINS0_14default_configENS1_25partition_config_selectorILNS1_17partition_subalgoE6EiNS0_10empty_typeEbEEZZNS1_14partition_implILS5_6ELb0ES3_mPiPS6_SA_NS0_5tupleIJS9_S6_EEENSB_IJSA_SA_EEES6_PlJN6thrust23THRUST_200600_302600_NS6detail9not_fun_tINSH_10functional5actorINSJ_9compositeIJNSJ_27transparent_binary_operatorINSG_8equal_toIvEEEENSK_INSJ_8argumentILj0EEEEENSJ_5valueIiEEEEEEEEEEEE10hipError_tPvRmT3_T4_T5_T6_T7_T9_mT8_P12ihipStream_tbDpT10_ENKUlT_T0_E_clISt17integral_constantIbLb1EES1G_IbLb0EEEEDaS1C_S1D_EUlS1C_E_NS1_11comp_targetILNS1_3genE10ELNS1_11target_archE1200ELNS1_3gpuE4ELNS1_3repE0EEENS1_30default_config_static_selectorELNS0_4arch9wavefront6targetE1EEEvT1_
		.amdhsa_group_segment_fixed_size 0
		.amdhsa_private_segment_fixed_size 0
		.amdhsa_kernarg_size 120
		.amdhsa_user_sgpr_count 6
		.amdhsa_user_sgpr_private_segment_buffer 1
		.amdhsa_user_sgpr_dispatch_ptr 0
		.amdhsa_user_sgpr_queue_ptr 0
		.amdhsa_user_sgpr_kernarg_segment_ptr 1
		.amdhsa_user_sgpr_dispatch_id 0
		.amdhsa_user_sgpr_flat_scratch_init 0
		.amdhsa_user_sgpr_kernarg_preload_length 0
		.amdhsa_user_sgpr_kernarg_preload_offset 0
		.amdhsa_user_sgpr_private_segment_size 0
		.amdhsa_uses_dynamic_stack 0
		.amdhsa_system_sgpr_private_segment_wavefront_offset 0
		.amdhsa_system_sgpr_workgroup_id_x 1
		.amdhsa_system_sgpr_workgroup_id_y 0
		.amdhsa_system_sgpr_workgroup_id_z 0
		.amdhsa_system_sgpr_workgroup_info 0
		.amdhsa_system_vgpr_workitem_id 0
		.amdhsa_next_free_vgpr 1
		.amdhsa_next_free_sgpr 0
		.amdhsa_accum_offset 4
		.amdhsa_reserve_vcc 0
		.amdhsa_reserve_flat_scratch 0
		.amdhsa_float_round_mode_32 0
		.amdhsa_float_round_mode_16_64 0
		.amdhsa_float_denorm_mode_32 3
		.amdhsa_float_denorm_mode_16_64 3
		.amdhsa_dx10_clamp 1
		.amdhsa_ieee_mode 1
		.amdhsa_fp16_overflow 0
		.amdhsa_tg_split 0
		.amdhsa_exception_fp_ieee_invalid_op 0
		.amdhsa_exception_fp_denorm_src 0
		.amdhsa_exception_fp_ieee_div_zero 0
		.amdhsa_exception_fp_ieee_overflow 0
		.amdhsa_exception_fp_ieee_underflow 0
		.amdhsa_exception_fp_ieee_inexact 0
		.amdhsa_exception_int_div_zero 0
	.end_amdhsa_kernel
	.section	.text._ZN7rocprim17ROCPRIM_400000_NS6detail17trampoline_kernelINS0_14default_configENS1_25partition_config_selectorILNS1_17partition_subalgoE6EiNS0_10empty_typeEbEEZZNS1_14partition_implILS5_6ELb0ES3_mPiPS6_SA_NS0_5tupleIJS9_S6_EEENSB_IJSA_SA_EEES6_PlJN6thrust23THRUST_200600_302600_NS6detail9not_fun_tINSH_10functional5actorINSJ_9compositeIJNSJ_27transparent_binary_operatorINSG_8equal_toIvEEEENSK_INSJ_8argumentILj0EEEEENSJ_5valueIiEEEEEEEEEEEE10hipError_tPvRmT3_T4_T5_T6_T7_T9_mT8_P12ihipStream_tbDpT10_ENKUlT_T0_E_clISt17integral_constantIbLb1EES1G_IbLb0EEEEDaS1C_S1D_EUlS1C_E_NS1_11comp_targetILNS1_3genE10ELNS1_11target_archE1200ELNS1_3gpuE4ELNS1_3repE0EEENS1_30default_config_static_selectorELNS0_4arch9wavefront6targetE1EEEvT1_,"axG",@progbits,_ZN7rocprim17ROCPRIM_400000_NS6detail17trampoline_kernelINS0_14default_configENS1_25partition_config_selectorILNS1_17partition_subalgoE6EiNS0_10empty_typeEbEEZZNS1_14partition_implILS5_6ELb0ES3_mPiPS6_SA_NS0_5tupleIJS9_S6_EEENSB_IJSA_SA_EEES6_PlJN6thrust23THRUST_200600_302600_NS6detail9not_fun_tINSH_10functional5actorINSJ_9compositeIJNSJ_27transparent_binary_operatorINSG_8equal_toIvEEEENSK_INSJ_8argumentILj0EEEEENSJ_5valueIiEEEEEEEEEEEE10hipError_tPvRmT3_T4_T5_T6_T7_T9_mT8_P12ihipStream_tbDpT10_ENKUlT_T0_E_clISt17integral_constantIbLb1EES1G_IbLb0EEEEDaS1C_S1D_EUlS1C_E_NS1_11comp_targetILNS1_3genE10ELNS1_11target_archE1200ELNS1_3gpuE4ELNS1_3repE0EEENS1_30default_config_static_selectorELNS0_4arch9wavefront6targetE1EEEvT1_,comdat
.Lfunc_end272:
	.size	_ZN7rocprim17ROCPRIM_400000_NS6detail17trampoline_kernelINS0_14default_configENS1_25partition_config_selectorILNS1_17partition_subalgoE6EiNS0_10empty_typeEbEEZZNS1_14partition_implILS5_6ELb0ES3_mPiPS6_SA_NS0_5tupleIJS9_S6_EEENSB_IJSA_SA_EEES6_PlJN6thrust23THRUST_200600_302600_NS6detail9not_fun_tINSH_10functional5actorINSJ_9compositeIJNSJ_27transparent_binary_operatorINSG_8equal_toIvEEEENSK_INSJ_8argumentILj0EEEEENSJ_5valueIiEEEEEEEEEEEE10hipError_tPvRmT3_T4_T5_T6_T7_T9_mT8_P12ihipStream_tbDpT10_ENKUlT_T0_E_clISt17integral_constantIbLb1EES1G_IbLb0EEEEDaS1C_S1D_EUlS1C_E_NS1_11comp_targetILNS1_3genE10ELNS1_11target_archE1200ELNS1_3gpuE4ELNS1_3repE0EEENS1_30default_config_static_selectorELNS0_4arch9wavefront6targetE1EEEvT1_, .Lfunc_end272-_ZN7rocprim17ROCPRIM_400000_NS6detail17trampoline_kernelINS0_14default_configENS1_25partition_config_selectorILNS1_17partition_subalgoE6EiNS0_10empty_typeEbEEZZNS1_14partition_implILS5_6ELb0ES3_mPiPS6_SA_NS0_5tupleIJS9_S6_EEENSB_IJSA_SA_EEES6_PlJN6thrust23THRUST_200600_302600_NS6detail9not_fun_tINSH_10functional5actorINSJ_9compositeIJNSJ_27transparent_binary_operatorINSG_8equal_toIvEEEENSK_INSJ_8argumentILj0EEEEENSJ_5valueIiEEEEEEEEEEEE10hipError_tPvRmT3_T4_T5_T6_T7_T9_mT8_P12ihipStream_tbDpT10_ENKUlT_T0_E_clISt17integral_constantIbLb1EES1G_IbLb0EEEEDaS1C_S1D_EUlS1C_E_NS1_11comp_targetILNS1_3genE10ELNS1_11target_archE1200ELNS1_3gpuE4ELNS1_3repE0EEENS1_30default_config_static_selectorELNS0_4arch9wavefront6targetE1EEEvT1_
                                        ; -- End function
	.section	.AMDGPU.csdata,"",@progbits
; Kernel info:
; codeLenInByte = 0
; NumSgprs: 4
; NumVgprs: 0
; NumAgprs: 0
; TotalNumVgprs: 0
; ScratchSize: 0
; MemoryBound: 0
; FloatMode: 240
; IeeeMode: 1
; LDSByteSize: 0 bytes/workgroup (compile time only)
; SGPRBlocks: 0
; VGPRBlocks: 0
; NumSGPRsForWavesPerEU: 4
; NumVGPRsForWavesPerEU: 1
; AccumOffset: 4
; Occupancy: 8
; WaveLimiterHint : 0
; COMPUTE_PGM_RSRC2:SCRATCH_EN: 0
; COMPUTE_PGM_RSRC2:USER_SGPR: 6
; COMPUTE_PGM_RSRC2:TRAP_HANDLER: 0
; COMPUTE_PGM_RSRC2:TGID_X_EN: 1
; COMPUTE_PGM_RSRC2:TGID_Y_EN: 0
; COMPUTE_PGM_RSRC2:TGID_Z_EN: 0
; COMPUTE_PGM_RSRC2:TIDIG_COMP_CNT: 0
; COMPUTE_PGM_RSRC3_GFX90A:ACCUM_OFFSET: 0
; COMPUTE_PGM_RSRC3_GFX90A:TG_SPLIT: 0
	.section	.text._ZN7rocprim17ROCPRIM_400000_NS6detail17trampoline_kernelINS0_14default_configENS1_25partition_config_selectorILNS1_17partition_subalgoE6EiNS0_10empty_typeEbEEZZNS1_14partition_implILS5_6ELb0ES3_mPiPS6_SA_NS0_5tupleIJS9_S6_EEENSB_IJSA_SA_EEES6_PlJN6thrust23THRUST_200600_302600_NS6detail9not_fun_tINSH_10functional5actorINSJ_9compositeIJNSJ_27transparent_binary_operatorINSG_8equal_toIvEEEENSK_INSJ_8argumentILj0EEEEENSJ_5valueIiEEEEEEEEEEEE10hipError_tPvRmT3_T4_T5_T6_T7_T9_mT8_P12ihipStream_tbDpT10_ENKUlT_T0_E_clISt17integral_constantIbLb1EES1G_IbLb0EEEEDaS1C_S1D_EUlS1C_E_NS1_11comp_targetILNS1_3genE9ELNS1_11target_archE1100ELNS1_3gpuE3ELNS1_3repE0EEENS1_30default_config_static_selectorELNS0_4arch9wavefront6targetE1EEEvT1_,"axG",@progbits,_ZN7rocprim17ROCPRIM_400000_NS6detail17trampoline_kernelINS0_14default_configENS1_25partition_config_selectorILNS1_17partition_subalgoE6EiNS0_10empty_typeEbEEZZNS1_14partition_implILS5_6ELb0ES3_mPiPS6_SA_NS0_5tupleIJS9_S6_EEENSB_IJSA_SA_EEES6_PlJN6thrust23THRUST_200600_302600_NS6detail9not_fun_tINSH_10functional5actorINSJ_9compositeIJNSJ_27transparent_binary_operatorINSG_8equal_toIvEEEENSK_INSJ_8argumentILj0EEEEENSJ_5valueIiEEEEEEEEEEEE10hipError_tPvRmT3_T4_T5_T6_T7_T9_mT8_P12ihipStream_tbDpT10_ENKUlT_T0_E_clISt17integral_constantIbLb1EES1G_IbLb0EEEEDaS1C_S1D_EUlS1C_E_NS1_11comp_targetILNS1_3genE9ELNS1_11target_archE1100ELNS1_3gpuE3ELNS1_3repE0EEENS1_30default_config_static_selectorELNS0_4arch9wavefront6targetE1EEEvT1_,comdat
	.protected	_ZN7rocprim17ROCPRIM_400000_NS6detail17trampoline_kernelINS0_14default_configENS1_25partition_config_selectorILNS1_17partition_subalgoE6EiNS0_10empty_typeEbEEZZNS1_14partition_implILS5_6ELb0ES3_mPiPS6_SA_NS0_5tupleIJS9_S6_EEENSB_IJSA_SA_EEES6_PlJN6thrust23THRUST_200600_302600_NS6detail9not_fun_tINSH_10functional5actorINSJ_9compositeIJNSJ_27transparent_binary_operatorINSG_8equal_toIvEEEENSK_INSJ_8argumentILj0EEEEENSJ_5valueIiEEEEEEEEEEEE10hipError_tPvRmT3_T4_T5_T6_T7_T9_mT8_P12ihipStream_tbDpT10_ENKUlT_T0_E_clISt17integral_constantIbLb1EES1G_IbLb0EEEEDaS1C_S1D_EUlS1C_E_NS1_11comp_targetILNS1_3genE9ELNS1_11target_archE1100ELNS1_3gpuE3ELNS1_3repE0EEENS1_30default_config_static_selectorELNS0_4arch9wavefront6targetE1EEEvT1_ ; -- Begin function _ZN7rocprim17ROCPRIM_400000_NS6detail17trampoline_kernelINS0_14default_configENS1_25partition_config_selectorILNS1_17partition_subalgoE6EiNS0_10empty_typeEbEEZZNS1_14partition_implILS5_6ELb0ES3_mPiPS6_SA_NS0_5tupleIJS9_S6_EEENSB_IJSA_SA_EEES6_PlJN6thrust23THRUST_200600_302600_NS6detail9not_fun_tINSH_10functional5actorINSJ_9compositeIJNSJ_27transparent_binary_operatorINSG_8equal_toIvEEEENSK_INSJ_8argumentILj0EEEEENSJ_5valueIiEEEEEEEEEEEE10hipError_tPvRmT3_T4_T5_T6_T7_T9_mT8_P12ihipStream_tbDpT10_ENKUlT_T0_E_clISt17integral_constantIbLb1EES1G_IbLb0EEEEDaS1C_S1D_EUlS1C_E_NS1_11comp_targetILNS1_3genE9ELNS1_11target_archE1100ELNS1_3gpuE3ELNS1_3repE0EEENS1_30default_config_static_selectorELNS0_4arch9wavefront6targetE1EEEvT1_
	.globl	_ZN7rocprim17ROCPRIM_400000_NS6detail17trampoline_kernelINS0_14default_configENS1_25partition_config_selectorILNS1_17partition_subalgoE6EiNS0_10empty_typeEbEEZZNS1_14partition_implILS5_6ELb0ES3_mPiPS6_SA_NS0_5tupleIJS9_S6_EEENSB_IJSA_SA_EEES6_PlJN6thrust23THRUST_200600_302600_NS6detail9not_fun_tINSH_10functional5actorINSJ_9compositeIJNSJ_27transparent_binary_operatorINSG_8equal_toIvEEEENSK_INSJ_8argumentILj0EEEEENSJ_5valueIiEEEEEEEEEEEE10hipError_tPvRmT3_T4_T5_T6_T7_T9_mT8_P12ihipStream_tbDpT10_ENKUlT_T0_E_clISt17integral_constantIbLb1EES1G_IbLb0EEEEDaS1C_S1D_EUlS1C_E_NS1_11comp_targetILNS1_3genE9ELNS1_11target_archE1100ELNS1_3gpuE3ELNS1_3repE0EEENS1_30default_config_static_selectorELNS0_4arch9wavefront6targetE1EEEvT1_
	.p2align	8
	.type	_ZN7rocprim17ROCPRIM_400000_NS6detail17trampoline_kernelINS0_14default_configENS1_25partition_config_selectorILNS1_17partition_subalgoE6EiNS0_10empty_typeEbEEZZNS1_14partition_implILS5_6ELb0ES3_mPiPS6_SA_NS0_5tupleIJS9_S6_EEENSB_IJSA_SA_EEES6_PlJN6thrust23THRUST_200600_302600_NS6detail9not_fun_tINSH_10functional5actorINSJ_9compositeIJNSJ_27transparent_binary_operatorINSG_8equal_toIvEEEENSK_INSJ_8argumentILj0EEEEENSJ_5valueIiEEEEEEEEEEEE10hipError_tPvRmT3_T4_T5_T6_T7_T9_mT8_P12ihipStream_tbDpT10_ENKUlT_T0_E_clISt17integral_constantIbLb1EES1G_IbLb0EEEEDaS1C_S1D_EUlS1C_E_NS1_11comp_targetILNS1_3genE9ELNS1_11target_archE1100ELNS1_3gpuE3ELNS1_3repE0EEENS1_30default_config_static_selectorELNS0_4arch9wavefront6targetE1EEEvT1_,@function
_ZN7rocprim17ROCPRIM_400000_NS6detail17trampoline_kernelINS0_14default_configENS1_25partition_config_selectorILNS1_17partition_subalgoE6EiNS0_10empty_typeEbEEZZNS1_14partition_implILS5_6ELb0ES3_mPiPS6_SA_NS0_5tupleIJS9_S6_EEENSB_IJSA_SA_EEES6_PlJN6thrust23THRUST_200600_302600_NS6detail9not_fun_tINSH_10functional5actorINSJ_9compositeIJNSJ_27transparent_binary_operatorINSG_8equal_toIvEEEENSK_INSJ_8argumentILj0EEEEENSJ_5valueIiEEEEEEEEEEEE10hipError_tPvRmT3_T4_T5_T6_T7_T9_mT8_P12ihipStream_tbDpT10_ENKUlT_T0_E_clISt17integral_constantIbLb1EES1G_IbLb0EEEEDaS1C_S1D_EUlS1C_E_NS1_11comp_targetILNS1_3genE9ELNS1_11target_archE1100ELNS1_3gpuE3ELNS1_3repE0EEENS1_30default_config_static_selectorELNS0_4arch9wavefront6targetE1EEEvT1_: ; @_ZN7rocprim17ROCPRIM_400000_NS6detail17trampoline_kernelINS0_14default_configENS1_25partition_config_selectorILNS1_17partition_subalgoE6EiNS0_10empty_typeEbEEZZNS1_14partition_implILS5_6ELb0ES3_mPiPS6_SA_NS0_5tupleIJS9_S6_EEENSB_IJSA_SA_EEES6_PlJN6thrust23THRUST_200600_302600_NS6detail9not_fun_tINSH_10functional5actorINSJ_9compositeIJNSJ_27transparent_binary_operatorINSG_8equal_toIvEEEENSK_INSJ_8argumentILj0EEEEENSJ_5valueIiEEEEEEEEEEEE10hipError_tPvRmT3_T4_T5_T6_T7_T9_mT8_P12ihipStream_tbDpT10_ENKUlT_T0_E_clISt17integral_constantIbLb1EES1G_IbLb0EEEEDaS1C_S1D_EUlS1C_E_NS1_11comp_targetILNS1_3genE9ELNS1_11target_archE1100ELNS1_3gpuE3ELNS1_3repE0EEENS1_30default_config_static_selectorELNS0_4arch9wavefront6targetE1EEEvT1_
; %bb.0:
	.section	.rodata,"a",@progbits
	.p2align	6, 0x0
	.amdhsa_kernel _ZN7rocprim17ROCPRIM_400000_NS6detail17trampoline_kernelINS0_14default_configENS1_25partition_config_selectorILNS1_17partition_subalgoE6EiNS0_10empty_typeEbEEZZNS1_14partition_implILS5_6ELb0ES3_mPiPS6_SA_NS0_5tupleIJS9_S6_EEENSB_IJSA_SA_EEES6_PlJN6thrust23THRUST_200600_302600_NS6detail9not_fun_tINSH_10functional5actorINSJ_9compositeIJNSJ_27transparent_binary_operatorINSG_8equal_toIvEEEENSK_INSJ_8argumentILj0EEEEENSJ_5valueIiEEEEEEEEEEEE10hipError_tPvRmT3_T4_T5_T6_T7_T9_mT8_P12ihipStream_tbDpT10_ENKUlT_T0_E_clISt17integral_constantIbLb1EES1G_IbLb0EEEEDaS1C_S1D_EUlS1C_E_NS1_11comp_targetILNS1_3genE9ELNS1_11target_archE1100ELNS1_3gpuE3ELNS1_3repE0EEENS1_30default_config_static_selectorELNS0_4arch9wavefront6targetE1EEEvT1_
		.amdhsa_group_segment_fixed_size 0
		.amdhsa_private_segment_fixed_size 0
		.amdhsa_kernarg_size 120
		.amdhsa_user_sgpr_count 6
		.amdhsa_user_sgpr_private_segment_buffer 1
		.amdhsa_user_sgpr_dispatch_ptr 0
		.amdhsa_user_sgpr_queue_ptr 0
		.amdhsa_user_sgpr_kernarg_segment_ptr 1
		.amdhsa_user_sgpr_dispatch_id 0
		.amdhsa_user_sgpr_flat_scratch_init 0
		.amdhsa_user_sgpr_kernarg_preload_length 0
		.amdhsa_user_sgpr_kernarg_preload_offset 0
		.amdhsa_user_sgpr_private_segment_size 0
		.amdhsa_uses_dynamic_stack 0
		.amdhsa_system_sgpr_private_segment_wavefront_offset 0
		.amdhsa_system_sgpr_workgroup_id_x 1
		.amdhsa_system_sgpr_workgroup_id_y 0
		.amdhsa_system_sgpr_workgroup_id_z 0
		.amdhsa_system_sgpr_workgroup_info 0
		.amdhsa_system_vgpr_workitem_id 0
		.amdhsa_next_free_vgpr 1
		.amdhsa_next_free_sgpr 0
		.amdhsa_accum_offset 4
		.amdhsa_reserve_vcc 0
		.amdhsa_reserve_flat_scratch 0
		.amdhsa_float_round_mode_32 0
		.amdhsa_float_round_mode_16_64 0
		.amdhsa_float_denorm_mode_32 3
		.amdhsa_float_denorm_mode_16_64 3
		.amdhsa_dx10_clamp 1
		.amdhsa_ieee_mode 1
		.amdhsa_fp16_overflow 0
		.amdhsa_tg_split 0
		.amdhsa_exception_fp_ieee_invalid_op 0
		.amdhsa_exception_fp_denorm_src 0
		.amdhsa_exception_fp_ieee_div_zero 0
		.amdhsa_exception_fp_ieee_overflow 0
		.amdhsa_exception_fp_ieee_underflow 0
		.amdhsa_exception_fp_ieee_inexact 0
		.amdhsa_exception_int_div_zero 0
	.end_amdhsa_kernel
	.section	.text._ZN7rocprim17ROCPRIM_400000_NS6detail17trampoline_kernelINS0_14default_configENS1_25partition_config_selectorILNS1_17partition_subalgoE6EiNS0_10empty_typeEbEEZZNS1_14partition_implILS5_6ELb0ES3_mPiPS6_SA_NS0_5tupleIJS9_S6_EEENSB_IJSA_SA_EEES6_PlJN6thrust23THRUST_200600_302600_NS6detail9not_fun_tINSH_10functional5actorINSJ_9compositeIJNSJ_27transparent_binary_operatorINSG_8equal_toIvEEEENSK_INSJ_8argumentILj0EEEEENSJ_5valueIiEEEEEEEEEEEE10hipError_tPvRmT3_T4_T5_T6_T7_T9_mT8_P12ihipStream_tbDpT10_ENKUlT_T0_E_clISt17integral_constantIbLb1EES1G_IbLb0EEEEDaS1C_S1D_EUlS1C_E_NS1_11comp_targetILNS1_3genE9ELNS1_11target_archE1100ELNS1_3gpuE3ELNS1_3repE0EEENS1_30default_config_static_selectorELNS0_4arch9wavefront6targetE1EEEvT1_,"axG",@progbits,_ZN7rocprim17ROCPRIM_400000_NS6detail17trampoline_kernelINS0_14default_configENS1_25partition_config_selectorILNS1_17partition_subalgoE6EiNS0_10empty_typeEbEEZZNS1_14partition_implILS5_6ELb0ES3_mPiPS6_SA_NS0_5tupleIJS9_S6_EEENSB_IJSA_SA_EEES6_PlJN6thrust23THRUST_200600_302600_NS6detail9not_fun_tINSH_10functional5actorINSJ_9compositeIJNSJ_27transparent_binary_operatorINSG_8equal_toIvEEEENSK_INSJ_8argumentILj0EEEEENSJ_5valueIiEEEEEEEEEEEE10hipError_tPvRmT3_T4_T5_T6_T7_T9_mT8_P12ihipStream_tbDpT10_ENKUlT_T0_E_clISt17integral_constantIbLb1EES1G_IbLb0EEEEDaS1C_S1D_EUlS1C_E_NS1_11comp_targetILNS1_3genE9ELNS1_11target_archE1100ELNS1_3gpuE3ELNS1_3repE0EEENS1_30default_config_static_selectorELNS0_4arch9wavefront6targetE1EEEvT1_,comdat
.Lfunc_end273:
	.size	_ZN7rocprim17ROCPRIM_400000_NS6detail17trampoline_kernelINS0_14default_configENS1_25partition_config_selectorILNS1_17partition_subalgoE6EiNS0_10empty_typeEbEEZZNS1_14partition_implILS5_6ELb0ES3_mPiPS6_SA_NS0_5tupleIJS9_S6_EEENSB_IJSA_SA_EEES6_PlJN6thrust23THRUST_200600_302600_NS6detail9not_fun_tINSH_10functional5actorINSJ_9compositeIJNSJ_27transparent_binary_operatorINSG_8equal_toIvEEEENSK_INSJ_8argumentILj0EEEEENSJ_5valueIiEEEEEEEEEEEE10hipError_tPvRmT3_T4_T5_T6_T7_T9_mT8_P12ihipStream_tbDpT10_ENKUlT_T0_E_clISt17integral_constantIbLb1EES1G_IbLb0EEEEDaS1C_S1D_EUlS1C_E_NS1_11comp_targetILNS1_3genE9ELNS1_11target_archE1100ELNS1_3gpuE3ELNS1_3repE0EEENS1_30default_config_static_selectorELNS0_4arch9wavefront6targetE1EEEvT1_, .Lfunc_end273-_ZN7rocprim17ROCPRIM_400000_NS6detail17trampoline_kernelINS0_14default_configENS1_25partition_config_selectorILNS1_17partition_subalgoE6EiNS0_10empty_typeEbEEZZNS1_14partition_implILS5_6ELb0ES3_mPiPS6_SA_NS0_5tupleIJS9_S6_EEENSB_IJSA_SA_EEES6_PlJN6thrust23THRUST_200600_302600_NS6detail9not_fun_tINSH_10functional5actorINSJ_9compositeIJNSJ_27transparent_binary_operatorINSG_8equal_toIvEEEENSK_INSJ_8argumentILj0EEEEENSJ_5valueIiEEEEEEEEEEEE10hipError_tPvRmT3_T4_T5_T6_T7_T9_mT8_P12ihipStream_tbDpT10_ENKUlT_T0_E_clISt17integral_constantIbLb1EES1G_IbLb0EEEEDaS1C_S1D_EUlS1C_E_NS1_11comp_targetILNS1_3genE9ELNS1_11target_archE1100ELNS1_3gpuE3ELNS1_3repE0EEENS1_30default_config_static_selectorELNS0_4arch9wavefront6targetE1EEEvT1_
                                        ; -- End function
	.section	.AMDGPU.csdata,"",@progbits
; Kernel info:
; codeLenInByte = 0
; NumSgprs: 4
; NumVgprs: 0
; NumAgprs: 0
; TotalNumVgprs: 0
; ScratchSize: 0
; MemoryBound: 0
; FloatMode: 240
; IeeeMode: 1
; LDSByteSize: 0 bytes/workgroup (compile time only)
; SGPRBlocks: 0
; VGPRBlocks: 0
; NumSGPRsForWavesPerEU: 4
; NumVGPRsForWavesPerEU: 1
; AccumOffset: 4
; Occupancy: 8
; WaveLimiterHint : 0
; COMPUTE_PGM_RSRC2:SCRATCH_EN: 0
; COMPUTE_PGM_RSRC2:USER_SGPR: 6
; COMPUTE_PGM_RSRC2:TRAP_HANDLER: 0
; COMPUTE_PGM_RSRC2:TGID_X_EN: 1
; COMPUTE_PGM_RSRC2:TGID_Y_EN: 0
; COMPUTE_PGM_RSRC2:TGID_Z_EN: 0
; COMPUTE_PGM_RSRC2:TIDIG_COMP_CNT: 0
; COMPUTE_PGM_RSRC3_GFX90A:ACCUM_OFFSET: 0
; COMPUTE_PGM_RSRC3_GFX90A:TG_SPLIT: 0
	.section	.text._ZN7rocprim17ROCPRIM_400000_NS6detail17trampoline_kernelINS0_14default_configENS1_25partition_config_selectorILNS1_17partition_subalgoE6EiNS0_10empty_typeEbEEZZNS1_14partition_implILS5_6ELb0ES3_mPiPS6_SA_NS0_5tupleIJS9_S6_EEENSB_IJSA_SA_EEES6_PlJN6thrust23THRUST_200600_302600_NS6detail9not_fun_tINSH_10functional5actorINSJ_9compositeIJNSJ_27transparent_binary_operatorINSG_8equal_toIvEEEENSK_INSJ_8argumentILj0EEEEENSJ_5valueIiEEEEEEEEEEEE10hipError_tPvRmT3_T4_T5_T6_T7_T9_mT8_P12ihipStream_tbDpT10_ENKUlT_T0_E_clISt17integral_constantIbLb1EES1G_IbLb0EEEEDaS1C_S1D_EUlS1C_E_NS1_11comp_targetILNS1_3genE8ELNS1_11target_archE1030ELNS1_3gpuE2ELNS1_3repE0EEENS1_30default_config_static_selectorELNS0_4arch9wavefront6targetE1EEEvT1_,"axG",@progbits,_ZN7rocprim17ROCPRIM_400000_NS6detail17trampoline_kernelINS0_14default_configENS1_25partition_config_selectorILNS1_17partition_subalgoE6EiNS0_10empty_typeEbEEZZNS1_14partition_implILS5_6ELb0ES3_mPiPS6_SA_NS0_5tupleIJS9_S6_EEENSB_IJSA_SA_EEES6_PlJN6thrust23THRUST_200600_302600_NS6detail9not_fun_tINSH_10functional5actorINSJ_9compositeIJNSJ_27transparent_binary_operatorINSG_8equal_toIvEEEENSK_INSJ_8argumentILj0EEEEENSJ_5valueIiEEEEEEEEEEEE10hipError_tPvRmT3_T4_T5_T6_T7_T9_mT8_P12ihipStream_tbDpT10_ENKUlT_T0_E_clISt17integral_constantIbLb1EES1G_IbLb0EEEEDaS1C_S1D_EUlS1C_E_NS1_11comp_targetILNS1_3genE8ELNS1_11target_archE1030ELNS1_3gpuE2ELNS1_3repE0EEENS1_30default_config_static_selectorELNS0_4arch9wavefront6targetE1EEEvT1_,comdat
	.protected	_ZN7rocprim17ROCPRIM_400000_NS6detail17trampoline_kernelINS0_14default_configENS1_25partition_config_selectorILNS1_17partition_subalgoE6EiNS0_10empty_typeEbEEZZNS1_14partition_implILS5_6ELb0ES3_mPiPS6_SA_NS0_5tupleIJS9_S6_EEENSB_IJSA_SA_EEES6_PlJN6thrust23THRUST_200600_302600_NS6detail9not_fun_tINSH_10functional5actorINSJ_9compositeIJNSJ_27transparent_binary_operatorINSG_8equal_toIvEEEENSK_INSJ_8argumentILj0EEEEENSJ_5valueIiEEEEEEEEEEEE10hipError_tPvRmT3_T4_T5_T6_T7_T9_mT8_P12ihipStream_tbDpT10_ENKUlT_T0_E_clISt17integral_constantIbLb1EES1G_IbLb0EEEEDaS1C_S1D_EUlS1C_E_NS1_11comp_targetILNS1_3genE8ELNS1_11target_archE1030ELNS1_3gpuE2ELNS1_3repE0EEENS1_30default_config_static_selectorELNS0_4arch9wavefront6targetE1EEEvT1_ ; -- Begin function _ZN7rocprim17ROCPRIM_400000_NS6detail17trampoline_kernelINS0_14default_configENS1_25partition_config_selectorILNS1_17partition_subalgoE6EiNS0_10empty_typeEbEEZZNS1_14partition_implILS5_6ELb0ES3_mPiPS6_SA_NS0_5tupleIJS9_S6_EEENSB_IJSA_SA_EEES6_PlJN6thrust23THRUST_200600_302600_NS6detail9not_fun_tINSH_10functional5actorINSJ_9compositeIJNSJ_27transparent_binary_operatorINSG_8equal_toIvEEEENSK_INSJ_8argumentILj0EEEEENSJ_5valueIiEEEEEEEEEEEE10hipError_tPvRmT3_T4_T5_T6_T7_T9_mT8_P12ihipStream_tbDpT10_ENKUlT_T0_E_clISt17integral_constantIbLb1EES1G_IbLb0EEEEDaS1C_S1D_EUlS1C_E_NS1_11comp_targetILNS1_3genE8ELNS1_11target_archE1030ELNS1_3gpuE2ELNS1_3repE0EEENS1_30default_config_static_selectorELNS0_4arch9wavefront6targetE1EEEvT1_
	.globl	_ZN7rocprim17ROCPRIM_400000_NS6detail17trampoline_kernelINS0_14default_configENS1_25partition_config_selectorILNS1_17partition_subalgoE6EiNS0_10empty_typeEbEEZZNS1_14partition_implILS5_6ELb0ES3_mPiPS6_SA_NS0_5tupleIJS9_S6_EEENSB_IJSA_SA_EEES6_PlJN6thrust23THRUST_200600_302600_NS6detail9not_fun_tINSH_10functional5actorINSJ_9compositeIJNSJ_27transparent_binary_operatorINSG_8equal_toIvEEEENSK_INSJ_8argumentILj0EEEEENSJ_5valueIiEEEEEEEEEEEE10hipError_tPvRmT3_T4_T5_T6_T7_T9_mT8_P12ihipStream_tbDpT10_ENKUlT_T0_E_clISt17integral_constantIbLb1EES1G_IbLb0EEEEDaS1C_S1D_EUlS1C_E_NS1_11comp_targetILNS1_3genE8ELNS1_11target_archE1030ELNS1_3gpuE2ELNS1_3repE0EEENS1_30default_config_static_selectorELNS0_4arch9wavefront6targetE1EEEvT1_
	.p2align	8
	.type	_ZN7rocprim17ROCPRIM_400000_NS6detail17trampoline_kernelINS0_14default_configENS1_25partition_config_selectorILNS1_17partition_subalgoE6EiNS0_10empty_typeEbEEZZNS1_14partition_implILS5_6ELb0ES3_mPiPS6_SA_NS0_5tupleIJS9_S6_EEENSB_IJSA_SA_EEES6_PlJN6thrust23THRUST_200600_302600_NS6detail9not_fun_tINSH_10functional5actorINSJ_9compositeIJNSJ_27transparent_binary_operatorINSG_8equal_toIvEEEENSK_INSJ_8argumentILj0EEEEENSJ_5valueIiEEEEEEEEEEEE10hipError_tPvRmT3_T4_T5_T6_T7_T9_mT8_P12ihipStream_tbDpT10_ENKUlT_T0_E_clISt17integral_constantIbLb1EES1G_IbLb0EEEEDaS1C_S1D_EUlS1C_E_NS1_11comp_targetILNS1_3genE8ELNS1_11target_archE1030ELNS1_3gpuE2ELNS1_3repE0EEENS1_30default_config_static_selectorELNS0_4arch9wavefront6targetE1EEEvT1_,@function
_ZN7rocprim17ROCPRIM_400000_NS6detail17trampoline_kernelINS0_14default_configENS1_25partition_config_selectorILNS1_17partition_subalgoE6EiNS0_10empty_typeEbEEZZNS1_14partition_implILS5_6ELb0ES3_mPiPS6_SA_NS0_5tupleIJS9_S6_EEENSB_IJSA_SA_EEES6_PlJN6thrust23THRUST_200600_302600_NS6detail9not_fun_tINSH_10functional5actorINSJ_9compositeIJNSJ_27transparent_binary_operatorINSG_8equal_toIvEEEENSK_INSJ_8argumentILj0EEEEENSJ_5valueIiEEEEEEEEEEEE10hipError_tPvRmT3_T4_T5_T6_T7_T9_mT8_P12ihipStream_tbDpT10_ENKUlT_T0_E_clISt17integral_constantIbLb1EES1G_IbLb0EEEEDaS1C_S1D_EUlS1C_E_NS1_11comp_targetILNS1_3genE8ELNS1_11target_archE1030ELNS1_3gpuE2ELNS1_3repE0EEENS1_30default_config_static_selectorELNS0_4arch9wavefront6targetE1EEEvT1_: ; @_ZN7rocprim17ROCPRIM_400000_NS6detail17trampoline_kernelINS0_14default_configENS1_25partition_config_selectorILNS1_17partition_subalgoE6EiNS0_10empty_typeEbEEZZNS1_14partition_implILS5_6ELb0ES3_mPiPS6_SA_NS0_5tupleIJS9_S6_EEENSB_IJSA_SA_EEES6_PlJN6thrust23THRUST_200600_302600_NS6detail9not_fun_tINSH_10functional5actorINSJ_9compositeIJNSJ_27transparent_binary_operatorINSG_8equal_toIvEEEENSK_INSJ_8argumentILj0EEEEENSJ_5valueIiEEEEEEEEEEEE10hipError_tPvRmT3_T4_T5_T6_T7_T9_mT8_P12ihipStream_tbDpT10_ENKUlT_T0_E_clISt17integral_constantIbLb1EES1G_IbLb0EEEEDaS1C_S1D_EUlS1C_E_NS1_11comp_targetILNS1_3genE8ELNS1_11target_archE1030ELNS1_3gpuE2ELNS1_3repE0EEENS1_30default_config_static_selectorELNS0_4arch9wavefront6targetE1EEEvT1_
; %bb.0:
	.section	.rodata,"a",@progbits
	.p2align	6, 0x0
	.amdhsa_kernel _ZN7rocprim17ROCPRIM_400000_NS6detail17trampoline_kernelINS0_14default_configENS1_25partition_config_selectorILNS1_17partition_subalgoE6EiNS0_10empty_typeEbEEZZNS1_14partition_implILS5_6ELb0ES3_mPiPS6_SA_NS0_5tupleIJS9_S6_EEENSB_IJSA_SA_EEES6_PlJN6thrust23THRUST_200600_302600_NS6detail9not_fun_tINSH_10functional5actorINSJ_9compositeIJNSJ_27transparent_binary_operatorINSG_8equal_toIvEEEENSK_INSJ_8argumentILj0EEEEENSJ_5valueIiEEEEEEEEEEEE10hipError_tPvRmT3_T4_T5_T6_T7_T9_mT8_P12ihipStream_tbDpT10_ENKUlT_T0_E_clISt17integral_constantIbLb1EES1G_IbLb0EEEEDaS1C_S1D_EUlS1C_E_NS1_11comp_targetILNS1_3genE8ELNS1_11target_archE1030ELNS1_3gpuE2ELNS1_3repE0EEENS1_30default_config_static_selectorELNS0_4arch9wavefront6targetE1EEEvT1_
		.amdhsa_group_segment_fixed_size 0
		.amdhsa_private_segment_fixed_size 0
		.amdhsa_kernarg_size 120
		.amdhsa_user_sgpr_count 6
		.amdhsa_user_sgpr_private_segment_buffer 1
		.amdhsa_user_sgpr_dispatch_ptr 0
		.amdhsa_user_sgpr_queue_ptr 0
		.amdhsa_user_sgpr_kernarg_segment_ptr 1
		.amdhsa_user_sgpr_dispatch_id 0
		.amdhsa_user_sgpr_flat_scratch_init 0
		.amdhsa_user_sgpr_kernarg_preload_length 0
		.amdhsa_user_sgpr_kernarg_preload_offset 0
		.amdhsa_user_sgpr_private_segment_size 0
		.amdhsa_uses_dynamic_stack 0
		.amdhsa_system_sgpr_private_segment_wavefront_offset 0
		.amdhsa_system_sgpr_workgroup_id_x 1
		.amdhsa_system_sgpr_workgroup_id_y 0
		.amdhsa_system_sgpr_workgroup_id_z 0
		.amdhsa_system_sgpr_workgroup_info 0
		.amdhsa_system_vgpr_workitem_id 0
		.amdhsa_next_free_vgpr 1
		.amdhsa_next_free_sgpr 0
		.amdhsa_accum_offset 4
		.amdhsa_reserve_vcc 0
		.amdhsa_reserve_flat_scratch 0
		.amdhsa_float_round_mode_32 0
		.amdhsa_float_round_mode_16_64 0
		.amdhsa_float_denorm_mode_32 3
		.amdhsa_float_denorm_mode_16_64 3
		.amdhsa_dx10_clamp 1
		.amdhsa_ieee_mode 1
		.amdhsa_fp16_overflow 0
		.amdhsa_tg_split 0
		.amdhsa_exception_fp_ieee_invalid_op 0
		.amdhsa_exception_fp_denorm_src 0
		.amdhsa_exception_fp_ieee_div_zero 0
		.amdhsa_exception_fp_ieee_overflow 0
		.amdhsa_exception_fp_ieee_underflow 0
		.amdhsa_exception_fp_ieee_inexact 0
		.amdhsa_exception_int_div_zero 0
	.end_amdhsa_kernel
	.section	.text._ZN7rocprim17ROCPRIM_400000_NS6detail17trampoline_kernelINS0_14default_configENS1_25partition_config_selectorILNS1_17partition_subalgoE6EiNS0_10empty_typeEbEEZZNS1_14partition_implILS5_6ELb0ES3_mPiPS6_SA_NS0_5tupleIJS9_S6_EEENSB_IJSA_SA_EEES6_PlJN6thrust23THRUST_200600_302600_NS6detail9not_fun_tINSH_10functional5actorINSJ_9compositeIJNSJ_27transparent_binary_operatorINSG_8equal_toIvEEEENSK_INSJ_8argumentILj0EEEEENSJ_5valueIiEEEEEEEEEEEE10hipError_tPvRmT3_T4_T5_T6_T7_T9_mT8_P12ihipStream_tbDpT10_ENKUlT_T0_E_clISt17integral_constantIbLb1EES1G_IbLb0EEEEDaS1C_S1D_EUlS1C_E_NS1_11comp_targetILNS1_3genE8ELNS1_11target_archE1030ELNS1_3gpuE2ELNS1_3repE0EEENS1_30default_config_static_selectorELNS0_4arch9wavefront6targetE1EEEvT1_,"axG",@progbits,_ZN7rocprim17ROCPRIM_400000_NS6detail17trampoline_kernelINS0_14default_configENS1_25partition_config_selectorILNS1_17partition_subalgoE6EiNS0_10empty_typeEbEEZZNS1_14partition_implILS5_6ELb0ES3_mPiPS6_SA_NS0_5tupleIJS9_S6_EEENSB_IJSA_SA_EEES6_PlJN6thrust23THRUST_200600_302600_NS6detail9not_fun_tINSH_10functional5actorINSJ_9compositeIJNSJ_27transparent_binary_operatorINSG_8equal_toIvEEEENSK_INSJ_8argumentILj0EEEEENSJ_5valueIiEEEEEEEEEEEE10hipError_tPvRmT3_T4_T5_T6_T7_T9_mT8_P12ihipStream_tbDpT10_ENKUlT_T0_E_clISt17integral_constantIbLb1EES1G_IbLb0EEEEDaS1C_S1D_EUlS1C_E_NS1_11comp_targetILNS1_3genE8ELNS1_11target_archE1030ELNS1_3gpuE2ELNS1_3repE0EEENS1_30default_config_static_selectorELNS0_4arch9wavefront6targetE1EEEvT1_,comdat
.Lfunc_end274:
	.size	_ZN7rocprim17ROCPRIM_400000_NS6detail17trampoline_kernelINS0_14default_configENS1_25partition_config_selectorILNS1_17partition_subalgoE6EiNS0_10empty_typeEbEEZZNS1_14partition_implILS5_6ELb0ES3_mPiPS6_SA_NS0_5tupleIJS9_S6_EEENSB_IJSA_SA_EEES6_PlJN6thrust23THRUST_200600_302600_NS6detail9not_fun_tINSH_10functional5actorINSJ_9compositeIJNSJ_27transparent_binary_operatorINSG_8equal_toIvEEEENSK_INSJ_8argumentILj0EEEEENSJ_5valueIiEEEEEEEEEEEE10hipError_tPvRmT3_T4_T5_T6_T7_T9_mT8_P12ihipStream_tbDpT10_ENKUlT_T0_E_clISt17integral_constantIbLb1EES1G_IbLb0EEEEDaS1C_S1D_EUlS1C_E_NS1_11comp_targetILNS1_3genE8ELNS1_11target_archE1030ELNS1_3gpuE2ELNS1_3repE0EEENS1_30default_config_static_selectorELNS0_4arch9wavefront6targetE1EEEvT1_, .Lfunc_end274-_ZN7rocprim17ROCPRIM_400000_NS6detail17trampoline_kernelINS0_14default_configENS1_25partition_config_selectorILNS1_17partition_subalgoE6EiNS0_10empty_typeEbEEZZNS1_14partition_implILS5_6ELb0ES3_mPiPS6_SA_NS0_5tupleIJS9_S6_EEENSB_IJSA_SA_EEES6_PlJN6thrust23THRUST_200600_302600_NS6detail9not_fun_tINSH_10functional5actorINSJ_9compositeIJNSJ_27transparent_binary_operatorINSG_8equal_toIvEEEENSK_INSJ_8argumentILj0EEEEENSJ_5valueIiEEEEEEEEEEEE10hipError_tPvRmT3_T4_T5_T6_T7_T9_mT8_P12ihipStream_tbDpT10_ENKUlT_T0_E_clISt17integral_constantIbLb1EES1G_IbLb0EEEEDaS1C_S1D_EUlS1C_E_NS1_11comp_targetILNS1_3genE8ELNS1_11target_archE1030ELNS1_3gpuE2ELNS1_3repE0EEENS1_30default_config_static_selectorELNS0_4arch9wavefront6targetE1EEEvT1_
                                        ; -- End function
	.section	.AMDGPU.csdata,"",@progbits
; Kernel info:
; codeLenInByte = 0
; NumSgprs: 4
; NumVgprs: 0
; NumAgprs: 0
; TotalNumVgprs: 0
; ScratchSize: 0
; MemoryBound: 0
; FloatMode: 240
; IeeeMode: 1
; LDSByteSize: 0 bytes/workgroup (compile time only)
; SGPRBlocks: 0
; VGPRBlocks: 0
; NumSGPRsForWavesPerEU: 4
; NumVGPRsForWavesPerEU: 1
; AccumOffset: 4
; Occupancy: 8
; WaveLimiterHint : 0
; COMPUTE_PGM_RSRC2:SCRATCH_EN: 0
; COMPUTE_PGM_RSRC2:USER_SGPR: 6
; COMPUTE_PGM_RSRC2:TRAP_HANDLER: 0
; COMPUTE_PGM_RSRC2:TGID_X_EN: 1
; COMPUTE_PGM_RSRC2:TGID_Y_EN: 0
; COMPUTE_PGM_RSRC2:TGID_Z_EN: 0
; COMPUTE_PGM_RSRC2:TIDIG_COMP_CNT: 0
; COMPUTE_PGM_RSRC3_GFX90A:ACCUM_OFFSET: 0
; COMPUTE_PGM_RSRC3_GFX90A:TG_SPLIT: 0
	.section	.text._ZN7rocprim17ROCPRIM_400000_NS6detail17trampoline_kernelINS0_14default_configENS1_25partition_config_selectorILNS1_17partition_subalgoE6EiNS0_10empty_typeEbEEZZNS1_14partition_implILS5_6ELb0ES3_mPiPS6_SA_NS0_5tupleIJS9_S6_EEENSB_IJSA_SA_EEES6_PlJN6thrust23THRUST_200600_302600_NS6detail9not_fun_tINSH_10functional5actorINSJ_9compositeIJNSJ_27transparent_binary_operatorINSG_8equal_toIvEEEENSK_INSJ_8argumentILj0EEEEENSJ_5valueIiEEEEEEEEEEEE10hipError_tPvRmT3_T4_T5_T6_T7_T9_mT8_P12ihipStream_tbDpT10_ENKUlT_T0_E_clISt17integral_constantIbLb0EES1G_IbLb1EEEEDaS1C_S1D_EUlS1C_E_NS1_11comp_targetILNS1_3genE0ELNS1_11target_archE4294967295ELNS1_3gpuE0ELNS1_3repE0EEENS1_30default_config_static_selectorELNS0_4arch9wavefront6targetE1EEEvT1_,"axG",@progbits,_ZN7rocprim17ROCPRIM_400000_NS6detail17trampoline_kernelINS0_14default_configENS1_25partition_config_selectorILNS1_17partition_subalgoE6EiNS0_10empty_typeEbEEZZNS1_14partition_implILS5_6ELb0ES3_mPiPS6_SA_NS0_5tupleIJS9_S6_EEENSB_IJSA_SA_EEES6_PlJN6thrust23THRUST_200600_302600_NS6detail9not_fun_tINSH_10functional5actorINSJ_9compositeIJNSJ_27transparent_binary_operatorINSG_8equal_toIvEEEENSK_INSJ_8argumentILj0EEEEENSJ_5valueIiEEEEEEEEEEEE10hipError_tPvRmT3_T4_T5_T6_T7_T9_mT8_P12ihipStream_tbDpT10_ENKUlT_T0_E_clISt17integral_constantIbLb0EES1G_IbLb1EEEEDaS1C_S1D_EUlS1C_E_NS1_11comp_targetILNS1_3genE0ELNS1_11target_archE4294967295ELNS1_3gpuE0ELNS1_3repE0EEENS1_30default_config_static_selectorELNS0_4arch9wavefront6targetE1EEEvT1_,comdat
	.protected	_ZN7rocprim17ROCPRIM_400000_NS6detail17trampoline_kernelINS0_14default_configENS1_25partition_config_selectorILNS1_17partition_subalgoE6EiNS0_10empty_typeEbEEZZNS1_14partition_implILS5_6ELb0ES3_mPiPS6_SA_NS0_5tupleIJS9_S6_EEENSB_IJSA_SA_EEES6_PlJN6thrust23THRUST_200600_302600_NS6detail9not_fun_tINSH_10functional5actorINSJ_9compositeIJNSJ_27transparent_binary_operatorINSG_8equal_toIvEEEENSK_INSJ_8argumentILj0EEEEENSJ_5valueIiEEEEEEEEEEEE10hipError_tPvRmT3_T4_T5_T6_T7_T9_mT8_P12ihipStream_tbDpT10_ENKUlT_T0_E_clISt17integral_constantIbLb0EES1G_IbLb1EEEEDaS1C_S1D_EUlS1C_E_NS1_11comp_targetILNS1_3genE0ELNS1_11target_archE4294967295ELNS1_3gpuE0ELNS1_3repE0EEENS1_30default_config_static_selectorELNS0_4arch9wavefront6targetE1EEEvT1_ ; -- Begin function _ZN7rocprim17ROCPRIM_400000_NS6detail17trampoline_kernelINS0_14default_configENS1_25partition_config_selectorILNS1_17partition_subalgoE6EiNS0_10empty_typeEbEEZZNS1_14partition_implILS5_6ELb0ES3_mPiPS6_SA_NS0_5tupleIJS9_S6_EEENSB_IJSA_SA_EEES6_PlJN6thrust23THRUST_200600_302600_NS6detail9not_fun_tINSH_10functional5actorINSJ_9compositeIJNSJ_27transparent_binary_operatorINSG_8equal_toIvEEEENSK_INSJ_8argumentILj0EEEEENSJ_5valueIiEEEEEEEEEEEE10hipError_tPvRmT3_T4_T5_T6_T7_T9_mT8_P12ihipStream_tbDpT10_ENKUlT_T0_E_clISt17integral_constantIbLb0EES1G_IbLb1EEEEDaS1C_S1D_EUlS1C_E_NS1_11comp_targetILNS1_3genE0ELNS1_11target_archE4294967295ELNS1_3gpuE0ELNS1_3repE0EEENS1_30default_config_static_selectorELNS0_4arch9wavefront6targetE1EEEvT1_
	.globl	_ZN7rocprim17ROCPRIM_400000_NS6detail17trampoline_kernelINS0_14default_configENS1_25partition_config_selectorILNS1_17partition_subalgoE6EiNS0_10empty_typeEbEEZZNS1_14partition_implILS5_6ELb0ES3_mPiPS6_SA_NS0_5tupleIJS9_S6_EEENSB_IJSA_SA_EEES6_PlJN6thrust23THRUST_200600_302600_NS6detail9not_fun_tINSH_10functional5actorINSJ_9compositeIJNSJ_27transparent_binary_operatorINSG_8equal_toIvEEEENSK_INSJ_8argumentILj0EEEEENSJ_5valueIiEEEEEEEEEEEE10hipError_tPvRmT3_T4_T5_T6_T7_T9_mT8_P12ihipStream_tbDpT10_ENKUlT_T0_E_clISt17integral_constantIbLb0EES1G_IbLb1EEEEDaS1C_S1D_EUlS1C_E_NS1_11comp_targetILNS1_3genE0ELNS1_11target_archE4294967295ELNS1_3gpuE0ELNS1_3repE0EEENS1_30default_config_static_selectorELNS0_4arch9wavefront6targetE1EEEvT1_
	.p2align	8
	.type	_ZN7rocprim17ROCPRIM_400000_NS6detail17trampoline_kernelINS0_14default_configENS1_25partition_config_selectorILNS1_17partition_subalgoE6EiNS0_10empty_typeEbEEZZNS1_14partition_implILS5_6ELb0ES3_mPiPS6_SA_NS0_5tupleIJS9_S6_EEENSB_IJSA_SA_EEES6_PlJN6thrust23THRUST_200600_302600_NS6detail9not_fun_tINSH_10functional5actorINSJ_9compositeIJNSJ_27transparent_binary_operatorINSG_8equal_toIvEEEENSK_INSJ_8argumentILj0EEEEENSJ_5valueIiEEEEEEEEEEEE10hipError_tPvRmT3_T4_T5_T6_T7_T9_mT8_P12ihipStream_tbDpT10_ENKUlT_T0_E_clISt17integral_constantIbLb0EES1G_IbLb1EEEEDaS1C_S1D_EUlS1C_E_NS1_11comp_targetILNS1_3genE0ELNS1_11target_archE4294967295ELNS1_3gpuE0ELNS1_3repE0EEENS1_30default_config_static_selectorELNS0_4arch9wavefront6targetE1EEEvT1_,@function
_ZN7rocprim17ROCPRIM_400000_NS6detail17trampoline_kernelINS0_14default_configENS1_25partition_config_selectorILNS1_17partition_subalgoE6EiNS0_10empty_typeEbEEZZNS1_14partition_implILS5_6ELb0ES3_mPiPS6_SA_NS0_5tupleIJS9_S6_EEENSB_IJSA_SA_EEES6_PlJN6thrust23THRUST_200600_302600_NS6detail9not_fun_tINSH_10functional5actorINSJ_9compositeIJNSJ_27transparent_binary_operatorINSG_8equal_toIvEEEENSK_INSJ_8argumentILj0EEEEENSJ_5valueIiEEEEEEEEEEEE10hipError_tPvRmT3_T4_T5_T6_T7_T9_mT8_P12ihipStream_tbDpT10_ENKUlT_T0_E_clISt17integral_constantIbLb0EES1G_IbLb1EEEEDaS1C_S1D_EUlS1C_E_NS1_11comp_targetILNS1_3genE0ELNS1_11target_archE4294967295ELNS1_3gpuE0ELNS1_3repE0EEENS1_30default_config_static_selectorELNS0_4arch9wavefront6targetE1EEEvT1_: ; @_ZN7rocprim17ROCPRIM_400000_NS6detail17trampoline_kernelINS0_14default_configENS1_25partition_config_selectorILNS1_17partition_subalgoE6EiNS0_10empty_typeEbEEZZNS1_14partition_implILS5_6ELb0ES3_mPiPS6_SA_NS0_5tupleIJS9_S6_EEENSB_IJSA_SA_EEES6_PlJN6thrust23THRUST_200600_302600_NS6detail9not_fun_tINSH_10functional5actorINSJ_9compositeIJNSJ_27transparent_binary_operatorINSG_8equal_toIvEEEENSK_INSJ_8argumentILj0EEEEENSJ_5valueIiEEEEEEEEEEEE10hipError_tPvRmT3_T4_T5_T6_T7_T9_mT8_P12ihipStream_tbDpT10_ENKUlT_T0_E_clISt17integral_constantIbLb0EES1G_IbLb1EEEEDaS1C_S1D_EUlS1C_E_NS1_11comp_targetILNS1_3genE0ELNS1_11target_archE4294967295ELNS1_3gpuE0ELNS1_3repE0EEENS1_30default_config_static_selectorELNS0_4arch9wavefront6targetE1EEEvT1_
; %bb.0:
	.section	.rodata,"a",@progbits
	.p2align	6, 0x0
	.amdhsa_kernel _ZN7rocprim17ROCPRIM_400000_NS6detail17trampoline_kernelINS0_14default_configENS1_25partition_config_selectorILNS1_17partition_subalgoE6EiNS0_10empty_typeEbEEZZNS1_14partition_implILS5_6ELb0ES3_mPiPS6_SA_NS0_5tupleIJS9_S6_EEENSB_IJSA_SA_EEES6_PlJN6thrust23THRUST_200600_302600_NS6detail9not_fun_tINSH_10functional5actorINSJ_9compositeIJNSJ_27transparent_binary_operatorINSG_8equal_toIvEEEENSK_INSJ_8argumentILj0EEEEENSJ_5valueIiEEEEEEEEEEEE10hipError_tPvRmT3_T4_T5_T6_T7_T9_mT8_P12ihipStream_tbDpT10_ENKUlT_T0_E_clISt17integral_constantIbLb0EES1G_IbLb1EEEEDaS1C_S1D_EUlS1C_E_NS1_11comp_targetILNS1_3genE0ELNS1_11target_archE4294967295ELNS1_3gpuE0ELNS1_3repE0EEENS1_30default_config_static_selectorELNS0_4arch9wavefront6targetE1EEEvT1_
		.amdhsa_group_segment_fixed_size 0
		.amdhsa_private_segment_fixed_size 0
		.amdhsa_kernarg_size 128
		.amdhsa_user_sgpr_count 6
		.amdhsa_user_sgpr_private_segment_buffer 1
		.amdhsa_user_sgpr_dispatch_ptr 0
		.amdhsa_user_sgpr_queue_ptr 0
		.amdhsa_user_sgpr_kernarg_segment_ptr 1
		.amdhsa_user_sgpr_dispatch_id 0
		.amdhsa_user_sgpr_flat_scratch_init 0
		.amdhsa_user_sgpr_kernarg_preload_length 0
		.amdhsa_user_sgpr_kernarg_preload_offset 0
		.amdhsa_user_sgpr_private_segment_size 0
		.amdhsa_uses_dynamic_stack 0
		.amdhsa_system_sgpr_private_segment_wavefront_offset 0
		.amdhsa_system_sgpr_workgroup_id_x 1
		.amdhsa_system_sgpr_workgroup_id_y 0
		.amdhsa_system_sgpr_workgroup_id_z 0
		.amdhsa_system_sgpr_workgroup_info 0
		.amdhsa_system_vgpr_workitem_id 0
		.amdhsa_next_free_vgpr 1
		.amdhsa_next_free_sgpr 0
		.amdhsa_accum_offset 4
		.amdhsa_reserve_vcc 0
		.amdhsa_reserve_flat_scratch 0
		.amdhsa_float_round_mode_32 0
		.amdhsa_float_round_mode_16_64 0
		.amdhsa_float_denorm_mode_32 3
		.amdhsa_float_denorm_mode_16_64 3
		.amdhsa_dx10_clamp 1
		.amdhsa_ieee_mode 1
		.amdhsa_fp16_overflow 0
		.amdhsa_tg_split 0
		.amdhsa_exception_fp_ieee_invalid_op 0
		.amdhsa_exception_fp_denorm_src 0
		.amdhsa_exception_fp_ieee_div_zero 0
		.amdhsa_exception_fp_ieee_overflow 0
		.amdhsa_exception_fp_ieee_underflow 0
		.amdhsa_exception_fp_ieee_inexact 0
		.amdhsa_exception_int_div_zero 0
	.end_amdhsa_kernel
	.section	.text._ZN7rocprim17ROCPRIM_400000_NS6detail17trampoline_kernelINS0_14default_configENS1_25partition_config_selectorILNS1_17partition_subalgoE6EiNS0_10empty_typeEbEEZZNS1_14partition_implILS5_6ELb0ES3_mPiPS6_SA_NS0_5tupleIJS9_S6_EEENSB_IJSA_SA_EEES6_PlJN6thrust23THRUST_200600_302600_NS6detail9not_fun_tINSH_10functional5actorINSJ_9compositeIJNSJ_27transparent_binary_operatorINSG_8equal_toIvEEEENSK_INSJ_8argumentILj0EEEEENSJ_5valueIiEEEEEEEEEEEE10hipError_tPvRmT3_T4_T5_T6_T7_T9_mT8_P12ihipStream_tbDpT10_ENKUlT_T0_E_clISt17integral_constantIbLb0EES1G_IbLb1EEEEDaS1C_S1D_EUlS1C_E_NS1_11comp_targetILNS1_3genE0ELNS1_11target_archE4294967295ELNS1_3gpuE0ELNS1_3repE0EEENS1_30default_config_static_selectorELNS0_4arch9wavefront6targetE1EEEvT1_,"axG",@progbits,_ZN7rocprim17ROCPRIM_400000_NS6detail17trampoline_kernelINS0_14default_configENS1_25partition_config_selectorILNS1_17partition_subalgoE6EiNS0_10empty_typeEbEEZZNS1_14partition_implILS5_6ELb0ES3_mPiPS6_SA_NS0_5tupleIJS9_S6_EEENSB_IJSA_SA_EEES6_PlJN6thrust23THRUST_200600_302600_NS6detail9not_fun_tINSH_10functional5actorINSJ_9compositeIJNSJ_27transparent_binary_operatorINSG_8equal_toIvEEEENSK_INSJ_8argumentILj0EEEEENSJ_5valueIiEEEEEEEEEEEE10hipError_tPvRmT3_T4_T5_T6_T7_T9_mT8_P12ihipStream_tbDpT10_ENKUlT_T0_E_clISt17integral_constantIbLb0EES1G_IbLb1EEEEDaS1C_S1D_EUlS1C_E_NS1_11comp_targetILNS1_3genE0ELNS1_11target_archE4294967295ELNS1_3gpuE0ELNS1_3repE0EEENS1_30default_config_static_selectorELNS0_4arch9wavefront6targetE1EEEvT1_,comdat
.Lfunc_end275:
	.size	_ZN7rocprim17ROCPRIM_400000_NS6detail17trampoline_kernelINS0_14default_configENS1_25partition_config_selectorILNS1_17partition_subalgoE6EiNS0_10empty_typeEbEEZZNS1_14partition_implILS5_6ELb0ES3_mPiPS6_SA_NS0_5tupleIJS9_S6_EEENSB_IJSA_SA_EEES6_PlJN6thrust23THRUST_200600_302600_NS6detail9not_fun_tINSH_10functional5actorINSJ_9compositeIJNSJ_27transparent_binary_operatorINSG_8equal_toIvEEEENSK_INSJ_8argumentILj0EEEEENSJ_5valueIiEEEEEEEEEEEE10hipError_tPvRmT3_T4_T5_T6_T7_T9_mT8_P12ihipStream_tbDpT10_ENKUlT_T0_E_clISt17integral_constantIbLb0EES1G_IbLb1EEEEDaS1C_S1D_EUlS1C_E_NS1_11comp_targetILNS1_3genE0ELNS1_11target_archE4294967295ELNS1_3gpuE0ELNS1_3repE0EEENS1_30default_config_static_selectorELNS0_4arch9wavefront6targetE1EEEvT1_, .Lfunc_end275-_ZN7rocprim17ROCPRIM_400000_NS6detail17trampoline_kernelINS0_14default_configENS1_25partition_config_selectorILNS1_17partition_subalgoE6EiNS0_10empty_typeEbEEZZNS1_14partition_implILS5_6ELb0ES3_mPiPS6_SA_NS0_5tupleIJS9_S6_EEENSB_IJSA_SA_EEES6_PlJN6thrust23THRUST_200600_302600_NS6detail9not_fun_tINSH_10functional5actorINSJ_9compositeIJNSJ_27transparent_binary_operatorINSG_8equal_toIvEEEENSK_INSJ_8argumentILj0EEEEENSJ_5valueIiEEEEEEEEEEEE10hipError_tPvRmT3_T4_T5_T6_T7_T9_mT8_P12ihipStream_tbDpT10_ENKUlT_T0_E_clISt17integral_constantIbLb0EES1G_IbLb1EEEEDaS1C_S1D_EUlS1C_E_NS1_11comp_targetILNS1_3genE0ELNS1_11target_archE4294967295ELNS1_3gpuE0ELNS1_3repE0EEENS1_30default_config_static_selectorELNS0_4arch9wavefront6targetE1EEEvT1_
                                        ; -- End function
	.section	.AMDGPU.csdata,"",@progbits
; Kernel info:
; codeLenInByte = 0
; NumSgprs: 4
; NumVgprs: 0
; NumAgprs: 0
; TotalNumVgprs: 0
; ScratchSize: 0
; MemoryBound: 0
; FloatMode: 240
; IeeeMode: 1
; LDSByteSize: 0 bytes/workgroup (compile time only)
; SGPRBlocks: 0
; VGPRBlocks: 0
; NumSGPRsForWavesPerEU: 4
; NumVGPRsForWavesPerEU: 1
; AccumOffset: 4
; Occupancy: 8
; WaveLimiterHint : 0
; COMPUTE_PGM_RSRC2:SCRATCH_EN: 0
; COMPUTE_PGM_RSRC2:USER_SGPR: 6
; COMPUTE_PGM_RSRC2:TRAP_HANDLER: 0
; COMPUTE_PGM_RSRC2:TGID_X_EN: 1
; COMPUTE_PGM_RSRC2:TGID_Y_EN: 0
; COMPUTE_PGM_RSRC2:TGID_Z_EN: 0
; COMPUTE_PGM_RSRC2:TIDIG_COMP_CNT: 0
; COMPUTE_PGM_RSRC3_GFX90A:ACCUM_OFFSET: 0
; COMPUTE_PGM_RSRC3_GFX90A:TG_SPLIT: 0
	.section	.text._ZN7rocprim17ROCPRIM_400000_NS6detail17trampoline_kernelINS0_14default_configENS1_25partition_config_selectorILNS1_17partition_subalgoE6EiNS0_10empty_typeEbEEZZNS1_14partition_implILS5_6ELb0ES3_mPiPS6_SA_NS0_5tupleIJS9_S6_EEENSB_IJSA_SA_EEES6_PlJN6thrust23THRUST_200600_302600_NS6detail9not_fun_tINSH_10functional5actorINSJ_9compositeIJNSJ_27transparent_binary_operatorINSG_8equal_toIvEEEENSK_INSJ_8argumentILj0EEEEENSJ_5valueIiEEEEEEEEEEEE10hipError_tPvRmT3_T4_T5_T6_T7_T9_mT8_P12ihipStream_tbDpT10_ENKUlT_T0_E_clISt17integral_constantIbLb0EES1G_IbLb1EEEEDaS1C_S1D_EUlS1C_E_NS1_11comp_targetILNS1_3genE5ELNS1_11target_archE942ELNS1_3gpuE9ELNS1_3repE0EEENS1_30default_config_static_selectorELNS0_4arch9wavefront6targetE1EEEvT1_,"axG",@progbits,_ZN7rocprim17ROCPRIM_400000_NS6detail17trampoline_kernelINS0_14default_configENS1_25partition_config_selectorILNS1_17partition_subalgoE6EiNS0_10empty_typeEbEEZZNS1_14partition_implILS5_6ELb0ES3_mPiPS6_SA_NS0_5tupleIJS9_S6_EEENSB_IJSA_SA_EEES6_PlJN6thrust23THRUST_200600_302600_NS6detail9not_fun_tINSH_10functional5actorINSJ_9compositeIJNSJ_27transparent_binary_operatorINSG_8equal_toIvEEEENSK_INSJ_8argumentILj0EEEEENSJ_5valueIiEEEEEEEEEEEE10hipError_tPvRmT3_T4_T5_T6_T7_T9_mT8_P12ihipStream_tbDpT10_ENKUlT_T0_E_clISt17integral_constantIbLb0EES1G_IbLb1EEEEDaS1C_S1D_EUlS1C_E_NS1_11comp_targetILNS1_3genE5ELNS1_11target_archE942ELNS1_3gpuE9ELNS1_3repE0EEENS1_30default_config_static_selectorELNS0_4arch9wavefront6targetE1EEEvT1_,comdat
	.protected	_ZN7rocprim17ROCPRIM_400000_NS6detail17trampoline_kernelINS0_14default_configENS1_25partition_config_selectorILNS1_17partition_subalgoE6EiNS0_10empty_typeEbEEZZNS1_14partition_implILS5_6ELb0ES3_mPiPS6_SA_NS0_5tupleIJS9_S6_EEENSB_IJSA_SA_EEES6_PlJN6thrust23THRUST_200600_302600_NS6detail9not_fun_tINSH_10functional5actorINSJ_9compositeIJNSJ_27transparent_binary_operatorINSG_8equal_toIvEEEENSK_INSJ_8argumentILj0EEEEENSJ_5valueIiEEEEEEEEEEEE10hipError_tPvRmT3_T4_T5_T6_T7_T9_mT8_P12ihipStream_tbDpT10_ENKUlT_T0_E_clISt17integral_constantIbLb0EES1G_IbLb1EEEEDaS1C_S1D_EUlS1C_E_NS1_11comp_targetILNS1_3genE5ELNS1_11target_archE942ELNS1_3gpuE9ELNS1_3repE0EEENS1_30default_config_static_selectorELNS0_4arch9wavefront6targetE1EEEvT1_ ; -- Begin function _ZN7rocprim17ROCPRIM_400000_NS6detail17trampoline_kernelINS0_14default_configENS1_25partition_config_selectorILNS1_17partition_subalgoE6EiNS0_10empty_typeEbEEZZNS1_14partition_implILS5_6ELb0ES3_mPiPS6_SA_NS0_5tupleIJS9_S6_EEENSB_IJSA_SA_EEES6_PlJN6thrust23THRUST_200600_302600_NS6detail9not_fun_tINSH_10functional5actorINSJ_9compositeIJNSJ_27transparent_binary_operatorINSG_8equal_toIvEEEENSK_INSJ_8argumentILj0EEEEENSJ_5valueIiEEEEEEEEEEEE10hipError_tPvRmT3_T4_T5_T6_T7_T9_mT8_P12ihipStream_tbDpT10_ENKUlT_T0_E_clISt17integral_constantIbLb0EES1G_IbLb1EEEEDaS1C_S1D_EUlS1C_E_NS1_11comp_targetILNS1_3genE5ELNS1_11target_archE942ELNS1_3gpuE9ELNS1_3repE0EEENS1_30default_config_static_selectorELNS0_4arch9wavefront6targetE1EEEvT1_
	.globl	_ZN7rocprim17ROCPRIM_400000_NS6detail17trampoline_kernelINS0_14default_configENS1_25partition_config_selectorILNS1_17partition_subalgoE6EiNS0_10empty_typeEbEEZZNS1_14partition_implILS5_6ELb0ES3_mPiPS6_SA_NS0_5tupleIJS9_S6_EEENSB_IJSA_SA_EEES6_PlJN6thrust23THRUST_200600_302600_NS6detail9not_fun_tINSH_10functional5actorINSJ_9compositeIJNSJ_27transparent_binary_operatorINSG_8equal_toIvEEEENSK_INSJ_8argumentILj0EEEEENSJ_5valueIiEEEEEEEEEEEE10hipError_tPvRmT3_T4_T5_T6_T7_T9_mT8_P12ihipStream_tbDpT10_ENKUlT_T0_E_clISt17integral_constantIbLb0EES1G_IbLb1EEEEDaS1C_S1D_EUlS1C_E_NS1_11comp_targetILNS1_3genE5ELNS1_11target_archE942ELNS1_3gpuE9ELNS1_3repE0EEENS1_30default_config_static_selectorELNS0_4arch9wavefront6targetE1EEEvT1_
	.p2align	8
	.type	_ZN7rocprim17ROCPRIM_400000_NS6detail17trampoline_kernelINS0_14default_configENS1_25partition_config_selectorILNS1_17partition_subalgoE6EiNS0_10empty_typeEbEEZZNS1_14partition_implILS5_6ELb0ES3_mPiPS6_SA_NS0_5tupleIJS9_S6_EEENSB_IJSA_SA_EEES6_PlJN6thrust23THRUST_200600_302600_NS6detail9not_fun_tINSH_10functional5actorINSJ_9compositeIJNSJ_27transparent_binary_operatorINSG_8equal_toIvEEEENSK_INSJ_8argumentILj0EEEEENSJ_5valueIiEEEEEEEEEEEE10hipError_tPvRmT3_T4_T5_T6_T7_T9_mT8_P12ihipStream_tbDpT10_ENKUlT_T0_E_clISt17integral_constantIbLb0EES1G_IbLb1EEEEDaS1C_S1D_EUlS1C_E_NS1_11comp_targetILNS1_3genE5ELNS1_11target_archE942ELNS1_3gpuE9ELNS1_3repE0EEENS1_30default_config_static_selectorELNS0_4arch9wavefront6targetE1EEEvT1_,@function
_ZN7rocprim17ROCPRIM_400000_NS6detail17trampoline_kernelINS0_14default_configENS1_25partition_config_selectorILNS1_17partition_subalgoE6EiNS0_10empty_typeEbEEZZNS1_14partition_implILS5_6ELb0ES3_mPiPS6_SA_NS0_5tupleIJS9_S6_EEENSB_IJSA_SA_EEES6_PlJN6thrust23THRUST_200600_302600_NS6detail9not_fun_tINSH_10functional5actorINSJ_9compositeIJNSJ_27transparent_binary_operatorINSG_8equal_toIvEEEENSK_INSJ_8argumentILj0EEEEENSJ_5valueIiEEEEEEEEEEEE10hipError_tPvRmT3_T4_T5_T6_T7_T9_mT8_P12ihipStream_tbDpT10_ENKUlT_T0_E_clISt17integral_constantIbLb0EES1G_IbLb1EEEEDaS1C_S1D_EUlS1C_E_NS1_11comp_targetILNS1_3genE5ELNS1_11target_archE942ELNS1_3gpuE9ELNS1_3repE0EEENS1_30default_config_static_selectorELNS0_4arch9wavefront6targetE1EEEvT1_: ; @_ZN7rocprim17ROCPRIM_400000_NS6detail17trampoline_kernelINS0_14default_configENS1_25partition_config_selectorILNS1_17partition_subalgoE6EiNS0_10empty_typeEbEEZZNS1_14partition_implILS5_6ELb0ES3_mPiPS6_SA_NS0_5tupleIJS9_S6_EEENSB_IJSA_SA_EEES6_PlJN6thrust23THRUST_200600_302600_NS6detail9not_fun_tINSH_10functional5actorINSJ_9compositeIJNSJ_27transparent_binary_operatorINSG_8equal_toIvEEEENSK_INSJ_8argumentILj0EEEEENSJ_5valueIiEEEEEEEEEEEE10hipError_tPvRmT3_T4_T5_T6_T7_T9_mT8_P12ihipStream_tbDpT10_ENKUlT_T0_E_clISt17integral_constantIbLb0EES1G_IbLb1EEEEDaS1C_S1D_EUlS1C_E_NS1_11comp_targetILNS1_3genE5ELNS1_11target_archE942ELNS1_3gpuE9ELNS1_3repE0EEENS1_30default_config_static_selectorELNS0_4arch9wavefront6targetE1EEEvT1_
; %bb.0:
	.section	.rodata,"a",@progbits
	.p2align	6, 0x0
	.amdhsa_kernel _ZN7rocprim17ROCPRIM_400000_NS6detail17trampoline_kernelINS0_14default_configENS1_25partition_config_selectorILNS1_17partition_subalgoE6EiNS0_10empty_typeEbEEZZNS1_14partition_implILS5_6ELb0ES3_mPiPS6_SA_NS0_5tupleIJS9_S6_EEENSB_IJSA_SA_EEES6_PlJN6thrust23THRUST_200600_302600_NS6detail9not_fun_tINSH_10functional5actorINSJ_9compositeIJNSJ_27transparent_binary_operatorINSG_8equal_toIvEEEENSK_INSJ_8argumentILj0EEEEENSJ_5valueIiEEEEEEEEEEEE10hipError_tPvRmT3_T4_T5_T6_T7_T9_mT8_P12ihipStream_tbDpT10_ENKUlT_T0_E_clISt17integral_constantIbLb0EES1G_IbLb1EEEEDaS1C_S1D_EUlS1C_E_NS1_11comp_targetILNS1_3genE5ELNS1_11target_archE942ELNS1_3gpuE9ELNS1_3repE0EEENS1_30default_config_static_selectorELNS0_4arch9wavefront6targetE1EEEvT1_
		.amdhsa_group_segment_fixed_size 0
		.amdhsa_private_segment_fixed_size 0
		.amdhsa_kernarg_size 128
		.amdhsa_user_sgpr_count 6
		.amdhsa_user_sgpr_private_segment_buffer 1
		.amdhsa_user_sgpr_dispatch_ptr 0
		.amdhsa_user_sgpr_queue_ptr 0
		.amdhsa_user_sgpr_kernarg_segment_ptr 1
		.amdhsa_user_sgpr_dispatch_id 0
		.amdhsa_user_sgpr_flat_scratch_init 0
		.amdhsa_user_sgpr_kernarg_preload_length 0
		.amdhsa_user_sgpr_kernarg_preload_offset 0
		.amdhsa_user_sgpr_private_segment_size 0
		.amdhsa_uses_dynamic_stack 0
		.amdhsa_system_sgpr_private_segment_wavefront_offset 0
		.amdhsa_system_sgpr_workgroup_id_x 1
		.amdhsa_system_sgpr_workgroup_id_y 0
		.amdhsa_system_sgpr_workgroup_id_z 0
		.amdhsa_system_sgpr_workgroup_info 0
		.amdhsa_system_vgpr_workitem_id 0
		.amdhsa_next_free_vgpr 1
		.amdhsa_next_free_sgpr 0
		.amdhsa_accum_offset 4
		.amdhsa_reserve_vcc 0
		.amdhsa_reserve_flat_scratch 0
		.amdhsa_float_round_mode_32 0
		.amdhsa_float_round_mode_16_64 0
		.amdhsa_float_denorm_mode_32 3
		.amdhsa_float_denorm_mode_16_64 3
		.amdhsa_dx10_clamp 1
		.amdhsa_ieee_mode 1
		.amdhsa_fp16_overflow 0
		.amdhsa_tg_split 0
		.amdhsa_exception_fp_ieee_invalid_op 0
		.amdhsa_exception_fp_denorm_src 0
		.amdhsa_exception_fp_ieee_div_zero 0
		.amdhsa_exception_fp_ieee_overflow 0
		.amdhsa_exception_fp_ieee_underflow 0
		.amdhsa_exception_fp_ieee_inexact 0
		.amdhsa_exception_int_div_zero 0
	.end_amdhsa_kernel
	.section	.text._ZN7rocprim17ROCPRIM_400000_NS6detail17trampoline_kernelINS0_14default_configENS1_25partition_config_selectorILNS1_17partition_subalgoE6EiNS0_10empty_typeEbEEZZNS1_14partition_implILS5_6ELb0ES3_mPiPS6_SA_NS0_5tupleIJS9_S6_EEENSB_IJSA_SA_EEES6_PlJN6thrust23THRUST_200600_302600_NS6detail9not_fun_tINSH_10functional5actorINSJ_9compositeIJNSJ_27transparent_binary_operatorINSG_8equal_toIvEEEENSK_INSJ_8argumentILj0EEEEENSJ_5valueIiEEEEEEEEEEEE10hipError_tPvRmT3_T4_T5_T6_T7_T9_mT8_P12ihipStream_tbDpT10_ENKUlT_T0_E_clISt17integral_constantIbLb0EES1G_IbLb1EEEEDaS1C_S1D_EUlS1C_E_NS1_11comp_targetILNS1_3genE5ELNS1_11target_archE942ELNS1_3gpuE9ELNS1_3repE0EEENS1_30default_config_static_selectorELNS0_4arch9wavefront6targetE1EEEvT1_,"axG",@progbits,_ZN7rocprim17ROCPRIM_400000_NS6detail17trampoline_kernelINS0_14default_configENS1_25partition_config_selectorILNS1_17partition_subalgoE6EiNS0_10empty_typeEbEEZZNS1_14partition_implILS5_6ELb0ES3_mPiPS6_SA_NS0_5tupleIJS9_S6_EEENSB_IJSA_SA_EEES6_PlJN6thrust23THRUST_200600_302600_NS6detail9not_fun_tINSH_10functional5actorINSJ_9compositeIJNSJ_27transparent_binary_operatorINSG_8equal_toIvEEEENSK_INSJ_8argumentILj0EEEEENSJ_5valueIiEEEEEEEEEEEE10hipError_tPvRmT3_T4_T5_T6_T7_T9_mT8_P12ihipStream_tbDpT10_ENKUlT_T0_E_clISt17integral_constantIbLb0EES1G_IbLb1EEEEDaS1C_S1D_EUlS1C_E_NS1_11comp_targetILNS1_3genE5ELNS1_11target_archE942ELNS1_3gpuE9ELNS1_3repE0EEENS1_30default_config_static_selectorELNS0_4arch9wavefront6targetE1EEEvT1_,comdat
.Lfunc_end276:
	.size	_ZN7rocprim17ROCPRIM_400000_NS6detail17trampoline_kernelINS0_14default_configENS1_25partition_config_selectorILNS1_17partition_subalgoE6EiNS0_10empty_typeEbEEZZNS1_14partition_implILS5_6ELb0ES3_mPiPS6_SA_NS0_5tupleIJS9_S6_EEENSB_IJSA_SA_EEES6_PlJN6thrust23THRUST_200600_302600_NS6detail9not_fun_tINSH_10functional5actorINSJ_9compositeIJNSJ_27transparent_binary_operatorINSG_8equal_toIvEEEENSK_INSJ_8argumentILj0EEEEENSJ_5valueIiEEEEEEEEEEEE10hipError_tPvRmT3_T4_T5_T6_T7_T9_mT8_P12ihipStream_tbDpT10_ENKUlT_T0_E_clISt17integral_constantIbLb0EES1G_IbLb1EEEEDaS1C_S1D_EUlS1C_E_NS1_11comp_targetILNS1_3genE5ELNS1_11target_archE942ELNS1_3gpuE9ELNS1_3repE0EEENS1_30default_config_static_selectorELNS0_4arch9wavefront6targetE1EEEvT1_, .Lfunc_end276-_ZN7rocprim17ROCPRIM_400000_NS6detail17trampoline_kernelINS0_14default_configENS1_25partition_config_selectorILNS1_17partition_subalgoE6EiNS0_10empty_typeEbEEZZNS1_14partition_implILS5_6ELb0ES3_mPiPS6_SA_NS0_5tupleIJS9_S6_EEENSB_IJSA_SA_EEES6_PlJN6thrust23THRUST_200600_302600_NS6detail9not_fun_tINSH_10functional5actorINSJ_9compositeIJNSJ_27transparent_binary_operatorINSG_8equal_toIvEEEENSK_INSJ_8argumentILj0EEEEENSJ_5valueIiEEEEEEEEEEEE10hipError_tPvRmT3_T4_T5_T6_T7_T9_mT8_P12ihipStream_tbDpT10_ENKUlT_T0_E_clISt17integral_constantIbLb0EES1G_IbLb1EEEEDaS1C_S1D_EUlS1C_E_NS1_11comp_targetILNS1_3genE5ELNS1_11target_archE942ELNS1_3gpuE9ELNS1_3repE0EEENS1_30default_config_static_selectorELNS0_4arch9wavefront6targetE1EEEvT1_
                                        ; -- End function
	.section	.AMDGPU.csdata,"",@progbits
; Kernel info:
; codeLenInByte = 0
; NumSgprs: 4
; NumVgprs: 0
; NumAgprs: 0
; TotalNumVgprs: 0
; ScratchSize: 0
; MemoryBound: 0
; FloatMode: 240
; IeeeMode: 1
; LDSByteSize: 0 bytes/workgroup (compile time only)
; SGPRBlocks: 0
; VGPRBlocks: 0
; NumSGPRsForWavesPerEU: 4
; NumVGPRsForWavesPerEU: 1
; AccumOffset: 4
; Occupancy: 8
; WaveLimiterHint : 0
; COMPUTE_PGM_RSRC2:SCRATCH_EN: 0
; COMPUTE_PGM_RSRC2:USER_SGPR: 6
; COMPUTE_PGM_RSRC2:TRAP_HANDLER: 0
; COMPUTE_PGM_RSRC2:TGID_X_EN: 1
; COMPUTE_PGM_RSRC2:TGID_Y_EN: 0
; COMPUTE_PGM_RSRC2:TGID_Z_EN: 0
; COMPUTE_PGM_RSRC2:TIDIG_COMP_CNT: 0
; COMPUTE_PGM_RSRC3_GFX90A:ACCUM_OFFSET: 0
; COMPUTE_PGM_RSRC3_GFX90A:TG_SPLIT: 0
	.section	.text._ZN7rocprim17ROCPRIM_400000_NS6detail17trampoline_kernelINS0_14default_configENS1_25partition_config_selectorILNS1_17partition_subalgoE6EiNS0_10empty_typeEbEEZZNS1_14partition_implILS5_6ELb0ES3_mPiPS6_SA_NS0_5tupleIJS9_S6_EEENSB_IJSA_SA_EEES6_PlJN6thrust23THRUST_200600_302600_NS6detail9not_fun_tINSH_10functional5actorINSJ_9compositeIJNSJ_27transparent_binary_operatorINSG_8equal_toIvEEEENSK_INSJ_8argumentILj0EEEEENSJ_5valueIiEEEEEEEEEEEE10hipError_tPvRmT3_T4_T5_T6_T7_T9_mT8_P12ihipStream_tbDpT10_ENKUlT_T0_E_clISt17integral_constantIbLb0EES1G_IbLb1EEEEDaS1C_S1D_EUlS1C_E_NS1_11comp_targetILNS1_3genE4ELNS1_11target_archE910ELNS1_3gpuE8ELNS1_3repE0EEENS1_30default_config_static_selectorELNS0_4arch9wavefront6targetE1EEEvT1_,"axG",@progbits,_ZN7rocprim17ROCPRIM_400000_NS6detail17trampoline_kernelINS0_14default_configENS1_25partition_config_selectorILNS1_17partition_subalgoE6EiNS0_10empty_typeEbEEZZNS1_14partition_implILS5_6ELb0ES3_mPiPS6_SA_NS0_5tupleIJS9_S6_EEENSB_IJSA_SA_EEES6_PlJN6thrust23THRUST_200600_302600_NS6detail9not_fun_tINSH_10functional5actorINSJ_9compositeIJNSJ_27transparent_binary_operatorINSG_8equal_toIvEEEENSK_INSJ_8argumentILj0EEEEENSJ_5valueIiEEEEEEEEEEEE10hipError_tPvRmT3_T4_T5_T6_T7_T9_mT8_P12ihipStream_tbDpT10_ENKUlT_T0_E_clISt17integral_constantIbLb0EES1G_IbLb1EEEEDaS1C_S1D_EUlS1C_E_NS1_11comp_targetILNS1_3genE4ELNS1_11target_archE910ELNS1_3gpuE8ELNS1_3repE0EEENS1_30default_config_static_selectorELNS0_4arch9wavefront6targetE1EEEvT1_,comdat
	.protected	_ZN7rocprim17ROCPRIM_400000_NS6detail17trampoline_kernelINS0_14default_configENS1_25partition_config_selectorILNS1_17partition_subalgoE6EiNS0_10empty_typeEbEEZZNS1_14partition_implILS5_6ELb0ES3_mPiPS6_SA_NS0_5tupleIJS9_S6_EEENSB_IJSA_SA_EEES6_PlJN6thrust23THRUST_200600_302600_NS6detail9not_fun_tINSH_10functional5actorINSJ_9compositeIJNSJ_27transparent_binary_operatorINSG_8equal_toIvEEEENSK_INSJ_8argumentILj0EEEEENSJ_5valueIiEEEEEEEEEEEE10hipError_tPvRmT3_T4_T5_T6_T7_T9_mT8_P12ihipStream_tbDpT10_ENKUlT_T0_E_clISt17integral_constantIbLb0EES1G_IbLb1EEEEDaS1C_S1D_EUlS1C_E_NS1_11comp_targetILNS1_3genE4ELNS1_11target_archE910ELNS1_3gpuE8ELNS1_3repE0EEENS1_30default_config_static_selectorELNS0_4arch9wavefront6targetE1EEEvT1_ ; -- Begin function _ZN7rocprim17ROCPRIM_400000_NS6detail17trampoline_kernelINS0_14default_configENS1_25partition_config_selectorILNS1_17partition_subalgoE6EiNS0_10empty_typeEbEEZZNS1_14partition_implILS5_6ELb0ES3_mPiPS6_SA_NS0_5tupleIJS9_S6_EEENSB_IJSA_SA_EEES6_PlJN6thrust23THRUST_200600_302600_NS6detail9not_fun_tINSH_10functional5actorINSJ_9compositeIJNSJ_27transparent_binary_operatorINSG_8equal_toIvEEEENSK_INSJ_8argumentILj0EEEEENSJ_5valueIiEEEEEEEEEEEE10hipError_tPvRmT3_T4_T5_T6_T7_T9_mT8_P12ihipStream_tbDpT10_ENKUlT_T0_E_clISt17integral_constantIbLb0EES1G_IbLb1EEEEDaS1C_S1D_EUlS1C_E_NS1_11comp_targetILNS1_3genE4ELNS1_11target_archE910ELNS1_3gpuE8ELNS1_3repE0EEENS1_30default_config_static_selectorELNS0_4arch9wavefront6targetE1EEEvT1_
	.globl	_ZN7rocprim17ROCPRIM_400000_NS6detail17trampoline_kernelINS0_14default_configENS1_25partition_config_selectorILNS1_17partition_subalgoE6EiNS0_10empty_typeEbEEZZNS1_14partition_implILS5_6ELb0ES3_mPiPS6_SA_NS0_5tupleIJS9_S6_EEENSB_IJSA_SA_EEES6_PlJN6thrust23THRUST_200600_302600_NS6detail9not_fun_tINSH_10functional5actorINSJ_9compositeIJNSJ_27transparent_binary_operatorINSG_8equal_toIvEEEENSK_INSJ_8argumentILj0EEEEENSJ_5valueIiEEEEEEEEEEEE10hipError_tPvRmT3_T4_T5_T6_T7_T9_mT8_P12ihipStream_tbDpT10_ENKUlT_T0_E_clISt17integral_constantIbLb0EES1G_IbLb1EEEEDaS1C_S1D_EUlS1C_E_NS1_11comp_targetILNS1_3genE4ELNS1_11target_archE910ELNS1_3gpuE8ELNS1_3repE0EEENS1_30default_config_static_selectorELNS0_4arch9wavefront6targetE1EEEvT1_
	.p2align	8
	.type	_ZN7rocprim17ROCPRIM_400000_NS6detail17trampoline_kernelINS0_14default_configENS1_25partition_config_selectorILNS1_17partition_subalgoE6EiNS0_10empty_typeEbEEZZNS1_14partition_implILS5_6ELb0ES3_mPiPS6_SA_NS0_5tupleIJS9_S6_EEENSB_IJSA_SA_EEES6_PlJN6thrust23THRUST_200600_302600_NS6detail9not_fun_tINSH_10functional5actorINSJ_9compositeIJNSJ_27transparent_binary_operatorINSG_8equal_toIvEEEENSK_INSJ_8argumentILj0EEEEENSJ_5valueIiEEEEEEEEEEEE10hipError_tPvRmT3_T4_T5_T6_T7_T9_mT8_P12ihipStream_tbDpT10_ENKUlT_T0_E_clISt17integral_constantIbLb0EES1G_IbLb1EEEEDaS1C_S1D_EUlS1C_E_NS1_11comp_targetILNS1_3genE4ELNS1_11target_archE910ELNS1_3gpuE8ELNS1_3repE0EEENS1_30default_config_static_selectorELNS0_4arch9wavefront6targetE1EEEvT1_,@function
_ZN7rocprim17ROCPRIM_400000_NS6detail17trampoline_kernelINS0_14default_configENS1_25partition_config_selectorILNS1_17partition_subalgoE6EiNS0_10empty_typeEbEEZZNS1_14partition_implILS5_6ELb0ES3_mPiPS6_SA_NS0_5tupleIJS9_S6_EEENSB_IJSA_SA_EEES6_PlJN6thrust23THRUST_200600_302600_NS6detail9not_fun_tINSH_10functional5actorINSJ_9compositeIJNSJ_27transparent_binary_operatorINSG_8equal_toIvEEEENSK_INSJ_8argumentILj0EEEEENSJ_5valueIiEEEEEEEEEEEE10hipError_tPvRmT3_T4_T5_T6_T7_T9_mT8_P12ihipStream_tbDpT10_ENKUlT_T0_E_clISt17integral_constantIbLb0EES1G_IbLb1EEEEDaS1C_S1D_EUlS1C_E_NS1_11comp_targetILNS1_3genE4ELNS1_11target_archE910ELNS1_3gpuE8ELNS1_3repE0EEENS1_30default_config_static_selectorELNS0_4arch9wavefront6targetE1EEEvT1_: ; @_ZN7rocprim17ROCPRIM_400000_NS6detail17trampoline_kernelINS0_14default_configENS1_25partition_config_selectorILNS1_17partition_subalgoE6EiNS0_10empty_typeEbEEZZNS1_14partition_implILS5_6ELb0ES3_mPiPS6_SA_NS0_5tupleIJS9_S6_EEENSB_IJSA_SA_EEES6_PlJN6thrust23THRUST_200600_302600_NS6detail9not_fun_tINSH_10functional5actorINSJ_9compositeIJNSJ_27transparent_binary_operatorINSG_8equal_toIvEEEENSK_INSJ_8argumentILj0EEEEENSJ_5valueIiEEEEEEEEEEEE10hipError_tPvRmT3_T4_T5_T6_T7_T9_mT8_P12ihipStream_tbDpT10_ENKUlT_T0_E_clISt17integral_constantIbLb0EES1G_IbLb1EEEEDaS1C_S1D_EUlS1C_E_NS1_11comp_targetILNS1_3genE4ELNS1_11target_archE910ELNS1_3gpuE8ELNS1_3repE0EEENS1_30default_config_static_selectorELNS0_4arch9wavefront6targetE1EEEvT1_
; %bb.0:
	s_load_dwordx2 s[22:23], s[4:5], 0x28
	s_load_dwordx4 s[24:27], s[4:5], 0x40
	s_load_dwordx2 s[2:3], s[4:5], 0x50
	s_load_dwordx2 s[30:31], s[4:5], 0x60
	v_cmp_eq_u32_e64 s[0:1], 0, v0
	s_and_saveexec_b64 s[6:7], s[0:1]
	s_cbranch_execz .LBB277_4
; %bb.1:
	s_mov_b64 s[10:11], exec
	v_mbcnt_lo_u32_b32 v1, s10, 0
	v_mbcnt_hi_u32_b32 v1, s11, v1
	v_cmp_eq_u32_e32 vcc, 0, v1
                                        ; implicit-def: $vgpr2
	s_and_saveexec_b64 s[8:9], vcc
	s_cbranch_execz .LBB277_3
; %bb.2:
	s_load_dwordx2 s[12:13], s[4:5], 0x70
	s_bcnt1_i32_b64 s10, s[10:11]
	v_mov_b32_e32 v2, 0
	v_mov_b32_e32 v3, s10
	s_waitcnt lgkmcnt(0)
	global_atomic_add v2, v2, v3, s[12:13] glc
.LBB277_3:
	s_or_b64 exec, exec, s[8:9]
	s_waitcnt vmcnt(0)
	v_readfirstlane_b32 s8, v2
	v_add_u32_e32 v1, s8, v1
	v_mov_b32_e32 v2, 0
	ds_write_b32 v2, v1
.LBB277_4:
	s_or_b64 exec, exec, s[6:7]
	v_mov_b32_e32 v3, 0
	s_load_dwordx4 s[8:11], s[4:5], 0x8
	s_load_dword s6, s[4:5], 0x68
	s_load_dword s48, s[4:5], 0x7c
	s_waitcnt lgkmcnt(0)
	s_barrier
	ds_read_b32 v1, v3
	s_waitcnt lgkmcnt(0)
	s_barrier
	global_load_dwordx2 v[18:19], v3, s[26:27]
	v_mov_b32_e32 v5, s3
	s_lshl_b64 s[4:5], s[10:11], 2
	s_movk_i32 s3, 0x1400
	s_add_u32 s7, s8, s4
	v_mul_lo_u32 v2, v1, s3
	s_mul_i32 s3, s6, 0x1400
	s_addc_u32 s8, s9, s5
	s_add_i32 s5, s3, s10
	s_add_i32 s4, s6, -1
	s_sub_i32 s49, s2, s5
	v_mov_b32_e32 v4, s2
	s_add_u32 s2, s10, s3
	v_readfirstlane_b32 s33, v1
	s_addc_u32 s3, s11, 0
	s_cmp_eq_u32 s33, s4
	v_cmp_ge_u64_e32 vcc, s[2:3], v[4:5]
	s_cselect_b64 s[26:27], -1, 0
	v_lshlrev_b64 v[2:3], 2, v[2:3]
	s_and_b64 s[28:29], vcc, s[26:27]
	v_mov_b32_e32 v1, s8
	v_add_co_u32_e32 v12, vcc, s7, v2
	s_xor_b64 s[2:3], s[28:29], -1
	v_addc_co_u32_e32 v1, vcc, v1, v3, vcc
	s_mov_b64 s[4:5], -1
	s_and_b64 vcc, exec, s[2:3]
	v_lshlrev_b32_e32 v13, 2, v0
	s_cbranch_vccz .LBB277_6
; %bb.5:
	v_add_co_u32_e32 v8, vcc, v12, v13
	v_addc_co_u32_e32 v9, vcc, 0, v1, vcc
	v_add_co_u32_e32 v2, vcc, 0x1000, v8
	v_addc_co_u32_e32 v3, vcc, 0, v9, vcc
	;; [unrolled: 2-line block ×4, first 2 shown]
	v_readfirstlane_b32 s4, v12
	v_readfirstlane_b32 s5, v1
	v_add_co_u32_e32 v8, vcc, 0x4000, v8
	s_nop 3
	global_load_dword v10, v13, s[4:5]
	global_load_dword v11, v13, s[4:5] offset:2048
	v_addc_co_u32_e32 v9, vcc, 0, v9, vcc
	global_load_dword v14, v[2:3], off
	global_load_dword v15, v[2:3], off offset:2048
	global_load_dword v16, v[4:5], off
	global_load_dword v17, v[4:5], off offset:2048
	;; [unrolled: 2-line block ×4, first 2 shown]
	s_mov_b64 s[4:5], 0
	s_waitcnt vmcnt(8)
	ds_write2st64_b32 v13, v10, v11 offset1:8
	s_waitcnt vmcnt(6)
	ds_write2st64_b32 v13, v14, v15 offset0:16 offset1:24
	s_waitcnt vmcnt(4)
	ds_write2st64_b32 v13, v16, v17 offset0:32 offset1:40
	;; [unrolled: 2-line block ×4, first 2 shown]
	s_waitcnt lgkmcnt(0)
	s_barrier
.LBB277_6:
	s_andn2_b64 vcc, exec, s[4:5]
	s_addk_i32 s49, 0x1400
	s_cbranch_vccnz .LBB277_28
; %bb.7:
	v_cmp_gt_u32_e32 vcc, s49, v0
                                        ; implicit-def: $vgpr2_vgpr3_vgpr4_vgpr5_vgpr6_vgpr7_vgpr8_vgpr9_vgpr10_vgpr11
	s_and_saveexec_b64 s[4:5], vcc
	s_cbranch_execz .LBB277_9
; %bb.8:
	v_readfirstlane_b32 s6, v12
	v_readfirstlane_b32 s7, v1
                                        ; kill: def $vgpr3 killed $sgpr0 killed $exec
	s_nop 4
	global_load_dword v2, v13, s[6:7]
.LBB277_9:
	s_or_b64 exec, exec, s[4:5]
	v_or_b32_e32 v14, 0x200, v0
	v_cmp_gt_u32_e32 vcc, s49, v14
	s_and_saveexec_b64 s[4:5], vcc
	s_cbranch_execz .LBB277_11
; %bb.10:
	v_readfirstlane_b32 s6, v12
	v_readfirstlane_b32 s7, v1
	s_nop 4
	global_load_dword v3, v13, s[6:7] offset:2048
.LBB277_11:
	s_or_b64 exec, exec, s[4:5]
	v_or_b32_e32 v14, 0x400, v0
	v_cmp_gt_u32_e32 vcc, s49, v14
	s_and_saveexec_b64 s[4:5], vcc
	s_cbranch_execz .LBB277_13
; %bb.12:
	v_lshlrev_b32_e32 v4, 2, v14
	v_readfirstlane_b32 s6, v12
	v_readfirstlane_b32 s7, v1
	s_nop 4
	global_load_dword v4, v4, s[6:7]
.LBB277_13:
	s_or_b64 exec, exec, s[4:5]
	v_or_b32_e32 v14, 0x600, v0
	v_cmp_gt_u32_e32 vcc, s49, v14
	s_and_saveexec_b64 s[4:5], vcc
	s_cbranch_execz .LBB277_15
; %bb.14:
	v_lshlrev_b32_e32 v5, 2, v14
	v_readfirstlane_b32 s6, v12
	v_readfirstlane_b32 s7, v1
	s_nop 4
	global_load_dword v5, v5, s[6:7]
.LBB277_15:
	;; [unrolled: 12-line block ×8, first 2 shown]
	s_or_b64 exec, exec, s[4:5]
	s_waitcnt vmcnt(0)
	ds_write2st64_b32 v13, v2, v3 offset1:8
	ds_write2st64_b32 v13, v4, v5 offset0:16 offset1:24
	ds_write2st64_b32 v13, v6, v7 offset0:32 offset1:40
	;; [unrolled: 1-line block ×4, first 2 shown]
	s_waitcnt lgkmcnt(0)
	s_barrier
.LBB277_28:
	v_mul_u32_u24_e32 v1, 10, v0
	v_lshlrev_b32_e32 v23, 2, v1
	ds_read2_b64 v[6:9], v23 offset1:1
	ds_read2_b64 v[2:5], v23 offset0:2 offset1:3
	ds_read_b64 v[20:21], v23 offset:32
	s_andn2_b64 vcc, exec, s[2:3]
	s_waitcnt lgkmcnt(0)
	v_cmp_ne_u32_e64 s[4:5], s48, v6
	v_cmp_ne_u32_e64 s[2:3], s48, v7
	;; [unrolled: 1-line block ×10, first 2 shown]
	s_barrier
	s_cbranch_vccnz .LBB277_30
; %bb.29:
	s_and_b64 s[20:21], s[20:21], exec
	s_and_b64 s[18:19], s[18:19], exec
	;; [unrolled: 1-line block ×10, first 2 shown]
	s_cbranch_execz .LBB277_31
	s_branch .LBB277_32
.LBB277_30:
                                        ; implicit-def: $sgpr42_sgpr43
                                        ; implicit-def: $sgpr44_sgpr45
                                        ; implicit-def: $sgpr40_sgpr41
                                        ; implicit-def: $sgpr38_sgpr39
                                        ; implicit-def: $sgpr36_sgpr37
                                        ; implicit-def: $sgpr34_sgpr35
                                        ; implicit-def: $sgpr14_sgpr15
                                        ; implicit-def: $sgpr16_sgpr17
                                        ; implicit-def: $sgpr18_sgpr19
                                        ; implicit-def: $sgpr20_sgpr21
.LBB277_31:
	v_or_b32_e32 v10, 1, v1
	v_cmp_gt_u32_e32 vcc, s49, v1
	v_cmp_ne_u32_e64 s[2:3], s48, v6
	s_and_b64 s[4:5], vcc, s[2:3]
	v_cmp_gt_u32_e32 vcc, s49, v10
	v_cmp_ne_u32_e64 s[2:3], s48, v7
	v_add_u32_e32 v11, 2, v1
	s_and_b64 s[6:7], vcc, s[2:3]
	v_add_u32_e32 v12, 3, v1
	v_cmp_gt_u32_e32 vcc, s49, v11
	v_cmp_ne_u32_e64 s[2:3], s48, v8
	s_andn2_b64 s[42:43], s[42:43], exec
	s_and_b64 s[6:7], s[6:7], exec
	v_add_u32_e32 v13, 4, v1
	s_and_b64 s[8:9], vcc, s[2:3]
	v_cmp_gt_u32_e32 vcc, s49, v12
	v_cmp_ne_u32_e64 s[2:3], s48, v9
	s_or_b64 s[42:43], s[42:43], s[6:7]
	s_andn2_b64 s[6:7], s[44:45], exec
	s_and_b64 s[4:5], s[4:5], exec
	v_add_u32_e32 v14, 5, v1
	s_and_b64 s[10:11], vcc, s[2:3]
	v_cmp_gt_u32_e32 vcc, s49, v13
	v_cmp_ne_u32_e64 s[2:3], s48, v2
	s_or_b64 s[44:45], s[6:7], s[4:5]
	;; [unrolled: 7-line block ×6, first 2 shown]
	s_andn2_b64 s[4:5], s[14:15], exec
	s_and_b64 s[6:7], s[50:51], exec
	s_and_b64 s[54:55], vcc, s[2:3]
	v_cmp_gt_u32_e32 vcc, s49, v22
	v_cmp_ne_u32_e64 s[2:3], s48, v21
	s_or_b64 s[14:15], s[4:5], s[6:7]
	s_andn2_b64 s[4:5], s[16:17], exec
	s_and_b64 s[6:7], s[52:53], exec
	s_and_b64 s[2:3], vcc, s[2:3]
	s_or_b64 s[16:17], s[4:5], s[6:7]
	s_andn2_b64 s[4:5], s[18:19], exec
	s_and_b64 s[6:7], s[54:55], exec
	s_or_b64 s[18:19], s[4:5], s[6:7]
	s_andn2_b64 s[4:5], s[20:21], exec
	s_and_b64 s[2:3], s[2:3], exec
	s_or_b64 s[20:21], s[4:5], s[2:3]
.LBB277_32:
	v_cndmask_b32_e64 v38, 0, 1, s[44:45]
	v_cndmask_b32_e64 v36, 0, 1, s[42:43]
	;; [unrolled: 1-line block ×3, first 2 shown]
	v_add_co_u32_e32 v10, vcc, v38, v36
	v_addc_co_u32_e64 v11, s[2:3], 0, 0, vcc
	v_add_co_u32_e32 v10, vcc, v10, v34
	v_cndmask_b32_e64 v32, 0, 1, s[38:39]
	v_addc_co_u32_e32 v11, vcc, 0, v11, vcc
	v_add_co_u32_e32 v10, vcc, v10, v32
	v_cndmask_b32_e64 v30, 0, 1, s[36:37]
	v_addc_co_u32_e32 v11, vcc, 0, v11, vcc
	;; [unrolled: 3-line block ×7, first 2 shown]
	v_add_co_u32_e32 v40, vcc, v10, v1
	v_mbcnt_lo_u32_b32 v1, -1, 0
	v_mbcnt_hi_u32_b32 v25, -1, v1
	v_addc_co_u32_e32 v41, vcc, 0, v11, vcc
	v_and_b32_e32 v29, 15, v25
	s_cmp_lg_u32 s33, 0
	v_cmp_eq_u32_e64 s[4:5], 0, v29
	v_cmp_lt_u32_e64 s[2:3], 1, v29
	v_cmp_lt_u32_e64 s[10:11], 3, v29
	;; [unrolled: 1-line block ×3, first 2 shown]
	v_and_b32_e32 v27, 16, v25
	v_cmp_eq_u32_e64 s[6:7], 0, v25
	v_cmp_ne_u32_e32 vcc, 0, v25
	s_cbranch_scc0 .LBB277_63
; %bb.33:
	v_mov_b32_dpp v1, v40 row_shr:1 row_mask:0xf bank_mask:0xf
	v_add_co_u32_e64 v1, s[12:13], v40, v1
	v_mov_b32_e32 v10, 0
	v_addc_co_u32_e64 v11, s[12:13], 0, v41, s[12:13]
	s_nop 0
	v_mov_b32_dpp v10, v10 row_shr:1 row_mask:0xf bank_mask:0xf
	v_add_co_u32_e64 v12, s[12:13], 0, v1
	v_addc_co_u32_e64 v10, s[12:13], v10, v11, s[12:13]
	v_cndmask_b32_e64 v1, v1, v40, s[4:5]
	v_cndmask_b32_e64 v11, v10, 0, s[4:5]
	v_cndmask_b32_e64 v12, v12, v40, s[4:5]
	v_mov_b32_dpp v13, v1 row_shr:2 row_mask:0xf bank_mask:0xf
	v_cndmask_b32_e64 v10, v10, v41, s[4:5]
	v_mov_b32_dpp v14, v11 row_shr:2 row_mask:0xf bank_mask:0xf
	v_add_co_u32_e64 v13, s[12:13], v13, v12
	v_addc_co_u32_e64 v14, s[12:13], v14, v10, s[12:13]
	v_cndmask_b32_e64 v1, v1, v13, s[2:3]
	v_cndmask_b32_e64 v11, v11, v14, s[2:3]
	v_cndmask_b32_e64 v12, v12, v13, s[2:3]
	v_mov_b32_dpp v13, v1 row_shr:4 row_mask:0xf bank_mask:0xf
	v_cndmask_b32_e64 v10, v10, v14, s[2:3]
	;; [unrolled: 8-line block ×3, first 2 shown]
	v_mov_b32_dpp v14, v11 row_shr:8 row_mask:0xf bank_mask:0xf
	v_add_co_u32_e64 v13, s[10:11], v13, v12
	v_addc_co_u32_e64 v14, s[10:11], v14, v10, s[10:11]
	v_cndmask_b32_e64 v15, v1, v13, s[8:9]
	v_cndmask_b32_e64 v11, v11, v14, s[8:9]
	;; [unrolled: 1-line block ×4, first 2 shown]
	v_mov_b32_dpp v10, v15 row_bcast:15 row_mask:0xf bank_mask:0xf
	v_mov_b32_dpp v14, v11 row_bcast:15 row_mask:0xf bank_mask:0xf
	v_add_co_u32_e64 v13, s[8:9], v10, v12
	v_addc_co_u32_e64 v14, s[8:9], v14, v1, s[8:9]
	v_cmp_eq_u32_e64 s[8:9], 0, v27
	v_cndmask_b32_e64 v10, v14, v11, s[8:9]
	v_cndmask_b32_e64 v11, v13, v15, s[8:9]
	s_nop 0
	v_mov_b32_dpp v16, v10 row_bcast:31 row_mask:0xf bank_mask:0xf
	v_mov_b32_dpp v15, v11 row_bcast:31 row_mask:0xf bank_mask:0xf
	v_pk_mov_b32 v[10:11], v[40:41], v[40:41] op_sel:[0,1]
	s_and_saveexec_b64 s[10:11], vcc
; %bb.34:
	v_cmp_lt_u32_e32 vcc, 31, v25
	v_cndmask_b32_e64 v10, v13, v12, s[8:9]
	v_cndmask_b32_e32 v12, 0, v15, vcc
	v_cndmask_b32_e64 v1, v14, v1, s[8:9]
	v_cndmask_b32_e32 v11, 0, v16, vcc
	v_add_co_u32_e32 v10, vcc, v12, v10
	v_addc_co_u32_e32 v11, vcc, v11, v1, vcc
; %bb.35:
	s_or_b64 exec, exec, s[10:11]
	v_or_b32_e32 v12, 63, v0
	v_lshrrev_b32_e32 v1, 6, v0
	v_cmp_eq_u32_e32 vcc, v12, v0
	s_and_saveexec_b64 s[8:9], vcc
	s_cbranch_execz .LBB277_37
; %bb.36:
	v_lshlrev_b32_e32 v12, 3, v1
	ds_write_b64 v12, v[10:11]
.LBB277_37:
	s_or_b64 exec, exec, s[8:9]
	v_cmp_gt_u32_e32 vcc, 8, v0
	s_waitcnt lgkmcnt(0)
	s_barrier
	s_and_saveexec_b64 s[10:11], vcc
	s_cbranch_execz .LBB277_41
; %bb.38:
	v_lshlrev_b32_e32 v14, 3, v0
	ds_read_b64 v[12:13], v14
	v_and_b32_e32 v15, 7, v25
	v_cmp_ne_u32_e64 s[8:9], 0, v15
	s_waitcnt lgkmcnt(0)
	v_mov_b32_dpp v16, v12 row_shr:1 row_mask:0xf bank_mask:0xf
	v_add_co_u32_e32 v31, vcc, v12, v16
	v_addc_co_u32_e32 v33, vcc, 0, v13, vcc
	v_mov_b32_dpp v17, v13 row_shr:1 row_mask:0xf bank_mask:0xf
	v_add_co_u32_e32 v16, vcc, 0, v31
	v_addc_co_u32_e32 v17, vcc, v17, v33, vcc
	v_cmp_eq_u32_e32 vcc, 0, v15
	v_cndmask_b32_e32 v35, v31, v12, vcc
	v_cndmask_b32_e32 v37, v17, v13, vcc
	;; [unrolled: 1-line block ×3, first 2 shown]
	v_mov_b32_dpp v33, v35 row_shr:2 row_mask:0xf bank_mask:0xf
	v_mov_b32_dpp v39, v37 row_shr:2 row_mask:0xf bank_mask:0xf
	v_add_co_u32_e32 v31, vcc, v33, v31
	v_addc_co_u32_e32 v33, vcc, v39, v37, vcc
	v_cmp_lt_u32_e32 vcc, 1, v15
	v_cndmask_b32_e32 v37, v37, v33, vcc
	v_cndmask_b32_e32 v35, v35, v31, vcc
                                        ; kill: def $vgpr39 killed $sgpr0 killed $exec
	s_nop 0
	v_mov_b32_dpp v37, v37 row_shr:4 row_mask:0xf bank_mask:0xf
	v_mov_b32_dpp v35, v35 row_shr:4 row_mask:0xf bank_mask:0xf
	s_and_saveexec_b64 s[12:13], s[8:9]
; %bb.39:
	v_cndmask_b32_e32 v13, v17, v33, vcc
	v_cndmask_b32_e32 v12, v16, v31, vcc
	v_cmp_lt_u32_e32 vcc, 3, v15
	v_cndmask_b32_e32 v16, 0, v35, vcc
	v_cndmask_b32_e32 v15, 0, v37, vcc
	v_add_co_u32_e32 v12, vcc, v16, v12
	v_addc_co_u32_e32 v13, vcc, v15, v13, vcc
; %bb.40:
	s_or_b64 exec, exec, s[12:13]
	ds_write_b64 v14, v[12:13]
.LBB277_41:
	s_or_b64 exec, exec, s[10:11]
	v_cmp_gt_u32_e32 vcc, 64, v0
	v_cmp_lt_u32_e64 s[8:9], 63, v0
	s_waitcnt lgkmcnt(0)
	s_barrier
	s_waitcnt lgkmcnt(0)
                                        ; implicit-def: $vgpr42_vgpr43
	s_and_saveexec_b64 s[10:11], s[8:9]
	s_cbranch_execz .LBB277_43
; %bb.42:
	v_lshl_add_u32 v1, v1, 3, -8
	ds_read_b64 v[42:43], v1
	s_waitcnt lgkmcnt(0)
	v_add_co_u32_e64 v10, s[8:9], v42, v10
	v_addc_co_u32_e64 v11, s[8:9], v43, v11, s[8:9]
.LBB277_43:
	s_or_b64 exec, exec, s[10:11]
	v_add_u32_e32 v1, -1, v25
	v_and_b32_e32 v12, 64, v25
	v_cmp_lt_i32_e64 s[8:9], v1, v12
	v_cndmask_b32_e64 v1, v1, v25, s[8:9]
	v_lshlrev_b32_e32 v1, 2, v1
	ds_bpermute_b32 v31, v1, v10
	ds_bpermute_b32 v1, v1, v11
	s_and_saveexec_b64 s[12:13], vcc
	s_cbranch_execz .LBB277_62
; %bb.44:
	v_mov_b32_e32 v13, 0
	ds_read_b64 v[10:11], v13 offset:56
	s_and_saveexec_b64 s[8:9], s[6:7]
	s_cbranch_execz .LBB277_46
; %bb.45:
	s_add_i32 s10, s33, 64
	s_mov_b32 s11, 0
	s_lshl_b64 s[10:11], s[10:11], 4
	s_add_u32 s10, s30, s10
	s_addc_u32 s11, s31, s11
	v_mov_b32_e32 v12, 1
	v_pk_mov_b32 v[14:15], s[10:11], s[10:11] op_sel:[0,1]
	s_waitcnt lgkmcnt(0)
	;;#ASMSTART
	global_store_dwordx4 v[14:15], v[10:13] off	
s_waitcnt vmcnt(0)
	;;#ASMEND
.LBB277_46:
	s_or_b64 exec, exec, s[8:9]
	v_xad_u32 v44, v25, -1, s33
	v_add_u32_e32 v12, 64, v44
	v_lshlrev_b64 v[14:15], 4, v[12:13]
	v_mov_b32_e32 v12, s31
	v_add_co_u32_e32 v46, vcc, s30, v14
	v_addc_co_u32_e32 v47, vcc, v12, v15, vcc
	;;#ASMSTART
	global_load_dwordx4 v[14:17], v[46:47] off glc	
s_waitcnt vmcnt(0)
	;;#ASMEND
	v_and_b32_e32 v12, 0xff, v15
	v_and_b32_e32 v17, 0xff00, v15
	v_or3_b32 v12, 0, v12, v17
	v_or3_b32 v14, v14, 0, 0
	v_and_b32_e32 v17, 0xff000000, v15
	v_and_b32_e32 v15, 0xff0000, v15
	v_or3_b32 v15, v12, v15, v17
	v_or3_b32 v14, v14, 0, 0
	v_cmp_eq_u16_sdwa s[10:11], v16, v13 src0_sel:BYTE_0 src1_sel:DWORD
	s_and_saveexec_b64 s[8:9], s[10:11]
	s_cbranch_execz .LBB277_50
; %bb.47:
	s_mov_b64 s[10:11], 0
	v_mov_b32_e32 v12, 0
.LBB277_48:                             ; =>This Inner Loop Header: Depth=1
	;;#ASMSTART
	global_load_dwordx4 v[14:17], v[46:47] off glc	
s_waitcnt vmcnt(0)
	;;#ASMEND
	v_cmp_ne_u16_sdwa s[46:47], v16, v12 src0_sel:BYTE_0 src1_sel:DWORD
	s_or_b64 s[10:11], s[46:47], s[10:11]
	s_andn2_b64 exec, exec, s[10:11]
	s_cbranch_execnz .LBB277_48
; %bb.49:
	s_or_b64 exec, exec, s[10:11]
.LBB277_50:
	s_or_b64 exec, exec, s[8:9]
	v_and_b32_e32 v35, 63, v25
	v_mov_b32_e32 v33, 2
	v_cmp_ne_u32_e32 vcc, 63, v35
	v_cmp_eq_u16_sdwa s[8:9], v16, v33 src0_sel:BYTE_0 src1_sel:DWORD
	v_lshlrev_b64 v[46:47], v25, -1
	v_addc_co_u32_e32 v17, vcc, 0, v25, vcc
	v_and_b32_e32 v12, s9, v47
	v_lshlrev_b32_e32 v37, 2, v17
	v_or_b32_e32 v12, 0x80000000, v12
	ds_bpermute_b32 v17, v37, v14
	v_and_b32_e32 v13, s8, v46
	v_ffbl_b32_e32 v12, v12
	v_add_u32_e32 v12, 32, v12
	v_ffbl_b32_e32 v13, v13
	v_min_u32_e32 v12, v13, v12
	ds_bpermute_b32 v13, v37, v15
	s_waitcnt lgkmcnt(1)
	v_add_co_u32_e32 v17, vcc, v14, v17
	v_addc_co_u32_e32 v39, vcc, 0, v15, vcc
	v_add_co_u32_e32 v48, vcc, 0, v17
	v_cmp_gt_u32_e64 s[8:9], 62, v35
	s_waitcnt lgkmcnt(0)
	v_addc_co_u32_e32 v13, vcc, v13, v39, vcc
	v_cndmask_b32_e64 v39, 0, 1, s[8:9]
	v_cmp_lt_u32_e32 vcc, v35, v12
	v_lshlrev_b32_e32 v39, 1, v39
	v_cndmask_b32_e32 v17, v14, v17, vcc
	v_add_lshl_u32 v39, v39, v25, 2
	v_cndmask_b32_e32 v13, v15, v13, vcc
	ds_bpermute_b32 v49, v39, v17
	ds_bpermute_b32 v51, v39, v13
	v_cndmask_b32_e32 v48, v14, v48, vcc
	v_add_u32_e32 v50, 2, v35
	v_cmp_gt_u32_e64 s[10:11], 60, v35
	s_waitcnt lgkmcnt(1)
	v_add_co_u32_e64 v49, s[8:9], v49, v48
	s_waitcnt lgkmcnt(0)
	v_addc_co_u32_e64 v51, s[8:9], v51, v13, s[8:9]
	v_cmp_gt_u32_e64 s[8:9], v50, v12
	v_cndmask_b32_e64 v13, v51, v13, s[8:9]
	v_cndmask_b32_e64 v51, 0, 1, s[10:11]
	v_lshlrev_b32_e32 v51, 2, v51
	v_cndmask_b32_e64 v17, v49, v17, s[8:9]
	v_add_lshl_u32 v51, v51, v25, 2
	ds_bpermute_b32 v53, v51, v17
	v_cndmask_b32_e64 v48, v49, v48, s[8:9]
	ds_bpermute_b32 v49, v51, v13
	v_add_u32_e32 v52, 4, v35
	v_cmp_gt_u32_e64 s[10:11], 56, v35
	s_waitcnt lgkmcnt(1)
	v_add_co_u32_e64 v54, s[8:9], v53, v48
	s_waitcnt lgkmcnt(0)
	v_addc_co_u32_e64 v49, s[8:9], v49, v13, s[8:9]
	v_cmp_gt_u32_e64 s[8:9], v52, v12
	v_cndmask_b32_e64 v13, v49, v13, s[8:9]
	v_cndmask_b32_e64 v49, 0, 1, s[10:11]
	v_lshlrev_b32_e32 v49, 3, v49
	v_cndmask_b32_e64 v17, v54, v17, s[8:9]
	v_add_lshl_u32 v53, v49, v25, 2
	ds_bpermute_b32 v49, v53, v17
	ds_bpermute_b32 v55, v53, v13
	v_cndmask_b32_e64 v48, v54, v48, s[8:9]
	v_add_u32_e32 v54, 8, v35
	v_cmp_gt_u32_e64 s[10:11], 48, v35
	s_waitcnt lgkmcnt(1)
	v_add_co_u32_e64 v49, s[8:9], v49, v48
	s_waitcnt lgkmcnt(0)
	v_addc_co_u32_e64 v55, s[8:9], v55, v13, s[8:9]
	v_cmp_gt_u32_e64 s[8:9], v54, v12
	v_cndmask_b32_e64 v13, v55, v13, s[8:9]
	v_cndmask_b32_e64 v55, 0, 1, s[10:11]
	v_lshlrev_b32_e32 v55, 4, v55
	v_cndmask_b32_e64 v17, v49, v17, s[8:9]
	v_add_lshl_u32 v55, v55, v25, 2
	ds_bpermute_b32 v57, v55, v17
	v_cndmask_b32_e64 v48, v49, v48, s[8:9]
	ds_bpermute_b32 v49, v55, v13
	v_cmp_gt_u32_e64 s[10:11], 32, v35
	v_add_u32_e32 v56, 16, v35
	s_waitcnt lgkmcnt(1)
	v_add_co_u32_e64 v59, s[8:9], v57, v48
	s_waitcnt lgkmcnt(0)
	v_addc_co_u32_e64 v49, s[8:9], v49, v13, s[8:9]
	v_cndmask_b32_e64 v57, 0, 1, s[10:11]
	v_cmp_gt_u32_e64 s[8:9], v56, v12
	v_lshlrev_b32_e32 v57, 5, v57
	v_cndmask_b32_e64 v17, v59, v17, s[8:9]
	v_add_lshl_u32 v57, v57, v25, 2
	v_cndmask_b32_e64 v13, v49, v13, s[8:9]
	ds_bpermute_b32 v17, v57, v17
	ds_bpermute_b32 v49, v57, v13
	v_add_u32_e32 v58, 32, v35
	v_cndmask_b32_e64 v48, v59, v48, s[8:9]
	v_cmp_le_u32_e64 s[8:9], v58, v12
	s_waitcnt lgkmcnt(1)
	v_cndmask_b32_e64 v17, 0, v17, s[8:9]
	s_waitcnt lgkmcnt(0)
	v_cndmask_b32_e64 v12, 0, v49, s[8:9]
	v_add_co_u32_e64 v17, s[8:9], v17, v48
	v_addc_co_u32_e64 v12, s[8:9], v12, v13, s[8:9]
	v_mov_b32_e32 v45, 0
	v_cndmask_b32_e32 v15, v15, v12, vcc
	v_cndmask_b32_e32 v14, v14, v17, vcc
	s_branch .LBB277_52
.LBB277_51:                             ;   in Loop: Header=BB277_52 Depth=1
	s_or_b64 exec, exec, s[8:9]
	v_cmp_eq_u16_sdwa s[8:9], v16, v33 src0_sel:BYTE_0 src1_sel:DWORD
	v_and_b32_e32 v17, s9, v47
	v_or_b32_e32 v17, 0x80000000, v17
	ds_bpermute_b32 v49, v37, v14
	v_and_b32_e32 v48, s8, v46
	v_ffbl_b32_e32 v17, v17
	v_add_u32_e32 v17, 32, v17
	v_ffbl_b32_e32 v48, v48
	v_min_u32_e32 v17, v48, v17
	ds_bpermute_b32 v48, v37, v15
	s_waitcnt lgkmcnt(1)
	v_add_co_u32_e32 v49, vcc, v14, v49
	v_addc_co_u32_e32 v59, vcc, 0, v15, vcc
	v_add_co_u32_e32 v60, vcc, 0, v49
	s_waitcnt lgkmcnt(0)
	v_addc_co_u32_e32 v48, vcc, v48, v59, vcc
	v_cmp_lt_u32_e32 vcc, v35, v17
	v_cndmask_b32_e32 v49, v14, v49, vcc
	ds_bpermute_b32 v59, v39, v49
	v_cndmask_b32_e32 v48, v15, v48, vcc
	ds_bpermute_b32 v61, v39, v48
	v_cndmask_b32_e32 v60, v14, v60, vcc
	v_subrev_u32_e32 v44, 64, v44
	s_waitcnt lgkmcnt(1)
	v_add_co_u32_e64 v59, s[8:9], v59, v60
	s_waitcnt lgkmcnt(0)
	v_addc_co_u32_e64 v61, s[8:9], v61, v48, s[8:9]
	v_cmp_gt_u32_e64 s[8:9], v50, v17
	v_cndmask_b32_e64 v49, v59, v49, s[8:9]
	ds_bpermute_b32 v62, v51, v49
	v_cndmask_b32_e64 v48, v61, v48, s[8:9]
	ds_bpermute_b32 v61, v51, v48
	v_cndmask_b32_e64 v59, v59, v60, s[8:9]
	s_waitcnt lgkmcnt(1)
	v_add_co_u32_e64 v60, s[8:9], v62, v59
	s_waitcnt lgkmcnt(0)
	v_addc_co_u32_e64 v61, s[8:9], v61, v48, s[8:9]
	v_cmp_gt_u32_e64 s[8:9], v52, v17
	v_cndmask_b32_e64 v49, v60, v49, s[8:9]
	ds_bpermute_b32 v62, v53, v49
	v_cndmask_b32_e64 v48, v61, v48, s[8:9]
	ds_bpermute_b32 v61, v53, v48
	v_cndmask_b32_e64 v59, v60, v59, s[8:9]
	s_waitcnt lgkmcnt(1)
	v_add_co_u32_e64 v60, s[8:9], v62, v59
	s_waitcnt lgkmcnt(0)
	v_addc_co_u32_e64 v61, s[8:9], v61, v48, s[8:9]
	v_cmp_gt_u32_e64 s[8:9], v54, v17
	v_cndmask_b32_e64 v49, v60, v49, s[8:9]
	ds_bpermute_b32 v62, v55, v49
	v_cndmask_b32_e64 v48, v61, v48, s[8:9]
	ds_bpermute_b32 v61, v55, v48
	v_cndmask_b32_e64 v59, v60, v59, s[8:9]
	s_waitcnt lgkmcnt(1)
	v_add_co_u32_e64 v60, s[8:9], v62, v59
	s_waitcnt lgkmcnt(0)
	v_addc_co_u32_e64 v61, s[8:9], v61, v48, s[8:9]
	v_cmp_gt_u32_e64 s[8:9], v56, v17
	v_cndmask_b32_e64 v49, v60, v49, s[8:9]
	v_cndmask_b32_e64 v48, v61, v48, s[8:9]
	ds_bpermute_b32 v49, v57, v49
	ds_bpermute_b32 v61, v57, v48
	v_cndmask_b32_e64 v59, v60, v59, s[8:9]
	v_cmp_le_u32_e64 s[8:9], v58, v17
	s_waitcnt lgkmcnt(1)
	v_cndmask_b32_e64 v49, 0, v49, s[8:9]
	s_waitcnt lgkmcnt(0)
	v_cndmask_b32_e64 v17, 0, v61, s[8:9]
	v_add_co_u32_e64 v49, s[8:9], v49, v59
	v_addc_co_u32_e64 v17, s[8:9], v17, v48, s[8:9]
	v_cndmask_b32_e32 v14, v14, v49, vcc
	v_cndmask_b32_e32 v15, v15, v17, vcc
	v_add_co_u32_e32 v14, vcc, v14, v12
	v_addc_co_u32_e32 v15, vcc, v15, v13, vcc
.LBB277_52:                             ; =>This Loop Header: Depth=1
                                        ;     Child Loop BB277_55 Depth 2
	v_cmp_ne_u16_sdwa s[8:9], v16, v33 src0_sel:BYTE_0 src1_sel:DWORD
	v_cndmask_b32_e64 v12, 0, 1, s[8:9]
	;;#ASMSTART
	;;#ASMEND
	v_cmp_ne_u32_e32 vcc, 0, v12
	s_cmp_lg_u64 vcc, exec
	v_pk_mov_b32 v[12:13], v[14:15], v[14:15] op_sel:[0,1]
	s_cbranch_scc1 .LBB277_57
; %bb.53:                               ;   in Loop: Header=BB277_52 Depth=1
	v_lshlrev_b64 v[14:15], 4, v[44:45]
	v_mov_b32_e32 v16, s31
	v_add_co_u32_e32 v48, vcc, s30, v14
	v_addc_co_u32_e32 v49, vcc, v16, v15, vcc
	;;#ASMSTART
	global_load_dwordx4 v[14:17], v[48:49] off glc	
s_waitcnt vmcnt(0)
	;;#ASMEND
	v_and_b32_e32 v17, 0xff, v15
	v_and_b32_e32 v59, 0xff00, v15
	v_or3_b32 v17, 0, v17, v59
	v_or3_b32 v14, v14, 0, 0
	v_and_b32_e32 v59, 0xff000000, v15
	v_and_b32_e32 v15, 0xff0000, v15
	v_or3_b32 v15, v17, v15, v59
	v_or3_b32 v14, v14, 0, 0
	v_cmp_eq_u16_sdwa s[10:11], v16, v45 src0_sel:BYTE_0 src1_sel:DWORD
	s_and_saveexec_b64 s[8:9], s[10:11]
	s_cbranch_execz .LBB277_51
; %bb.54:                               ;   in Loop: Header=BB277_52 Depth=1
	s_mov_b64 s[10:11], 0
.LBB277_55:                             ;   Parent Loop BB277_52 Depth=1
                                        ; =>  This Inner Loop Header: Depth=2
	;;#ASMSTART
	global_load_dwordx4 v[14:17], v[48:49] off glc	
s_waitcnt vmcnt(0)
	;;#ASMEND
	v_cmp_ne_u16_sdwa s[46:47], v16, v45 src0_sel:BYTE_0 src1_sel:DWORD
	s_or_b64 s[10:11], s[46:47], s[10:11]
	s_andn2_b64 exec, exec, s[10:11]
	s_cbranch_execnz .LBB277_55
; %bb.56:                               ;   in Loop: Header=BB277_52 Depth=1
	s_or_b64 exec, exec, s[10:11]
	s_branch .LBB277_51
.LBB277_57:                             ;   in Loop: Header=BB277_52 Depth=1
                                        ; implicit-def: $vgpr14_vgpr15
                                        ; implicit-def: $vgpr16
	s_cbranch_execz .LBB277_52
; %bb.58:
	s_and_saveexec_b64 s[8:9], s[6:7]
	s_cbranch_execz .LBB277_60
; %bb.59:
	s_add_i32 s10, s33, 64
	s_mov_b32 s11, 0
	s_lshl_b64 s[10:11], s[10:11], 4
	s_add_u32 s10, s30, s10
	v_add_co_u32_e32 v14, vcc, v12, v10
	s_addc_u32 s11, s31, s11
	v_addc_co_u32_e32 v15, vcc, v13, v11, vcc
	v_mov_b32_e32 v16, 2
	v_mov_b32_e32 v17, 0
	v_pk_mov_b32 v[44:45], s[10:11], s[10:11] op_sel:[0,1]
	;;#ASMSTART
	global_store_dwordx4 v[44:45], v[14:17] off	
s_waitcnt vmcnt(0)
	;;#ASMEND
	ds_write_b128 v17, v[10:13] offset:20480
.LBB277_60:
	s_or_b64 exec, exec, s[8:9]
	s_and_b64 exec, exec, s[0:1]
	s_cbranch_execz .LBB277_62
; %bb.61:
	v_mov_b32_e32 v10, 0
	ds_write_b64 v10, v[12:13] offset:56
.LBB277_62:
	s_or_b64 exec, exec, s[12:13]
	v_mov_b32_e32 v13, 0
	s_waitcnt lgkmcnt(0)
	s_barrier
	ds_read_b64 v[10:11], v13 offset:56
	v_cndmask_b32_e64 v12, v31, v42, s[6:7]
	v_cndmask_b32_e64 v1, v1, v43, s[6:7]
	;; [unrolled: 1-line block ×4, first 2 shown]
	s_waitcnt lgkmcnt(0)
	v_add_co_u32_e32 v56, vcc, v10, v12
	v_addc_co_u32_e32 v57, vcc, v11, v1, vcc
	v_add_co_u32_e32 v54, vcc, v56, v38
	v_addc_co_u32_e32 v55, vcc, 0, v57, vcc
	;; [unrolled: 2-line block ×8, first 2 shown]
	s_barrier
	ds_read_b128 v[10:13], v13 offset:20480
	v_add_co_u32_e32 v14, vcc, v42, v24
	v_addc_co_u32_e32 v15, vcc, 0, v43, vcc
	v_add_co_u32_e32 v16, vcc, v14, v22
	v_addc_co_u32_e32 v17, vcc, 0, v15, vcc
	s_branch .LBB277_77
.LBB277_63:
                                        ; kill: def $vgpr10_vgpr11 killed $sgpr0_sgpr1 killed $exec
                                        ; implicit-def: $vgpr12_vgpr13
                                        ; implicit-def: $vgpr16_vgpr17
                                        ; implicit-def: $vgpr14_vgpr15
                                        ; implicit-def: $vgpr42_vgpr43
                                        ; implicit-def: $vgpr44_vgpr45
                                        ; implicit-def: $vgpr46_vgpr47
                                        ; implicit-def: $vgpr48_vgpr49
                                        ; implicit-def: $vgpr50_vgpr51
                                        ; implicit-def: $vgpr52_vgpr53
                                        ; implicit-def: $vgpr54_vgpr55
                                        ; implicit-def: $vgpr56_vgpr57
	s_cbranch_execz .LBB277_77
; %bb.64:
	v_mov_b32_dpp v1, v40 row_shr:1 row_mask:0xf bank_mask:0xf
	v_add_co_u32_e32 v1, vcc, v40, v1
	s_waitcnt lgkmcnt(0)
	v_mov_b32_e32 v10, 0
	v_addc_co_u32_e32 v11, vcc, 0, v41, vcc
	s_nop 0
	v_mov_b32_dpp v10, v10 row_shr:1 row_mask:0xf bank_mask:0xf
	v_add_co_u32_e32 v12, vcc, 0, v1
	v_addc_co_u32_e32 v10, vcc, v10, v11, vcc
	v_cndmask_b32_e64 v1, v1, v40, s[4:5]
	v_cndmask_b32_e64 v11, v10, 0, s[4:5]
	;; [unrolled: 1-line block ×3, first 2 shown]
	v_mov_b32_dpp v13, v1 row_shr:2 row_mask:0xf bank_mask:0xf
	v_cndmask_b32_e64 v10, v10, v41, s[4:5]
	v_mov_b32_dpp v14, v11 row_shr:2 row_mask:0xf bank_mask:0xf
	v_add_co_u32_e32 v13, vcc, v13, v12
	v_addc_co_u32_e32 v14, vcc, v14, v10, vcc
	v_cndmask_b32_e64 v1, v1, v13, s[2:3]
	v_cndmask_b32_e64 v11, v11, v14, s[2:3]
	;; [unrolled: 1-line block ×3, first 2 shown]
	v_mov_b32_dpp v13, v1 row_shr:4 row_mask:0xf bank_mask:0xf
	v_cndmask_b32_e64 v10, v10, v14, s[2:3]
	v_mov_b32_dpp v14, v11 row_shr:4 row_mask:0xf bank_mask:0xf
	v_add_co_u32_e32 v13, vcc, v13, v12
	v_addc_co_u32_e32 v14, vcc, v14, v10, vcc
	v_cmp_lt_u32_e32 vcc, 3, v29
	v_cndmask_b32_e32 v1, v1, v13, vcc
	v_cndmask_b32_e32 v11, v11, v14, vcc
	;; [unrolled: 1-line block ×3, first 2 shown]
	v_mov_b32_dpp v13, v1 row_shr:8 row_mask:0xf bank_mask:0xf
	v_cndmask_b32_e32 v10, v10, v14, vcc
	v_mov_b32_dpp v14, v11 row_shr:8 row_mask:0xf bank_mask:0xf
	v_add_co_u32_e32 v13, vcc, v13, v12
	v_addc_co_u32_e32 v14, vcc, v14, v10, vcc
	v_cmp_lt_u32_e32 vcc, 7, v29
	v_cndmask_b32_e32 v16, v1, v13, vcc
	v_cndmask_b32_e32 v15, v11, v14, vcc
	;; [unrolled: 1-line block ×4, first 2 shown]
	v_mov_b32_dpp v11, v16 row_bcast:15 row_mask:0xf bank_mask:0xf
	v_mov_b32_dpp v12, v15 row_bcast:15 row_mask:0xf bank_mask:0xf
	v_add_co_u32_e32 v11, vcc, v11, v10
	v_addc_co_u32_e32 v12, vcc, v12, v1, vcc
	v_cmp_eq_u32_e64 s[2:3], 0, v27
	v_cndmask_b32_e64 v14, v12, v15, s[2:3]
	v_cndmask_b32_e64 v13, v11, v16, s[2:3]
	v_cmp_eq_u32_e32 vcc, 0, v25
	v_mov_b32_dpp v14, v14 row_bcast:31 row_mask:0xf bank_mask:0xf
	v_mov_b32_dpp v13, v13 row_bcast:31 row_mask:0xf bank_mask:0xf
	v_cmp_ne_u32_e64 s[4:5], 0, v25
	s_and_saveexec_b64 s[6:7], s[4:5]
; %bb.65:
	v_cndmask_b32_e64 v1, v12, v1, s[2:3]
	v_cndmask_b32_e64 v10, v11, v10, s[2:3]
	v_cmp_lt_u32_e64 s[2:3], 31, v25
	v_cndmask_b32_e64 v12, 0, v13, s[2:3]
	v_cndmask_b32_e64 v11, 0, v14, s[2:3]
	v_add_co_u32_e64 v40, s[2:3], v12, v10
	v_addc_co_u32_e64 v41, s[2:3], v11, v1, s[2:3]
; %bb.66:
	s_or_b64 exec, exec, s[6:7]
	v_or_b32_e32 v10, 63, v0
	v_lshrrev_b32_e32 v1, 6, v0
	v_cmp_eq_u32_e64 s[2:3], v10, v0
	s_and_saveexec_b64 s[4:5], s[2:3]
	s_cbranch_execz .LBB277_68
; %bb.67:
	v_lshlrev_b32_e32 v10, 3, v1
	ds_write_b64 v10, v[40:41]
.LBB277_68:
	s_or_b64 exec, exec, s[4:5]
	v_cmp_gt_u32_e64 s[2:3], 8, v0
	s_waitcnt lgkmcnt(0)
	s_barrier
	s_and_saveexec_b64 s[6:7], s[2:3]
	s_cbranch_execz .LBB277_72
; %bb.69:
	v_lshlrev_b32_e32 v12, 5, v0
	v_sub_u32_e32 v10, v23, v12
	ds_read_b64 v[10:11], v10
	v_and_b32_e32 v13, 7, v25
	v_sub_u32_e32 v12, 0, v12
	v_cmp_ne_u32_e64 s[4:5], 0, v13
	s_waitcnt lgkmcnt(0)
	v_mov_b32_dpp v14, v10 row_shr:1 row_mask:0xf bank_mask:0xf
	v_add_co_u32_e64 v16, s[2:3], v10, v14
	v_addc_co_u32_e64 v17, s[2:3], 0, v11, s[2:3]
	v_mov_b32_dpp v15, v11 row_shr:1 row_mask:0xf bank_mask:0xf
	v_add_co_u32_e64 v14, s[2:3], 0, v16
	v_addc_co_u32_e64 v15, s[2:3], v15, v17, s[2:3]
	v_cmp_eq_u32_e64 s[2:3], 0, v13
	v_cndmask_b32_e64 v27, v16, v10, s[2:3]
	v_cndmask_b32_e64 v29, v15, v11, s[2:3]
	;; [unrolled: 1-line block ×3, first 2 shown]
	v_mov_b32_dpp v17, v27 row_shr:2 row_mask:0xf bank_mask:0xf
	v_mov_b32_dpp v31, v29 row_shr:2 row_mask:0xf bank_mask:0xf
	v_add_co_u32_e64 v16, s[2:3], v17, v16
	v_addc_co_u32_e64 v17, s[2:3], v31, v29, s[2:3]
	v_cmp_lt_u32_e64 s[2:3], 1, v13
	v_cndmask_b32_e64 v29, v29, v17, s[2:3]
	v_cndmask_b32_e64 v27, v27, v16, s[2:3]
                                        ; kill: def $vgpr31 killed $sgpr0 killed $exec
	s_nop 0
	v_mov_b32_dpp v29, v29 row_shr:4 row_mask:0xf bank_mask:0xf
	v_mov_b32_dpp v27, v27 row_shr:4 row_mask:0xf bank_mask:0xf
	s_and_saveexec_b64 s[8:9], s[4:5]
; %bb.70:
	v_cndmask_b32_e64 v11, v15, v17, s[2:3]
	v_cndmask_b32_e64 v10, v14, v16, s[2:3]
	v_cmp_lt_u32_e64 s[2:3], 3, v13
	v_cndmask_b32_e64 v14, 0, v27, s[2:3]
	v_cndmask_b32_e64 v13, 0, v29, s[2:3]
	v_add_co_u32_e64 v10, s[2:3], v14, v10
	v_addc_co_u32_e64 v11, s[2:3], v13, v11, s[2:3]
; %bb.71:
	s_or_b64 exec, exec, s[8:9]
	v_add_u32_e32 v12, v23, v12
	ds_write_b64 v12, v[10:11]
.LBB277_72:
	s_or_b64 exec, exec, s[6:7]
	v_cmp_lt_u32_e64 s[2:3], 63, v0
	v_pk_mov_b32 v[14:15], 0, 0
	s_waitcnt lgkmcnt(0)
	s_barrier
	s_and_saveexec_b64 s[4:5], s[2:3]
	s_cbranch_execz .LBB277_74
; %bb.73:
	v_lshl_add_u32 v1, v1, 3, -8
	ds_read_b64 v[14:15], v1
.LBB277_74:
	s_or_b64 exec, exec, s[4:5]
	s_waitcnt lgkmcnt(0)
	v_add_co_u32_e64 v1, s[2:3], v14, v40
	v_addc_co_u32_e64 v10, s[2:3], v15, v41, s[2:3]
	v_add_u32_e32 v11, -1, v25
	v_and_b32_e32 v12, 64, v25
	v_cmp_lt_i32_e64 s[2:3], v11, v12
	v_cndmask_b32_e64 v11, v11, v25, s[2:3]
	v_lshlrev_b32_e32 v11, 2, v11
	v_mov_b32_e32 v13, 0
	ds_bpermute_b32 v1, v11, v1
	ds_bpermute_b32 v16, v11, v10
	ds_read_b64 v[10:11], v13 offset:56
	s_and_saveexec_b64 s[2:3], s[0:1]
	s_cbranch_execz .LBB277_76
; %bb.75:
	s_add_u32 s4, s30, 0x400
	s_addc_u32 s5, s31, 0
	v_mov_b32_e32 v12, 2
	v_pk_mov_b32 v[40:41], s[4:5], s[4:5] op_sel:[0,1]
	s_waitcnt lgkmcnt(0)
	;;#ASMSTART
	global_store_dwordx4 v[40:41], v[10:13] off	
s_waitcnt vmcnt(0)
	;;#ASMEND
.LBB277_76:
	s_or_b64 exec, exec, s[2:3]
	s_waitcnt lgkmcnt(2)
	v_cndmask_b32_e32 v1, v1, v14, vcc
	s_waitcnt lgkmcnt(1)
	v_cndmask_b32_e32 v12, v16, v15, vcc
	v_cndmask_b32_e64 v56, v1, 0, s[0:1]
	v_cndmask_b32_e64 v57, v12, 0, s[0:1]
	v_add_co_u32_e32 v54, vcc, v56, v38
	v_addc_co_u32_e32 v55, vcc, 0, v57, vcc
	v_add_co_u32_e32 v52, vcc, v54, v36
	v_addc_co_u32_e32 v53, vcc, 0, v55, vcc
	;; [unrolled: 2-line block ×9, first 2 shown]
	s_waitcnt lgkmcnt(0)
	s_barrier
	v_pk_mov_b32 v[12:13], 0, 0
.LBB277_77:
	s_mov_b64 s[2:3], 0x201
	s_waitcnt lgkmcnt(0)
	v_cmp_gt_u64_e32 vcc, s[2:3], v[10:11]
	s_mov_b64 s[2:3], -1
	s_cbranch_vccnz .LBB277_81
; %bb.78:
	s_and_b64 vcc, exec, s[2:3]
	s_cbranch_vccnz .LBB277_102
.LBB277_79:
	s_and_b64 s[0:1], s[0:1], s[26:27]
	s_and_saveexec_b64 s[2:3], s[0:1]
	s_cbranch_execnz .LBB277_124
.LBB277_80:
	s_endpgm
.LBB277_81:
	v_add_co_u32_e32 v22, vcc, v12, v10
	v_addc_co_u32_e32 v23, vcc, v13, v11, vcc
	s_waitcnt vmcnt(0)
	v_lshlrev_b64 v[24:25], 2, v[18:19]
	v_mov_b32_e32 v26, s23
	v_add_co_u32_e32 v1, vcc, s22, v24
	v_addc_co_u32_e32 v24, vcc, v26, v25, vcc
	v_cmp_ge_u64_e32 vcc, v[56:57], v[22:23]
	s_and_b64 s[2:3], s[28:29], vcc
	s_xor_b64 s[4:5], s[44:45], -1
	s_or_b64 s[2:3], s[2:3], s[4:5]
	s_xor_b64 s[4:5], s[2:3], -1
	s_and_saveexec_b64 s[2:3], s[4:5]
	s_cbranch_execz .LBB277_83
; %bb.82:
	v_lshlrev_b64 v[26:27], 2, v[56:57]
	v_add_co_u32_e32 v26, vcc, v1, v26
	v_addc_co_u32_e32 v27, vcc, v24, v27, vcc
	global_store_dword v[26:27], v6, off
.LBB277_83:
	s_or_b64 exec, exec, s[2:3]
	v_cmp_ge_u64_e32 vcc, v[54:55], v[22:23]
	s_and_b64 s[2:3], s[28:29], vcc
	s_xor_b64 s[4:5], s[42:43], -1
	s_or_b64 s[2:3], s[2:3], s[4:5]
	s_xor_b64 s[4:5], s[2:3], -1
	s_and_saveexec_b64 s[2:3], s[4:5]
	s_cbranch_execz .LBB277_85
; %bb.84:
	v_lshlrev_b64 v[26:27], 2, v[54:55]
	v_add_co_u32_e32 v26, vcc, v1, v26
	v_addc_co_u32_e32 v27, vcc, v24, v27, vcc
	global_store_dword v[26:27], v7, off
.LBB277_85:
	s_or_b64 exec, exec, s[2:3]
	v_cmp_ge_u64_e32 vcc, v[52:53], v[22:23]
	s_and_b64 s[2:3], s[28:29], vcc
	s_xor_b64 s[4:5], s[40:41], -1
	s_or_b64 s[2:3], s[2:3], s[4:5]
	s_xor_b64 s[4:5], s[2:3], -1
	s_and_saveexec_b64 s[2:3], s[4:5]
	s_cbranch_execz .LBB277_87
; %bb.86:
	v_lshlrev_b64 v[26:27], 2, v[52:53]
	v_add_co_u32_e32 v26, vcc, v1, v26
	v_addc_co_u32_e32 v27, vcc, v24, v27, vcc
	global_store_dword v[26:27], v8, off
.LBB277_87:
	s_or_b64 exec, exec, s[2:3]
	v_cmp_ge_u64_e32 vcc, v[50:51], v[22:23]
	s_and_b64 s[2:3], s[28:29], vcc
	s_xor_b64 s[4:5], s[38:39], -1
	s_or_b64 s[2:3], s[2:3], s[4:5]
	s_xor_b64 s[4:5], s[2:3], -1
	s_and_saveexec_b64 s[2:3], s[4:5]
	s_cbranch_execz .LBB277_89
; %bb.88:
	v_lshlrev_b64 v[26:27], 2, v[50:51]
	v_add_co_u32_e32 v26, vcc, v1, v26
	v_addc_co_u32_e32 v27, vcc, v24, v27, vcc
	global_store_dword v[26:27], v9, off
.LBB277_89:
	s_or_b64 exec, exec, s[2:3]
	v_cmp_ge_u64_e32 vcc, v[48:49], v[22:23]
	s_and_b64 s[2:3], s[28:29], vcc
	s_xor_b64 s[4:5], s[36:37], -1
	s_or_b64 s[2:3], s[2:3], s[4:5]
	s_xor_b64 s[4:5], s[2:3], -1
	s_and_saveexec_b64 s[2:3], s[4:5]
	s_cbranch_execz .LBB277_91
; %bb.90:
	v_lshlrev_b64 v[26:27], 2, v[48:49]
	v_add_co_u32_e32 v26, vcc, v1, v26
	v_addc_co_u32_e32 v27, vcc, v24, v27, vcc
	global_store_dword v[26:27], v2, off
.LBB277_91:
	s_or_b64 exec, exec, s[2:3]
	v_cmp_ge_u64_e32 vcc, v[46:47], v[22:23]
	s_and_b64 s[2:3], s[28:29], vcc
	s_xor_b64 s[4:5], s[34:35], -1
	s_or_b64 s[2:3], s[2:3], s[4:5]
	s_xor_b64 s[4:5], s[2:3], -1
	s_and_saveexec_b64 s[2:3], s[4:5]
	s_cbranch_execz .LBB277_93
; %bb.92:
	v_lshlrev_b64 v[26:27], 2, v[46:47]
	v_add_co_u32_e32 v26, vcc, v1, v26
	v_addc_co_u32_e32 v27, vcc, v24, v27, vcc
	global_store_dword v[26:27], v3, off
.LBB277_93:
	s_or_b64 exec, exec, s[2:3]
	v_cmp_ge_u64_e32 vcc, v[44:45], v[22:23]
	s_and_b64 s[2:3], s[28:29], vcc
	s_xor_b64 s[4:5], s[14:15], -1
	s_or_b64 s[2:3], s[2:3], s[4:5]
	s_xor_b64 s[4:5], s[2:3], -1
	s_and_saveexec_b64 s[2:3], s[4:5]
	s_cbranch_execz .LBB277_95
; %bb.94:
	v_lshlrev_b64 v[26:27], 2, v[44:45]
	v_add_co_u32_e32 v26, vcc, v1, v26
	v_addc_co_u32_e32 v27, vcc, v24, v27, vcc
	global_store_dword v[26:27], v4, off
.LBB277_95:
	s_or_b64 exec, exec, s[2:3]
	v_cmp_ge_u64_e32 vcc, v[42:43], v[22:23]
	s_and_b64 s[2:3], s[28:29], vcc
	s_xor_b64 s[4:5], s[16:17], -1
	s_or_b64 s[2:3], s[2:3], s[4:5]
	s_xor_b64 s[4:5], s[2:3], -1
	s_and_saveexec_b64 s[2:3], s[4:5]
	s_cbranch_execz .LBB277_97
; %bb.96:
	v_lshlrev_b64 v[26:27], 2, v[42:43]
	v_add_co_u32_e32 v26, vcc, v1, v26
	v_addc_co_u32_e32 v27, vcc, v24, v27, vcc
	global_store_dword v[26:27], v5, off
.LBB277_97:
	s_or_b64 exec, exec, s[2:3]
	v_cmp_ge_u64_e32 vcc, v[14:15], v[22:23]
	s_and_b64 s[2:3], s[28:29], vcc
	s_xor_b64 s[4:5], s[18:19], -1
	s_or_b64 s[2:3], s[2:3], s[4:5]
	s_xor_b64 s[4:5], s[2:3], -1
	s_and_saveexec_b64 s[2:3], s[4:5]
	s_cbranch_execz .LBB277_99
; %bb.98:
	v_lshlrev_b64 v[26:27], 2, v[14:15]
	v_add_co_u32_e32 v26, vcc, v1, v26
	v_addc_co_u32_e32 v27, vcc, v24, v27, vcc
	global_store_dword v[26:27], v20, off
.LBB277_99:
	s_or_b64 exec, exec, s[2:3]
	v_cmp_ge_u64_e32 vcc, v[16:17], v[22:23]
	s_and_b64 s[2:3], s[28:29], vcc
	s_xor_b64 s[4:5], s[20:21], -1
	s_or_b64 s[2:3], s[2:3], s[4:5]
	s_xor_b64 s[4:5], s[2:3], -1
	s_and_saveexec_b64 s[2:3], s[4:5]
	s_cbranch_execz .LBB277_101
; %bb.100:
	v_lshlrev_b64 v[22:23], 2, v[16:17]
	v_add_co_u32_e32 v22, vcc, v1, v22
	v_addc_co_u32_e32 v23, vcc, v24, v23, vcc
	global_store_dword v[22:23], v21, off
.LBB277_101:
	s_or_b64 exec, exec, s[2:3]
	s_branch .LBB277_79
.LBB277_102:
	s_and_saveexec_b64 s[2:3], s[44:45]
	s_cbranch_execnz .LBB277_125
; %bb.103:
	s_or_b64 exec, exec, s[2:3]
	s_and_saveexec_b64 s[2:3], s[42:43]
	s_cbranch_execnz .LBB277_126
.LBB277_104:
	s_or_b64 exec, exec, s[2:3]
	s_and_saveexec_b64 s[2:3], s[40:41]
	s_cbranch_execnz .LBB277_127
.LBB277_105:
	s_or_b64 exec, exec, s[2:3]
	s_and_saveexec_b64 s[2:3], s[38:39]
	s_cbranch_execnz .LBB277_128
.LBB277_106:
	s_or_b64 exec, exec, s[2:3]
	s_and_saveexec_b64 s[2:3], s[36:37]
	s_cbranch_execnz .LBB277_129
.LBB277_107:
	s_or_b64 exec, exec, s[2:3]
	s_and_saveexec_b64 s[2:3], s[34:35]
	s_cbranch_execnz .LBB277_130
.LBB277_108:
	s_or_b64 exec, exec, s[2:3]
	s_and_saveexec_b64 s[2:3], s[14:15]
	s_cbranch_execnz .LBB277_131
.LBB277_109:
	s_or_b64 exec, exec, s[2:3]
	s_and_saveexec_b64 s[2:3], s[16:17]
	s_cbranch_execnz .LBB277_132
.LBB277_110:
	s_or_b64 exec, exec, s[2:3]
	s_and_saveexec_b64 s[2:3], s[18:19]
	s_cbranch_execnz .LBB277_133
.LBB277_111:
	s_or_b64 exec, exec, s[2:3]
	s_and_saveexec_b64 s[2:3], s[20:21]
	s_cbranch_execz .LBB277_113
.LBB277_112:
	v_sub_u32_e32 v1, v16, v12
	v_lshlrev_b32_e32 v1, 2, v1
	ds_write_b32 v1, v21
.LBB277_113:
	s_or_b64 exec, exec, s[2:3]
	v_mov_b32_e32 v1, 0
	v_cmp_gt_u64_e32 vcc, v[10:11], v[0:1]
	s_waitcnt lgkmcnt(0)
	s_barrier
	s_and_saveexec_b64 s[8:9], vcc
	s_cbranch_execz .LBB277_123
; %bb.114:
	v_not_b32_e32 v3, v0
	v_not_b32_e32 v2, 0
	v_add_co_u32_e32 v4, vcc, v10, v3
	v_addc_co_u32_e32 v5, vcc, v11, v2, vcc
	s_mov_b64 s[2:3], 0x5e00
	s_mov_b64 s[4:5], 0x5dff
	v_cmp_gt_u64_e64 s[2:3], s[2:3], v[4:5]
	v_cmp_lt_u64_e32 vcc, s[4:5], v[4:5]
	v_pk_mov_b32 v[2:3], v[0:1], v[0:1] op_sel:[0,1]
	s_and_saveexec_b64 s[10:11], vcc
	s_cbranch_execz .LBB277_120
; %bb.115:
	v_alignbit_b32 v2, v5, v4, 9
	s_mov_b32 s4, 0x7fffff
	s_mov_b32 s6, -1
	v_lshlrev_b32_e32 v3, 9, v2
	v_cmp_lt_u32_e32 vcc, s4, v2
	v_not_b32_e32 v2, v0
	s_movk_i32 s7, 0x1ff
	v_cmp_gt_u32_e64 s[4:5], v3, v2
	v_xor_b32_e32 v2, 0xfffffdff, v0
	v_cmp_lt_u64_e64 s[6:7], s[6:7], v[4:5]
	s_or_b64 s[12:13], s[4:5], vcc
	v_cmp_lt_u32_e64 s[4:5], v2, v3
	s_or_b64 s[6:7], vcc, s[6:7]
	s_or_b64 s[4:5], s[6:7], s[4:5]
	s_or_b64 s[6:7], s[12:13], s[4:5]
	s_mov_b64 s[4:5], -1
	s_xor_b64 s[12:13], s[6:7], -1
	v_pk_mov_b32 v[2:3], v[0:1], v[0:1] op_sel:[0,1]
	s_and_saveexec_b64 s[6:7], s[12:13]
	s_cbranch_execz .LBB277_119
; %bb.116:
	v_lshrrev_b64 v[2:3], 9, v[4:5]
	v_add_co_u32_e32 v6, vcc, 1, v2
	v_addc_co_u32_e32 v7, vcc, 0, v3, vcc
	v_lshlrev_b64 v[4:5], 2, v[12:13]
	s_waitcnt vmcnt(0)
	v_lshlrev_b64 v[14:15], 2, v[18:19]
	v_add_co_u32_e32 v4, vcc, v4, v14
	v_addc_co_u32_e32 v5, vcc, v5, v15, vcc
	v_mov_b32_e32 v15, s23
	v_add_co_u32_e32 v4, vcc, s22, v4
	v_lshlrev_b32_e32 v14, 2, v0
	v_addc_co_u32_e32 v5, vcc, v15, v5, vcc
	v_add_co_u32_e32 v4, vcc, v4, v14
	v_addc_co_u32_e32 v5, vcc, 0, v5, vcc
	s_movk_i32 s4, 0x800
	v_or_b32_e32 v2, 0x200, v0
	v_mov_b32_e32 v3, v1
	v_add_co_u32_e32 v14, vcc, s4, v4
	v_and_b32_e32 v8, -2, v6
	v_mov_b32_e32 v9, v7
	v_addc_co_u32_e32 v15, vcc, 0, v5, vcc
	v_pk_mov_b32 v[4:5], v[2:3], v[2:3] op_sel:[0,1]
	s_mov_b64 s[12:13], 0
	v_pk_mov_b32 v[16:17], v[8:9], v[8:9] op_sel:[0,1]
	v_pk_mov_b32 v[2:3], v[0:1], v[0:1] op_sel:[0,1]
.LBB277_117:                            ; =>This Inner Loop Header: Depth=1
	v_lshlrev_b32_e32 v1, 2, v2
	v_lshlrev_b32_e32 v20, 2, v4
	ds_read_b32 v1, v1
	ds_read_b32 v20, v20
	v_add_co_u32_e32 v4, vcc, 0x400, v4
	v_addc_co_u32_e32 v5, vcc, 0, v5, vcc
	v_add_co_u32_e64 v16, s[4:5], -2, v16
	v_add_co_u32_e32 v2, vcc, 0x400, v2
	v_addc_co_u32_e64 v17, s[4:5], -1, v17, s[4:5]
	v_addc_co_u32_e32 v3, vcc, 0, v3, vcc
	v_cmp_eq_u64_e64 s[4:5], 0, v[16:17]
	s_waitcnt lgkmcnt(1)
	global_store_dword v[14:15], v1, off offset:-2048
	s_waitcnt lgkmcnt(0)
	global_store_dword v[14:15], v20, off
	v_add_co_u32_e32 v14, vcc, 0x1000, v14
	s_or_b64 s[12:13], s[4:5], s[12:13]
	v_addc_co_u32_e32 v15, vcc, 0, v15, vcc
	s_andn2_b64 exec, exec, s[12:13]
	s_cbranch_execnz .LBB277_117
; %bb.118:
	s_or_b64 exec, exec, s[12:13]
	v_lshlrev_b64 v[2:3], 9, v[8:9]
	v_cmp_ne_u64_e32 vcc, v[6:7], v[8:9]
	v_or_b32_e32 v3, 0, v3
	v_or_b32_e32 v2, v2, v0
	v_lshl_or_b32 v0, v8, 9, v0
	s_orn2_b64 s[4:5], vcc, exec
.LBB277_119:
	s_or_b64 exec, exec, s[6:7]
	s_andn2_b64 s[2:3], s[2:3], exec
	s_and_b64 s[4:5], s[4:5], exec
	s_or_b64 s[2:3], s[2:3], s[4:5]
.LBB277_120:
	s_or_b64 exec, exec, s[10:11]
	s_and_b64 exec, exec, s[2:3]
	s_cbranch_execz .LBB277_123
; %bb.121:
	v_lshlrev_b64 v[4:5], 2, v[12:13]
	v_mov_b32_e32 v1, s23
	v_add_co_u32_e32 v6, vcc, s22, v4
	v_addc_co_u32_e32 v1, vcc, v1, v5, vcc
	s_waitcnt vmcnt(0)
	v_lshlrev_b64 v[4:5], 2, v[18:19]
	v_add_co_u32_e32 v4, vcc, v6, v4
	v_addc_co_u32_e32 v5, vcc, v1, v5, vcc
	v_add_u32_e32 v0, 0x200, v0
	s_mov_b64 s[4:5], 0
	v_mov_b32_e32 v1, 0
.LBB277_122:                            ; =>This Inner Loop Header: Depth=1
	v_lshlrev_b32_e32 v8, 2, v2
	ds_read_b32 v8, v8
	v_lshlrev_b64 v[6:7], 2, v[2:3]
	v_cmp_le_u64_e32 vcc, v[10:11], v[0:1]
	v_add_co_u32_e64 v6, s[2:3], v4, v6
	v_pk_mov_b32 v[2:3], v[0:1], v[0:1] op_sel:[0,1]
	v_add_u32_e32 v0, 0x200, v0
	v_addc_co_u32_e64 v7, s[2:3], v5, v7, s[2:3]
	s_or_b64 s[4:5], vcc, s[4:5]
	s_waitcnt lgkmcnt(0)
	global_store_dword v[6:7], v8, off
	s_andn2_b64 exec, exec, s[4:5]
	s_cbranch_execnz .LBB277_122
.LBB277_123:
	s_or_b64 exec, exec, s[8:9]
	s_and_b64 s[0:1], s[0:1], s[26:27]
	s_and_saveexec_b64 s[2:3], s[0:1]
	s_cbranch_execz .LBB277_80
.LBB277_124:
	v_add_co_u32_e32 v0, vcc, v12, v10
	v_addc_co_u32_e32 v1, vcc, v13, v11, vcc
	s_waitcnt vmcnt(0)
	v_add_co_u32_e32 v0, vcc, v0, v18
	v_mov_b32_e32 v2, 0
	v_addc_co_u32_e32 v1, vcc, v1, v19, vcc
	global_store_dwordx2 v2, v[0:1], s[24:25]
	s_endpgm
.LBB277_125:
	v_sub_u32_e32 v1, v56, v12
	v_lshlrev_b32_e32 v1, 2, v1
	ds_write_b32 v1, v6
	s_or_b64 exec, exec, s[2:3]
	s_and_saveexec_b64 s[2:3], s[42:43]
	s_cbranch_execz .LBB277_104
.LBB277_126:
	v_sub_u32_e32 v1, v54, v12
	v_lshlrev_b32_e32 v1, 2, v1
	ds_write_b32 v1, v7
	s_or_b64 exec, exec, s[2:3]
	s_and_saveexec_b64 s[2:3], s[40:41]
	s_cbranch_execz .LBB277_105
.LBB277_127:
	v_sub_u32_e32 v1, v52, v12
	v_lshlrev_b32_e32 v1, 2, v1
	ds_write_b32 v1, v8
	s_or_b64 exec, exec, s[2:3]
	s_and_saveexec_b64 s[2:3], s[38:39]
	s_cbranch_execz .LBB277_106
.LBB277_128:
	v_sub_u32_e32 v1, v50, v12
	v_lshlrev_b32_e32 v1, 2, v1
	ds_write_b32 v1, v9
	s_or_b64 exec, exec, s[2:3]
	s_and_saveexec_b64 s[2:3], s[36:37]
	s_cbranch_execz .LBB277_107
.LBB277_129:
	v_sub_u32_e32 v1, v48, v12
	v_lshlrev_b32_e32 v1, 2, v1
	ds_write_b32 v1, v2
	s_or_b64 exec, exec, s[2:3]
	s_and_saveexec_b64 s[2:3], s[34:35]
	s_cbranch_execz .LBB277_108
.LBB277_130:
	v_sub_u32_e32 v1, v46, v12
	v_lshlrev_b32_e32 v1, 2, v1
	ds_write_b32 v1, v3
	s_or_b64 exec, exec, s[2:3]
	s_and_saveexec_b64 s[2:3], s[14:15]
	s_cbranch_execz .LBB277_109
.LBB277_131:
	v_sub_u32_e32 v1, v44, v12
	v_lshlrev_b32_e32 v1, 2, v1
	ds_write_b32 v1, v4
	s_or_b64 exec, exec, s[2:3]
	s_and_saveexec_b64 s[2:3], s[16:17]
	s_cbranch_execz .LBB277_110
.LBB277_132:
	v_sub_u32_e32 v1, v42, v12
	v_lshlrev_b32_e32 v1, 2, v1
	ds_write_b32 v1, v5
	s_or_b64 exec, exec, s[2:3]
	s_and_saveexec_b64 s[2:3], s[18:19]
	s_cbranch_execz .LBB277_111
.LBB277_133:
	v_sub_u32_e32 v1, v14, v12
	v_lshlrev_b32_e32 v1, 2, v1
	ds_write_b32 v1, v20
	s_or_b64 exec, exec, s[2:3]
	s_and_saveexec_b64 s[2:3], s[20:21]
	s_cbranch_execnz .LBB277_112
	s_branch .LBB277_113
	.section	.rodata,"a",@progbits
	.p2align	6, 0x0
	.amdhsa_kernel _ZN7rocprim17ROCPRIM_400000_NS6detail17trampoline_kernelINS0_14default_configENS1_25partition_config_selectorILNS1_17partition_subalgoE6EiNS0_10empty_typeEbEEZZNS1_14partition_implILS5_6ELb0ES3_mPiPS6_SA_NS0_5tupleIJS9_S6_EEENSB_IJSA_SA_EEES6_PlJN6thrust23THRUST_200600_302600_NS6detail9not_fun_tINSH_10functional5actorINSJ_9compositeIJNSJ_27transparent_binary_operatorINSG_8equal_toIvEEEENSK_INSJ_8argumentILj0EEEEENSJ_5valueIiEEEEEEEEEEEE10hipError_tPvRmT3_T4_T5_T6_T7_T9_mT8_P12ihipStream_tbDpT10_ENKUlT_T0_E_clISt17integral_constantIbLb0EES1G_IbLb1EEEEDaS1C_S1D_EUlS1C_E_NS1_11comp_targetILNS1_3genE4ELNS1_11target_archE910ELNS1_3gpuE8ELNS1_3repE0EEENS1_30default_config_static_selectorELNS0_4arch9wavefront6targetE1EEEvT1_
		.amdhsa_group_segment_fixed_size 20496
		.amdhsa_private_segment_fixed_size 0
		.amdhsa_kernarg_size 128
		.amdhsa_user_sgpr_count 6
		.amdhsa_user_sgpr_private_segment_buffer 1
		.amdhsa_user_sgpr_dispatch_ptr 0
		.amdhsa_user_sgpr_queue_ptr 0
		.amdhsa_user_sgpr_kernarg_segment_ptr 1
		.amdhsa_user_sgpr_dispatch_id 0
		.amdhsa_user_sgpr_flat_scratch_init 0
		.amdhsa_user_sgpr_kernarg_preload_length 0
		.amdhsa_user_sgpr_kernarg_preload_offset 0
		.amdhsa_user_sgpr_private_segment_size 0
		.amdhsa_uses_dynamic_stack 0
		.amdhsa_system_sgpr_private_segment_wavefront_offset 0
		.amdhsa_system_sgpr_workgroup_id_x 1
		.amdhsa_system_sgpr_workgroup_id_y 0
		.amdhsa_system_sgpr_workgroup_id_z 0
		.amdhsa_system_sgpr_workgroup_info 0
		.amdhsa_system_vgpr_workitem_id 0
		.amdhsa_next_free_vgpr 63
		.amdhsa_next_free_sgpr 56
		.amdhsa_accum_offset 64
		.amdhsa_reserve_vcc 1
		.amdhsa_reserve_flat_scratch 0
		.amdhsa_float_round_mode_32 0
		.amdhsa_float_round_mode_16_64 0
		.amdhsa_float_denorm_mode_32 3
		.amdhsa_float_denorm_mode_16_64 3
		.amdhsa_dx10_clamp 1
		.amdhsa_ieee_mode 1
		.amdhsa_fp16_overflow 0
		.amdhsa_tg_split 0
		.amdhsa_exception_fp_ieee_invalid_op 0
		.amdhsa_exception_fp_denorm_src 0
		.amdhsa_exception_fp_ieee_div_zero 0
		.amdhsa_exception_fp_ieee_overflow 0
		.amdhsa_exception_fp_ieee_underflow 0
		.amdhsa_exception_fp_ieee_inexact 0
		.amdhsa_exception_int_div_zero 0
	.end_amdhsa_kernel
	.section	.text._ZN7rocprim17ROCPRIM_400000_NS6detail17trampoline_kernelINS0_14default_configENS1_25partition_config_selectorILNS1_17partition_subalgoE6EiNS0_10empty_typeEbEEZZNS1_14partition_implILS5_6ELb0ES3_mPiPS6_SA_NS0_5tupleIJS9_S6_EEENSB_IJSA_SA_EEES6_PlJN6thrust23THRUST_200600_302600_NS6detail9not_fun_tINSH_10functional5actorINSJ_9compositeIJNSJ_27transparent_binary_operatorINSG_8equal_toIvEEEENSK_INSJ_8argumentILj0EEEEENSJ_5valueIiEEEEEEEEEEEE10hipError_tPvRmT3_T4_T5_T6_T7_T9_mT8_P12ihipStream_tbDpT10_ENKUlT_T0_E_clISt17integral_constantIbLb0EES1G_IbLb1EEEEDaS1C_S1D_EUlS1C_E_NS1_11comp_targetILNS1_3genE4ELNS1_11target_archE910ELNS1_3gpuE8ELNS1_3repE0EEENS1_30default_config_static_selectorELNS0_4arch9wavefront6targetE1EEEvT1_,"axG",@progbits,_ZN7rocprim17ROCPRIM_400000_NS6detail17trampoline_kernelINS0_14default_configENS1_25partition_config_selectorILNS1_17partition_subalgoE6EiNS0_10empty_typeEbEEZZNS1_14partition_implILS5_6ELb0ES3_mPiPS6_SA_NS0_5tupleIJS9_S6_EEENSB_IJSA_SA_EEES6_PlJN6thrust23THRUST_200600_302600_NS6detail9not_fun_tINSH_10functional5actorINSJ_9compositeIJNSJ_27transparent_binary_operatorINSG_8equal_toIvEEEENSK_INSJ_8argumentILj0EEEEENSJ_5valueIiEEEEEEEEEEEE10hipError_tPvRmT3_T4_T5_T6_T7_T9_mT8_P12ihipStream_tbDpT10_ENKUlT_T0_E_clISt17integral_constantIbLb0EES1G_IbLb1EEEEDaS1C_S1D_EUlS1C_E_NS1_11comp_targetILNS1_3genE4ELNS1_11target_archE910ELNS1_3gpuE8ELNS1_3repE0EEENS1_30default_config_static_selectorELNS0_4arch9wavefront6targetE1EEEvT1_,comdat
.Lfunc_end277:
	.size	_ZN7rocprim17ROCPRIM_400000_NS6detail17trampoline_kernelINS0_14default_configENS1_25partition_config_selectorILNS1_17partition_subalgoE6EiNS0_10empty_typeEbEEZZNS1_14partition_implILS5_6ELb0ES3_mPiPS6_SA_NS0_5tupleIJS9_S6_EEENSB_IJSA_SA_EEES6_PlJN6thrust23THRUST_200600_302600_NS6detail9not_fun_tINSH_10functional5actorINSJ_9compositeIJNSJ_27transparent_binary_operatorINSG_8equal_toIvEEEENSK_INSJ_8argumentILj0EEEEENSJ_5valueIiEEEEEEEEEEEE10hipError_tPvRmT3_T4_T5_T6_T7_T9_mT8_P12ihipStream_tbDpT10_ENKUlT_T0_E_clISt17integral_constantIbLb0EES1G_IbLb1EEEEDaS1C_S1D_EUlS1C_E_NS1_11comp_targetILNS1_3genE4ELNS1_11target_archE910ELNS1_3gpuE8ELNS1_3repE0EEENS1_30default_config_static_selectorELNS0_4arch9wavefront6targetE1EEEvT1_, .Lfunc_end277-_ZN7rocprim17ROCPRIM_400000_NS6detail17trampoline_kernelINS0_14default_configENS1_25partition_config_selectorILNS1_17partition_subalgoE6EiNS0_10empty_typeEbEEZZNS1_14partition_implILS5_6ELb0ES3_mPiPS6_SA_NS0_5tupleIJS9_S6_EEENSB_IJSA_SA_EEES6_PlJN6thrust23THRUST_200600_302600_NS6detail9not_fun_tINSH_10functional5actorINSJ_9compositeIJNSJ_27transparent_binary_operatorINSG_8equal_toIvEEEENSK_INSJ_8argumentILj0EEEEENSJ_5valueIiEEEEEEEEEEEE10hipError_tPvRmT3_T4_T5_T6_T7_T9_mT8_P12ihipStream_tbDpT10_ENKUlT_T0_E_clISt17integral_constantIbLb0EES1G_IbLb1EEEEDaS1C_S1D_EUlS1C_E_NS1_11comp_targetILNS1_3genE4ELNS1_11target_archE910ELNS1_3gpuE8ELNS1_3repE0EEENS1_30default_config_static_selectorELNS0_4arch9wavefront6targetE1EEEvT1_
                                        ; -- End function
	.section	.AMDGPU.csdata,"",@progbits
; Kernel info:
; codeLenInByte = 7136
; NumSgprs: 60
; NumVgprs: 63
; NumAgprs: 0
; TotalNumVgprs: 63
; ScratchSize: 0
; MemoryBound: 0
; FloatMode: 240
; IeeeMode: 1
; LDSByteSize: 20496 bytes/workgroup (compile time only)
; SGPRBlocks: 7
; VGPRBlocks: 7
; NumSGPRsForWavesPerEU: 60
; NumVGPRsForWavesPerEU: 63
; AccumOffset: 64
; Occupancy: 6
; WaveLimiterHint : 1
; COMPUTE_PGM_RSRC2:SCRATCH_EN: 0
; COMPUTE_PGM_RSRC2:USER_SGPR: 6
; COMPUTE_PGM_RSRC2:TRAP_HANDLER: 0
; COMPUTE_PGM_RSRC2:TGID_X_EN: 1
; COMPUTE_PGM_RSRC2:TGID_Y_EN: 0
; COMPUTE_PGM_RSRC2:TGID_Z_EN: 0
; COMPUTE_PGM_RSRC2:TIDIG_COMP_CNT: 0
; COMPUTE_PGM_RSRC3_GFX90A:ACCUM_OFFSET: 15
; COMPUTE_PGM_RSRC3_GFX90A:TG_SPLIT: 0
	.section	.text._ZN7rocprim17ROCPRIM_400000_NS6detail17trampoline_kernelINS0_14default_configENS1_25partition_config_selectorILNS1_17partition_subalgoE6EiNS0_10empty_typeEbEEZZNS1_14partition_implILS5_6ELb0ES3_mPiPS6_SA_NS0_5tupleIJS9_S6_EEENSB_IJSA_SA_EEES6_PlJN6thrust23THRUST_200600_302600_NS6detail9not_fun_tINSH_10functional5actorINSJ_9compositeIJNSJ_27transparent_binary_operatorINSG_8equal_toIvEEEENSK_INSJ_8argumentILj0EEEEENSJ_5valueIiEEEEEEEEEEEE10hipError_tPvRmT3_T4_T5_T6_T7_T9_mT8_P12ihipStream_tbDpT10_ENKUlT_T0_E_clISt17integral_constantIbLb0EES1G_IbLb1EEEEDaS1C_S1D_EUlS1C_E_NS1_11comp_targetILNS1_3genE3ELNS1_11target_archE908ELNS1_3gpuE7ELNS1_3repE0EEENS1_30default_config_static_selectorELNS0_4arch9wavefront6targetE1EEEvT1_,"axG",@progbits,_ZN7rocprim17ROCPRIM_400000_NS6detail17trampoline_kernelINS0_14default_configENS1_25partition_config_selectorILNS1_17partition_subalgoE6EiNS0_10empty_typeEbEEZZNS1_14partition_implILS5_6ELb0ES3_mPiPS6_SA_NS0_5tupleIJS9_S6_EEENSB_IJSA_SA_EEES6_PlJN6thrust23THRUST_200600_302600_NS6detail9not_fun_tINSH_10functional5actorINSJ_9compositeIJNSJ_27transparent_binary_operatorINSG_8equal_toIvEEEENSK_INSJ_8argumentILj0EEEEENSJ_5valueIiEEEEEEEEEEEE10hipError_tPvRmT3_T4_T5_T6_T7_T9_mT8_P12ihipStream_tbDpT10_ENKUlT_T0_E_clISt17integral_constantIbLb0EES1G_IbLb1EEEEDaS1C_S1D_EUlS1C_E_NS1_11comp_targetILNS1_3genE3ELNS1_11target_archE908ELNS1_3gpuE7ELNS1_3repE0EEENS1_30default_config_static_selectorELNS0_4arch9wavefront6targetE1EEEvT1_,comdat
	.protected	_ZN7rocprim17ROCPRIM_400000_NS6detail17trampoline_kernelINS0_14default_configENS1_25partition_config_selectorILNS1_17partition_subalgoE6EiNS0_10empty_typeEbEEZZNS1_14partition_implILS5_6ELb0ES3_mPiPS6_SA_NS0_5tupleIJS9_S6_EEENSB_IJSA_SA_EEES6_PlJN6thrust23THRUST_200600_302600_NS6detail9not_fun_tINSH_10functional5actorINSJ_9compositeIJNSJ_27transparent_binary_operatorINSG_8equal_toIvEEEENSK_INSJ_8argumentILj0EEEEENSJ_5valueIiEEEEEEEEEEEE10hipError_tPvRmT3_T4_T5_T6_T7_T9_mT8_P12ihipStream_tbDpT10_ENKUlT_T0_E_clISt17integral_constantIbLb0EES1G_IbLb1EEEEDaS1C_S1D_EUlS1C_E_NS1_11comp_targetILNS1_3genE3ELNS1_11target_archE908ELNS1_3gpuE7ELNS1_3repE0EEENS1_30default_config_static_selectorELNS0_4arch9wavefront6targetE1EEEvT1_ ; -- Begin function _ZN7rocprim17ROCPRIM_400000_NS6detail17trampoline_kernelINS0_14default_configENS1_25partition_config_selectorILNS1_17partition_subalgoE6EiNS0_10empty_typeEbEEZZNS1_14partition_implILS5_6ELb0ES3_mPiPS6_SA_NS0_5tupleIJS9_S6_EEENSB_IJSA_SA_EEES6_PlJN6thrust23THRUST_200600_302600_NS6detail9not_fun_tINSH_10functional5actorINSJ_9compositeIJNSJ_27transparent_binary_operatorINSG_8equal_toIvEEEENSK_INSJ_8argumentILj0EEEEENSJ_5valueIiEEEEEEEEEEEE10hipError_tPvRmT3_T4_T5_T6_T7_T9_mT8_P12ihipStream_tbDpT10_ENKUlT_T0_E_clISt17integral_constantIbLb0EES1G_IbLb1EEEEDaS1C_S1D_EUlS1C_E_NS1_11comp_targetILNS1_3genE3ELNS1_11target_archE908ELNS1_3gpuE7ELNS1_3repE0EEENS1_30default_config_static_selectorELNS0_4arch9wavefront6targetE1EEEvT1_
	.globl	_ZN7rocprim17ROCPRIM_400000_NS6detail17trampoline_kernelINS0_14default_configENS1_25partition_config_selectorILNS1_17partition_subalgoE6EiNS0_10empty_typeEbEEZZNS1_14partition_implILS5_6ELb0ES3_mPiPS6_SA_NS0_5tupleIJS9_S6_EEENSB_IJSA_SA_EEES6_PlJN6thrust23THRUST_200600_302600_NS6detail9not_fun_tINSH_10functional5actorINSJ_9compositeIJNSJ_27transparent_binary_operatorINSG_8equal_toIvEEEENSK_INSJ_8argumentILj0EEEEENSJ_5valueIiEEEEEEEEEEEE10hipError_tPvRmT3_T4_T5_T6_T7_T9_mT8_P12ihipStream_tbDpT10_ENKUlT_T0_E_clISt17integral_constantIbLb0EES1G_IbLb1EEEEDaS1C_S1D_EUlS1C_E_NS1_11comp_targetILNS1_3genE3ELNS1_11target_archE908ELNS1_3gpuE7ELNS1_3repE0EEENS1_30default_config_static_selectorELNS0_4arch9wavefront6targetE1EEEvT1_
	.p2align	8
	.type	_ZN7rocprim17ROCPRIM_400000_NS6detail17trampoline_kernelINS0_14default_configENS1_25partition_config_selectorILNS1_17partition_subalgoE6EiNS0_10empty_typeEbEEZZNS1_14partition_implILS5_6ELb0ES3_mPiPS6_SA_NS0_5tupleIJS9_S6_EEENSB_IJSA_SA_EEES6_PlJN6thrust23THRUST_200600_302600_NS6detail9not_fun_tINSH_10functional5actorINSJ_9compositeIJNSJ_27transparent_binary_operatorINSG_8equal_toIvEEEENSK_INSJ_8argumentILj0EEEEENSJ_5valueIiEEEEEEEEEEEE10hipError_tPvRmT3_T4_T5_T6_T7_T9_mT8_P12ihipStream_tbDpT10_ENKUlT_T0_E_clISt17integral_constantIbLb0EES1G_IbLb1EEEEDaS1C_S1D_EUlS1C_E_NS1_11comp_targetILNS1_3genE3ELNS1_11target_archE908ELNS1_3gpuE7ELNS1_3repE0EEENS1_30default_config_static_selectorELNS0_4arch9wavefront6targetE1EEEvT1_,@function
_ZN7rocprim17ROCPRIM_400000_NS6detail17trampoline_kernelINS0_14default_configENS1_25partition_config_selectorILNS1_17partition_subalgoE6EiNS0_10empty_typeEbEEZZNS1_14partition_implILS5_6ELb0ES3_mPiPS6_SA_NS0_5tupleIJS9_S6_EEENSB_IJSA_SA_EEES6_PlJN6thrust23THRUST_200600_302600_NS6detail9not_fun_tINSH_10functional5actorINSJ_9compositeIJNSJ_27transparent_binary_operatorINSG_8equal_toIvEEEENSK_INSJ_8argumentILj0EEEEENSJ_5valueIiEEEEEEEEEEEE10hipError_tPvRmT3_T4_T5_T6_T7_T9_mT8_P12ihipStream_tbDpT10_ENKUlT_T0_E_clISt17integral_constantIbLb0EES1G_IbLb1EEEEDaS1C_S1D_EUlS1C_E_NS1_11comp_targetILNS1_3genE3ELNS1_11target_archE908ELNS1_3gpuE7ELNS1_3repE0EEENS1_30default_config_static_selectorELNS0_4arch9wavefront6targetE1EEEvT1_: ; @_ZN7rocprim17ROCPRIM_400000_NS6detail17trampoline_kernelINS0_14default_configENS1_25partition_config_selectorILNS1_17partition_subalgoE6EiNS0_10empty_typeEbEEZZNS1_14partition_implILS5_6ELb0ES3_mPiPS6_SA_NS0_5tupleIJS9_S6_EEENSB_IJSA_SA_EEES6_PlJN6thrust23THRUST_200600_302600_NS6detail9not_fun_tINSH_10functional5actorINSJ_9compositeIJNSJ_27transparent_binary_operatorINSG_8equal_toIvEEEENSK_INSJ_8argumentILj0EEEEENSJ_5valueIiEEEEEEEEEEEE10hipError_tPvRmT3_T4_T5_T6_T7_T9_mT8_P12ihipStream_tbDpT10_ENKUlT_T0_E_clISt17integral_constantIbLb0EES1G_IbLb1EEEEDaS1C_S1D_EUlS1C_E_NS1_11comp_targetILNS1_3genE3ELNS1_11target_archE908ELNS1_3gpuE7ELNS1_3repE0EEENS1_30default_config_static_selectorELNS0_4arch9wavefront6targetE1EEEvT1_
; %bb.0:
	.section	.rodata,"a",@progbits
	.p2align	6, 0x0
	.amdhsa_kernel _ZN7rocprim17ROCPRIM_400000_NS6detail17trampoline_kernelINS0_14default_configENS1_25partition_config_selectorILNS1_17partition_subalgoE6EiNS0_10empty_typeEbEEZZNS1_14partition_implILS5_6ELb0ES3_mPiPS6_SA_NS0_5tupleIJS9_S6_EEENSB_IJSA_SA_EEES6_PlJN6thrust23THRUST_200600_302600_NS6detail9not_fun_tINSH_10functional5actorINSJ_9compositeIJNSJ_27transparent_binary_operatorINSG_8equal_toIvEEEENSK_INSJ_8argumentILj0EEEEENSJ_5valueIiEEEEEEEEEEEE10hipError_tPvRmT3_T4_T5_T6_T7_T9_mT8_P12ihipStream_tbDpT10_ENKUlT_T0_E_clISt17integral_constantIbLb0EES1G_IbLb1EEEEDaS1C_S1D_EUlS1C_E_NS1_11comp_targetILNS1_3genE3ELNS1_11target_archE908ELNS1_3gpuE7ELNS1_3repE0EEENS1_30default_config_static_selectorELNS0_4arch9wavefront6targetE1EEEvT1_
		.amdhsa_group_segment_fixed_size 0
		.amdhsa_private_segment_fixed_size 0
		.amdhsa_kernarg_size 128
		.amdhsa_user_sgpr_count 6
		.amdhsa_user_sgpr_private_segment_buffer 1
		.amdhsa_user_sgpr_dispatch_ptr 0
		.amdhsa_user_sgpr_queue_ptr 0
		.amdhsa_user_sgpr_kernarg_segment_ptr 1
		.amdhsa_user_sgpr_dispatch_id 0
		.amdhsa_user_sgpr_flat_scratch_init 0
		.amdhsa_user_sgpr_kernarg_preload_length 0
		.amdhsa_user_sgpr_kernarg_preload_offset 0
		.amdhsa_user_sgpr_private_segment_size 0
		.amdhsa_uses_dynamic_stack 0
		.amdhsa_system_sgpr_private_segment_wavefront_offset 0
		.amdhsa_system_sgpr_workgroup_id_x 1
		.amdhsa_system_sgpr_workgroup_id_y 0
		.amdhsa_system_sgpr_workgroup_id_z 0
		.amdhsa_system_sgpr_workgroup_info 0
		.amdhsa_system_vgpr_workitem_id 0
		.amdhsa_next_free_vgpr 1
		.amdhsa_next_free_sgpr 0
		.amdhsa_accum_offset 4
		.amdhsa_reserve_vcc 0
		.amdhsa_reserve_flat_scratch 0
		.amdhsa_float_round_mode_32 0
		.amdhsa_float_round_mode_16_64 0
		.amdhsa_float_denorm_mode_32 3
		.amdhsa_float_denorm_mode_16_64 3
		.amdhsa_dx10_clamp 1
		.amdhsa_ieee_mode 1
		.amdhsa_fp16_overflow 0
		.amdhsa_tg_split 0
		.amdhsa_exception_fp_ieee_invalid_op 0
		.amdhsa_exception_fp_denorm_src 0
		.amdhsa_exception_fp_ieee_div_zero 0
		.amdhsa_exception_fp_ieee_overflow 0
		.amdhsa_exception_fp_ieee_underflow 0
		.amdhsa_exception_fp_ieee_inexact 0
		.amdhsa_exception_int_div_zero 0
	.end_amdhsa_kernel
	.section	.text._ZN7rocprim17ROCPRIM_400000_NS6detail17trampoline_kernelINS0_14default_configENS1_25partition_config_selectorILNS1_17partition_subalgoE6EiNS0_10empty_typeEbEEZZNS1_14partition_implILS5_6ELb0ES3_mPiPS6_SA_NS0_5tupleIJS9_S6_EEENSB_IJSA_SA_EEES6_PlJN6thrust23THRUST_200600_302600_NS6detail9not_fun_tINSH_10functional5actorINSJ_9compositeIJNSJ_27transparent_binary_operatorINSG_8equal_toIvEEEENSK_INSJ_8argumentILj0EEEEENSJ_5valueIiEEEEEEEEEEEE10hipError_tPvRmT3_T4_T5_T6_T7_T9_mT8_P12ihipStream_tbDpT10_ENKUlT_T0_E_clISt17integral_constantIbLb0EES1G_IbLb1EEEEDaS1C_S1D_EUlS1C_E_NS1_11comp_targetILNS1_3genE3ELNS1_11target_archE908ELNS1_3gpuE7ELNS1_3repE0EEENS1_30default_config_static_selectorELNS0_4arch9wavefront6targetE1EEEvT1_,"axG",@progbits,_ZN7rocprim17ROCPRIM_400000_NS6detail17trampoline_kernelINS0_14default_configENS1_25partition_config_selectorILNS1_17partition_subalgoE6EiNS0_10empty_typeEbEEZZNS1_14partition_implILS5_6ELb0ES3_mPiPS6_SA_NS0_5tupleIJS9_S6_EEENSB_IJSA_SA_EEES6_PlJN6thrust23THRUST_200600_302600_NS6detail9not_fun_tINSH_10functional5actorINSJ_9compositeIJNSJ_27transparent_binary_operatorINSG_8equal_toIvEEEENSK_INSJ_8argumentILj0EEEEENSJ_5valueIiEEEEEEEEEEEE10hipError_tPvRmT3_T4_T5_T6_T7_T9_mT8_P12ihipStream_tbDpT10_ENKUlT_T0_E_clISt17integral_constantIbLb0EES1G_IbLb1EEEEDaS1C_S1D_EUlS1C_E_NS1_11comp_targetILNS1_3genE3ELNS1_11target_archE908ELNS1_3gpuE7ELNS1_3repE0EEENS1_30default_config_static_selectorELNS0_4arch9wavefront6targetE1EEEvT1_,comdat
.Lfunc_end278:
	.size	_ZN7rocprim17ROCPRIM_400000_NS6detail17trampoline_kernelINS0_14default_configENS1_25partition_config_selectorILNS1_17partition_subalgoE6EiNS0_10empty_typeEbEEZZNS1_14partition_implILS5_6ELb0ES3_mPiPS6_SA_NS0_5tupleIJS9_S6_EEENSB_IJSA_SA_EEES6_PlJN6thrust23THRUST_200600_302600_NS6detail9not_fun_tINSH_10functional5actorINSJ_9compositeIJNSJ_27transparent_binary_operatorINSG_8equal_toIvEEEENSK_INSJ_8argumentILj0EEEEENSJ_5valueIiEEEEEEEEEEEE10hipError_tPvRmT3_T4_T5_T6_T7_T9_mT8_P12ihipStream_tbDpT10_ENKUlT_T0_E_clISt17integral_constantIbLb0EES1G_IbLb1EEEEDaS1C_S1D_EUlS1C_E_NS1_11comp_targetILNS1_3genE3ELNS1_11target_archE908ELNS1_3gpuE7ELNS1_3repE0EEENS1_30default_config_static_selectorELNS0_4arch9wavefront6targetE1EEEvT1_, .Lfunc_end278-_ZN7rocprim17ROCPRIM_400000_NS6detail17trampoline_kernelINS0_14default_configENS1_25partition_config_selectorILNS1_17partition_subalgoE6EiNS0_10empty_typeEbEEZZNS1_14partition_implILS5_6ELb0ES3_mPiPS6_SA_NS0_5tupleIJS9_S6_EEENSB_IJSA_SA_EEES6_PlJN6thrust23THRUST_200600_302600_NS6detail9not_fun_tINSH_10functional5actorINSJ_9compositeIJNSJ_27transparent_binary_operatorINSG_8equal_toIvEEEENSK_INSJ_8argumentILj0EEEEENSJ_5valueIiEEEEEEEEEEEE10hipError_tPvRmT3_T4_T5_T6_T7_T9_mT8_P12ihipStream_tbDpT10_ENKUlT_T0_E_clISt17integral_constantIbLb0EES1G_IbLb1EEEEDaS1C_S1D_EUlS1C_E_NS1_11comp_targetILNS1_3genE3ELNS1_11target_archE908ELNS1_3gpuE7ELNS1_3repE0EEENS1_30default_config_static_selectorELNS0_4arch9wavefront6targetE1EEEvT1_
                                        ; -- End function
	.section	.AMDGPU.csdata,"",@progbits
; Kernel info:
; codeLenInByte = 0
; NumSgprs: 4
; NumVgprs: 0
; NumAgprs: 0
; TotalNumVgprs: 0
; ScratchSize: 0
; MemoryBound: 0
; FloatMode: 240
; IeeeMode: 1
; LDSByteSize: 0 bytes/workgroup (compile time only)
; SGPRBlocks: 0
; VGPRBlocks: 0
; NumSGPRsForWavesPerEU: 4
; NumVGPRsForWavesPerEU: 1
; AccumOffset: 4
; Occupancy: 8
; WaveLimiterHint : 0
; COMPUTE_PGM_RSRC2:SCRATCH_EN: 0
; COMPUTE_PGM_RSRC2:USER_SGPR: 6
; COMPUTE_PGM_RSRC2:TRAP_HANDLER: 0
; COMPUTE_PGM_RSRC2:TGID_X_EN: 1
; COMPUTE_PGM_RSRC2:TGID_Y_EN: 0
; COMPUTE_PGM_RSRC2:TGID_Z_EN: 0
; COMPUTE_PGM_RSRC2:TIDIG_COMP_CNT: 0
; COMPUTE_PGM_RSRC3_GFX90A:ACCUM_OFFSET: 0
; COMPUTE_PGM_RSRC3_GFX90A:TG_SPLIT: 0
	.section	.text._ZN7rocprim17ROCPRIM_400000_NS6detail17trampoline_kernelINS0_14default_configENS1_25partition_config_selectorILNS1_17partition_subalgoE6EiNS0_10empty_typeEbEEZZNS1_14partition_implILS5_6ELb0ES3_mPiPS6_SA_NS0_5tupleIJS9_S6_EEENSB_IJSA_SA_EEES6_PlJN6thrust23THRUST_200600_302600_NS6detail9not_fun_tINSH_10functional5actorINSJ_9compositeIJNSJ_27transparent_binary_operatorINSG_8equal_toIvEEEENSK_INSJ_8argumentILj0EEEEENSJ_5valueIiEEEEEEEEEEEE10hipError_tPvRmT3_T4_T5_T6_T7_T9_mT8_P12ihipStream_tbDpT10_ENKUlT_T0_E_clISt17integral_constantIbLb0EES1G_IbLb1EEEEDaS1C_S1D_EUlS1C_E_NS1_11comp_targetILNS1_3genE2ELNS1_11target_archE906ELNS1_3gpuE6ELNS1_3repE0EEENS1_30default_config_static_selectorELNS0_4arch9wavefront6targetE1EEEvT1_,"axG",@progbits,_ZN7rocprim17ROCPRIM_400000_NS6detail17trampoline_kernelINS0_14default_configENS1_25partition_config_selectorILNS1_17partition_subalgoE6EiNS0_10empty_typeEbEEZZNS1_14partition_implILS5_6ELb0ES3_mPiPS6_SA_NS0_5tupleIJS9_S6_EEENSB_IJSA_SA_EEES6_PlJN6thrust23THRUST_200600_302600_NS6detail9not_fun_tINSH_10functional5actorINSJ_9compositeIJNSJ_27transparent_binary_operatorINSG_8equal_toIvEEEENSK_INSJ_8argumentILj0EEEEENSJ_5valueIiEEEEEEEEEEEE10hipError_tPvRmT3_T4_T5_T6_T7_T9_mT8_P12ihipStream_tbDpT10_ENKUlT_T0_E_clISt17integral_constantIbLb0EES1G_IbLb1EEEEDaS1C_S1D_EUlS1C_E_NS1_11comp_targetILNS1_3genE2ELNS1_11target_archE906ELNS1_3gpuE6ELNS1_3repE0EEENS1_30default_config_static_selectorELNS0_4arch9wavefront6targetE1EEEvT1_,comdat
	.protected	_ZN7rocprim17ROCPRIM_400000_NS6detail17trampoline_kernelINS0_14default_configENS1_25partition_config_selectorILNS1_17partition_subalgoE6EiNS0_10empty_typeEbEEZZNS1_14partition_implILS5_6ELb0ES3_mPiPS6_SA_NS0_5tupleIJS9_S6_EEENSB_IJSA_SA_EEES6_PlJN6thrust23THRUST_200600_302600_NS6detail9not_fun_tINSH_10functional5actorINSJ_9compositeIJNSJ_27transparent_binary_operatorINSG_8equal_toIvEEEENSK_INSJ_8argumentILj0EEEEENSJ_5valueIiEEEEEEEEEEEE10hipError_tPvRmT3_T4_T5_T6_T7_T9_mT8_P12ihipStream_tbDpT10_ENKUlT_T0_E_clISt17integral_constantIbLb0EES1G_IbLb1EEEEDaS1C_S1D_EUlS1C_E_NS1_11comp_targetILNS1_3genE2ELNS1_11target_archE906ELNS1_3gpuE6ELNS1_3repE0EEENS1_30default_config_static_selectorELNS0_4arch9wavefront6targetE1EEEvT1_ ; -- Begin function _ZN7rocprim17ROCPRIM_400000_NS6detail17trampoline_kernelINS0_14default_configENS1_25partition_config_selectorILNS1_17partition_subalgoE6EiNS0_10empty_typeEbEEZZNS1_14partition_implILS5_6ELb0ES3_mPiPS6_SA_NS0_5tupleIJS9_S6_EEENSB_IJSA_SA_EEES6_PlJN6thrust23THRUST_200600_302600_NS6detail9not_fun_tINSH_10functional5actorINSJ_9compositeIJNSJ_27transparent_binary_operatorINSG_8equal_toIvEEEENSK_INSJ_8argumentILj0EEEEENSJ_5valueIiEEEEEEEEEEEE10hipError_tPvRmT3_T4_T5_T6_T7_T9_mT8_P12ihipStream_tbDpT10_ENKUlT_T0_E_clISt17integral_constantIbLb0EES1G_IbLb1EEEEDaS1C_S1D_EUlS1C_E_NS1_11comp_targetILNS1_3genE2ELNS1_11target_archE906ELNS1_3gpuE6ELNS1_3repE0EEENS1_30default_config_static_selectorELNS0_4arch9wavefront6targetE1EEEvT1_
	.globl	_ZN7rocprim17ROCPRIM_400000_NS6detail17trampoline_kernelINS0_14default_configENS1_25partition_config_selectorILNS1_17partition_subalgoE6EiNS0_10empty_typeEbEEZZNS1_14partition_implILS5_6ELb0ES3_mPiPS6_SA_NS0_5tupleIJS9_S6_EEENSB_IJSA_SA_EEES6_PlJN6thrust23THRUST_200600_302600_NS6detail9not_fun_tINSH_10functional5actorINSJ_9compositeIJNSJ_27transparent_binary_operatorINSG_8equal_toIvEEEENSK_INSJ_8argumentILj0EEEEENSJ_5valueIiEEEEEEEEEEEE10hipError_tPvRmT3_T4_T5_T6_T7_T9_mT8_P12ihipStream_tbDpT10_ENKUlT_T0_E_clISt17integral_constantIbLb0EES1G_IbLb1EEEEDaS1C_S1D_EUlS1C_E_NS1_11comp_targetILNS1_3genE2ELNS1_11target_archE906ELNS1_3gpuE6ELNS1_3repE0EEENS1_30default_config_static_selectorELNS0_4arch9wavefront6targetE1EEEvT1_
	.p2align	8
	.type	_ZN7rocprim17ROCPRIM_400000_NS6detail17trampoline_kernelINS0_14default_configENS1_25partition_config_selectorILNS1_17partition_subalgoE6EiNS0_10empty_typeEbEEZZNS1_14partition_implILS5_6ELb0ES3_mPiPS6_SA_NS0_5tupleIJS9_S6_EEENSB_IJSA_SA_EEES6_PlJN6thrust23THRUST_200600_302600_NS6detail9not_fun_tINSH_10functional5actorINSJ_9compositeIJNSJ_27transparent_binary_operatorINSG_8equal_toIvEEEENSK_INSJ_8argumentILj0EEEEENSJ_5valueIiEEEEEEEEEEEE10hipError_tPvRmT3_T4_T5_T6_T7_T9_mT8_P12ihipStream_tbDpT10_ENKUlT_T0_E_clISt17integral_constantIbLb0EES1G_IbLb1EEEEDaS1C_S1D_EUlS1C_E_NS1_11comp_targetILNS1_3genE2ELNS1_11target_archE906ELNS1_3gpuE6ELNS1_3repE0EEENS1_30default_config_static_selectorELNS0_4arch9wavefront6targetE1EEEvT1_,@function
_ZN7rocprim17ROCPRIM_400000_NS6detail17trampoline_kernelINS0_14default_configENS1_25partition_config_selectorILNS1_17partition_subalgoE6EiNS0_10empty_typeEbEEZZNS1_14partition_implILS5_6ELb0ES3_mPiPS6_SA_NS0_5tupleIJS9_S6_EEENSB_IJSA_SA_EEES6_PlJN6thrust23THRUST_200600_302600_NS6detail9not_fun_tINSH_10functional5actorINSJ_9compositeIJNSJ_27transparent_binary_operatorINSG_8equal_toIvEEEENSK_INSJ_8argumentILj0EEEEENSJ_5valueIiEEEEEEEEEEEE10hipError_tPvRmT3_T4_T5_T6_T7_T9_mT8_P12ihipStream_tbDpT10_ENKUlT_T0_E_clISt17integral_constantIbLb0EES1G_IbLb1EEEEDaS1C_S1D_EUlS1C_E_NS1_11comp_targetILNS1_3genE2ELNS1_11target_archE906ELNS1_3gpuE6ELNS1_3repE0EEENS1_30default_config_static_selectorELNS0_4arch9wavefront6targetE1EEEvT1_: ; @_ZN7rocprim17ROCPRIM_400000_NS6detail17trampoline_kernelINS0_14default_configENS1_25partition_config_selectorILNS1_17partition_subalgoE6EiNS0_10empty_typeEbEEZZNS1_14partition_implILS5_6ELb0ES3_mPiPS6_SA_NS0_5tupleIJS9_S6_EEENSB_IJSA_SA_EEES6_PlJN6thrust23THRUST_200600_302600_NS6detail9not_fun_tINSH_10functional5actorINSJ_9compositeIJNSJ_27transparent_binary_operatorINSG_8equal_toIvEEEENSK_INSJ_8argumentILj0EEEEENSJ_5valueIiEEEEEEEEEEEE10hipError_tPvRmT3_T4_T5_T6_T7_T9_mT8_P12ihipStream_tbDpT10_ENKUlT_T0_E_clISt17integral_constantIbLb0EES1G_IbLb1EEEEDaS1C_S1D_EUlS1C_E_NS1_11comp_targetILNS1_3genE2ELNS1_11target_archE906ELNS1_3gpuE6ELNS1_3repE0EEENS1_30default_config_static_selectorELNS0_4arch9wavefront6targetE1EEEvT1_
; %bb.0:
	.section	.rodata,"a",@progbits
	.p2align	6, 0x0
	.amdhsa_kernel _ZN7rocprim17ROCPRIM_400000_NS6detail17trampoline_kernelINS0_14default_configENS1_25partition_config_selectorILNS1_17partition_subalgoE6EiNS0_10empty_typeEbEEZZNS1_14partition_implILS5_6ELb0ES3_mPiPS6_SA_NS0_5tupleIJS9_S6_EEENSB_IJSA_SA_EEES6_PlJN6thrust23THRUST_200600_302600_NS6detail9not_fun_tINSH_10functional5actorINSJ_9compositeIJNSJ_27transparent_binary_operatorINSG_8equal_toIvEEEENSK_INSJ_8argumentILj0EEEEENSJ_5valueIiEEEEEEEEEEEE10hipError_tPvRmT3_T4_T5_T6_T7_T9_mT8_P12ihipStream_tbDpT10_ENKUlT_T0_E_clISt17integral_constantIbLb0EES1G_IbLb1EEEEDaS1C_S1D_EUlS1C_E_NS1_11comp_targetILNS1_3genE2ELNS1_11target_archE906ELNS1_3gpuE6ELNS1_3repE0EEENS1_30default_config_static_selectorELNS0_4arch9wavefront6targetE1EEEvT1_
		.amdhsa_group_segment_fixed_size 0
		.amdhsa_private_segment_fixed_size 0
		.amdhsa_kernarg_size 128
		.amdhsa_user_sgpr_count 6
		.amdhsa_user_sgpr_private_segment_buffer 1
		.amdhsa_user_sgpr_dispatch_ptr 0
		.amdhsa_user_sgpr_queue_ptr 0
		.amdhsa_user_sgpr_kernarg_segment_ptr 1
		.amdhsa_user_sgpr_dispatch_id 0
		.amdhsa_user_sgpr_flat_scratch_init 0
		.amdhsa_user_sgpr_kernarg_preload_length 0
		.amdhsa_user_sgpr_kernarg_preload_offset 0
		.amdhsa_user_sgpr_private_segment_size 0
		.amdhsa_uses_dynamic_stack 0
		.amdhsa_system_sgpr_private_segment_wavefront_offset 0
		.amdhsa_system_sgpr_workgroup_id_x 1
		.amdhsa_system_sgpr_workgroup_id_y 0
		.amdhsa_system_sgpr_workgroup_id_z 0
		.amdhsa_system_sgpr_workgroup_info 0
		.amdhsa_system_vgpr_workitem_id 0
		.amdhsa_next_free_vgpr 1
		.amdhsa_next_free_sgpr 0
		.amdhsa_accum_offset 4
		.amdhsa_reserve_vcc 0
		.amdhsa_reserve_flat_scratch 0
		.amdhsa_float_round_mode_32 0
		.amdhsa_float_round_mode_16_64 0
		.amdhsa_float_denorm_mode_32 3
		.amdhsa_float_denorm_mode_16_64 3
		.amdhsa_dx10_clamp 1
		.amdhsa_ieee_mode 1
		.amdhsa_fp16_overflow 0
		.amdhsa_tg_split 0
		.amdhsa_exception_fp_ieee_invalid_op 0
		.amdhsa_exception_fp_denorm_src 0
		.amdhsa_exception_fp_ieee_div_zero 0
		.amdhsa_exception_fp_ieee_overflow 0
		.amdhsa_exception_fp_ieee_underflow 0
		.amdhsa_exception_fp_ieee_inexact 0
		.amdhsa_exception_int_div_zero 0
	.end_amdhsa_kernel
	.section	.text._ZN7rocprim17ROCPRIM_400000_NS6detail17trampoline_kernelINS0_14default_configENS1_25partition_config_selectorILNS1_17partition_subalgoE6EiNS0_10empty_typeEbEEZZNS1_14partition_implILS5_6ELb0ES3_mPiPS6_SA_NS0_5tupleIJS9_S6_EEENSB_IJSA_SA_EEES6_PlJN6thrust23THRUST_200600_302600_NS6detail9not_fun_tINSH_10functional5actorINSJ_9compositeIJNSJ_27transparent_binary_operatorINSG_8equal_toIvEEEENSK_INSJ_8argumentILj0EEEEENSJ_5valueIiEEEEEEEEEEEE10hipError_tPvRmT3_T4_T5_T6_T7_T9_mT8_P12ihipStream_tbDpT10_ENKUlT_T0_E_clISt17integral_constantIbLb0EES1G_IbLb1EEEEDaS1C_S1D_EUlS1C_E_NS1_11comp_targetILNS1_3genE2ELNS1_11target_archE906ELNS1_3gpuE6ELNS1_3repE0EEENS1_30default_config_static_selectorELNS0_4arch9wavefront6targetE1EEEvT1_,"axG",@progbits,_ZN7rocprim17ROCPRIM_400000_NS6detail17trampoline_kernelINS0_14default_configENS1_25partition_config_selectorILNS1_17partition_subalgoE6EiNS0_10empty_typeEbEEZZNS1_14partition_implILS5_6ELb0ES3_mPiPS6_SA_NS0_5tupleIJS9_S6_EEENSB_IJSA_SA_EEES6_PlJN6thrust23THRUST_200600_302600_NS6detail9not_fun_tINSH_10functional5actorINSJ_9compositeIJNSJ_27transparent_binary_operatorINSG_8equal_toIvEEEENSK_INSJ_8argumentILj0EEEEENSJ_5valueIiEEEEEEEEEEEE10hipError_tPvRmT3_T4_T5_T6_T7_T9_mT8_P12ihipStream_tbDpT10_ENKUlT_T0_E_clISt17integral_constantIbLb0EES1G_IbLb1EEEEDaS1C_S1D_EUlS1C_E_NS1_11comp_targetILNS1_3genE2ELNS1_11target_archE906ELNS1_3gpuE6ELNS1_3repE0EEENS1_30default_config_static_selectorELNS0_4arch9wavefront6targetE1EEEvT1_,comdat
.Lfunc_end279:
	.size	_ZN7rocprim17ROCPRIM_400000_NS6detail17trampoline_kernelINS0_14default_configENS1_25partition_config_selectorILNS1_17partition_subalgoE6EiNS0_10empty_typeEbEEZZNS1_14partition_implILS5_6ELb0ES3_mPiPS6_SA_NS0_5tupleIJS9_S6_EEENSB_IJSA_SA_EEES6_PlJN6thrust23THRUST_200600_302600_NS6detail9not_fun_tINSH_10functional5actorINSJ_9compositeIJNSJ_27transparent_binary_operatorINSG_8equal_toIvEEEENSK_INSJ_8argumentILj0EEEEENSJ_5valueIiEEEEEEEEEEEE10hipError_tPvRmT3_T4_T5_T6_T7_T9_mT8_P12ihipStream_tbDpT10_ENKUlT_T0_E_clISt17integral_constantIbLb0EES1G_IbLb1EEEEDaS1C_S1D_EUlS1C_E_NS1_11comp_targetILNS1_3genE2ELNS1_11target_archE906ELNS1_3gpuE6ELNS1_3repE0EEENS1_30default_config_static_selectorELNS0_4arch9wavefront6targetE1EEEvT1_, .Lfunc_end279-_ZN7rocprim17ROCPRIM_400000_NS6detail17trampoline_kernelINS0_14default_configENS1_25partition_config_selectorILNS1_17partition_subalgoE6EiNS0_10empty_typeEbEEZZNS1_14partition_implILS5_6ELb0ES3_mPiPS6_SA_NS0_5tupleIJS9_S6_EEENSB_IJSA_SA_EEES6_PlJN6thrust23THRUST_200600_302600_NS6detail9not_fun_tINSH_10functional5actorINSJ_9compositeIJNSJ_27transparent_binary_operatorINSG_8equal_toIvEEEENSK_INSJ_8argumentILj0EEEEENSJ_5valueIiEEEEEEEEEEEE10hipError_tPvRmT3_T4_T5_T6_T7_T9_mT8_P12ihipStream_tbDpT10_ENKUlT_T0_E_clISt17integral_constantIbLb0EES1G_IbLb1EEEEDaS1C_S1D_EUlS1C_E_NS1_11comp_targetILNS1_3genE2ELNS1_11target_archE906ELNS1_3gpuE6ELNS1_3repE0EEENS1_30default_config_static_selectorELNS0_4arch9wavefront6targetE1EEEvT1_
                                        ; -- End function
	.section	.AMDGPU.csdata,"",@progbits
; Kernel info:
; codeLenInByte = 0
; NumSgprs: 4
; NumVgprs: 0
; NumAgprs: 0
; TotalNumVgprs: 0
; ScratchSize: 0
; MemoryBound: 0
; FloatMode: 240
; IeeeMode: 1
; LDSByteSize: 0 bytes/workgroup (compile time only)
; SGPRBlocks: 0
; VGPRBlocks: 0
; NumSGPRsForWavesPerEU: 4
; NumVGPRsForWavesPerEU: 1
; AccumOffset: 4
; Occupancy: 8
; WaveLimiterHint : 0
; COMPUTE_PGM_RSRC2:SCRATCH_EN: 0
; COMPUTE_PGM_RSRC2:USER_SGPR: 6
; COMPUTE_PGM_RSRC2:TRAP_HANDLER: 0
; COMPUTE_PGM_RSRC2:TGID_X_EN: 1
; COMPUTE_PGM_RSRC2:TGID_Y_EN: 0
; COMPUTE_PGM_RSRC2:TGID_Z_EN: 0
; COMPUTE_PGM_RSRC2:TIDIG_COMP_CNT: 0
; COMPUTE_PGM_RSRC3_GFX90A:ACCUM_OFFSET: 0
; COMPUTE_PGM_RSRC3_GFX90A:TG_SPLIT: 0
	.section	.text._ZN7rocprim17ROCPRIM_400000_NS6detail17trampoline_kernelINS0_14default_configENS1_25partition_config_selectorILNS1_17partition_subalgoE6EiNS0_10empty_typeEbEEZZNS1_14partition_implILS5_6ELb0ES3_mPiPS6_SA_NS0_5tupleIJS9_S6_EEENSB_IJSA_SA_EEES6_PlJN6thrust23THRUST_200600_302600_NS6detail9not_fun_tINSH_10functional5actorINSJ_9compositeIJNSJ_27transparent_binary_operatorINSG_8equal_toIvEEEENSK_INSJ_8argumentILj0EEEEENSJ_5valueIiEEEEEEEEEEEE10hipError_tPvRmT3_T4_T5_T6_T7_T9_mT8_P12ihipStream_tbDpT10_ENKUlT_T0_E_clISt17integral_constantIbLb0EES1G_IbLb1EEEEDaS1C_S1D_EUlS1C_E_NS1_11comp_targetILNS1_3genE10ELNS1_11target_archE1200ELNS1_3gpuE4ELNS1_3repE0EEENS1_30default_config_static_selectorELNS0_4arch9wavefront6targetE1EEEvT1_,"axG",@progbits,_ZN7rocprim17ROCPRIM_400000_NS6detail17trampoline_kernelINS0_14default_configENS1_25partition_config_selectorILNS1_17partition_subalgoE6EiNS0_10empty_typeEbEEZZNS1_14partition_implILS5_6ELb0ES3_mPiPS6_SA_NS0_5tupleIJS9_S6_EEENSB_IJSA_SA_EEES6_PlJN6thrust23THRUST_200600_302600_NS6detail9not_fun_tINSH_10functional5actorINSJ_9compositeIJNSJ_27transparent_binary_operatorINSG_8equal_toIvEEEENSK_INSJ_8argumentILj0EEEEENSJ_5valueIiEEEEEEEEEEEE10hipError_tPvRmT3_T4_T5_T6_T7_T9_mT8_P12ihipStream_tbDpT10_ENKUlT_T0_E_clISt17integral_constantIbLb0EES1G_IbLb1EEEEDaS1C_S1D_EUlS1C_E_NS1_11comp_targetILNS1_3genE10ELNS1_11target_archE1200ELNS1_3gpuE4ELNS1_3repE0EEENS1_30default_config_static_selectorELNS0_4arch9wavefront6targetE1EEEvT1_,comdat
	.protected	_ZN7rocprim17ROCPRIM_400000_NS6detail17trampoline_kernelINS0_14default_configENS1_25partition_config_selectorILNS1_17partition_subalgoE6EiNS0_10empty_typeEbEEZZNS1_14partition_implILS5_6ELb0ES3_mPiPS6_SA_NS0_5tupleIJS9_S6_EEENSB_IJSA_SA_EEES6_PlJN6thrust23THRUST_200600_302600_NS6detail9not_fun_tINSH_10functional5actorINSJ_9compositeIJNSJ_27transparent_binary_operatorINSG_8equal_toIvEEEENSK_INSJ_8argumentILj0EEEEENSJ_5valueIiEEEEEEEEEEEE10hipError_tPvRmT3_T4_T5_T6_T7_T9_mT8_P12ihipStream_tbDpT10_ENKUlT_T0_E_clISt17integral_constantIbLb0EES1G_IbLb1EEEEDaS1C_S1D_EUlS1C_E_NS1_11comp_targetILNS1_3genE10ELNS1_11target_archE1200ELNS1_3gpuE4ELNS1_3repE0EEENS1_30default_config_static_selectorELNS0_4arch9wavefront6targetE1EEEvT1_ ; -- Begin function _ZN7rocprim17ROCPRIM_400000_NS6detail17trampoline_kernelINS0_14default_configENS1_25partition_config_selectorILNS1_17partition_subalgoE6EiNS0_10empty_typeEbEEZZNS1_14partition_implILS5_6ELb0ES3_mPiPS6_SA_NS0_5tupleIJS9_S6_EEENSB_IJSA_SA_EEES6_PlJN6thrust23THRUST_200600_302600_NS6detail9not_fun_tINSH_10functional5actorINSJ_9compositeIJNSJ_27transparent_binary_operatorINSG_8equal_toIvEEEENSK_INSJ_8argumentILj0EEEEENSJ_5valueIiEEEEEEEEEEEE10hipError_tPvRmT3_T4_T5_T6_T7_T9_mT8_P12ihipStream_tbDpT10_ENKUlT_T0_E_clISt17integral_constantIbLb0EES1G_IbLb1EEEEDaS1C_S1D_EUlS1C_E_NS1_11comp_targetILNS1_3genE10ELNS1_11target_archE1200ELNS1_3gpuE4ELNS1_3repE0EEENS1_30default_config_static_selectorELNS0_4arch9wavefront6targetE1EEEvT1_
	.globl	_ZN7rocprim17ROCPRIM_400000_NS6detail17trampoline_kernelINS0_14default_configENS1_25partition_config_selectorILNS1_17partition_subalgoE6EiNS0_10empty_typeEbEEZZNS1_14partition_implILS5_6ELb0ES3_mPiPS6_SA_NS0_5tupleIJS9_S6_EEENSB_IJSA_SA_EEES6_PlJN6thrust23THRUST_200600_302600_NS6detail9not_fun_tINSH_10functional5actorINSJ_9compositeIJNSJ_27transparent_binary_operatorINSG_8equal_toIvEEEENSK_INSJ_8argumentILj0EEEEENSJ_5valueIiEEEEEEEEEEEE10hipError_tPvRmT3_T4_T5_T6_T7_T9_mT8_P12ihipStream_tbDpT10_ENKUlT_T0_E_clISt17integral_constantIbLb0EES1G_IbLb1EEEEDaS1C_S1D_EUlS1C_E_NS1_11comp_targetILNS1_3genE10ELNS1_11target_archE1200ELNS1_3gpuE4ELNS1_3repE0EEENS1_30default_config_static_selectorELNS0_4arch9wavefront6targetE1EEEvT1_
	.p2align	8
	.type	_ZN7rocprim17ROCPRIM_400000_NS6detail17trampoline_kernelINS0_14default_configENS1_25partition_config_selectorILNS1_17partition_subalgoE6EiNS0_10empty_typeEbEEZZNS1_14partition_implILS5_6ELb0ES3_mPiPS6_SA_NS0_5tupleIJS9_S6_EEENSB_IJSA_SA_EEES6_PlJN6thrust23THRUST_200600_302600_NS6detail9not_fun_tINSH_10functional5actorINSJ_9compositeIJNSJ_27transparent_binary_operatorINSG_8equal_toIvEEEENSK_INSJ_8argumentILj0EEEEENSJ_5valueIiEEEEEEEEEEEE10hipError_tPvRmT3_T4_T5_T6_T7_T9_mT8_P12ihipStream_tbDpT10_ENKUlT_T0_E_clISt17integral_constantIbLb0EES1G_IbLb1EEEEDaS1C_S1D_EUlS1C_E_NS1_11comp_targetILNS1_3genE10ELNS1_11target_archE1200ELNS1_3gpuE4ELNS1_3repE0EEENS1_30default_config_static_selectorELNS0_4arch9wavefront6targetE1EEEvT1_,@function
_ZN7rocprim17ROCPRIM_400000_NS6detail17trampoline_kernelINS0_14default_configENS1_25partition_config_selectorILNS1_17partition_subalgoE6EiNS0_10empty_typeEbEEZZNS1_14partition_implILS5_6ELb0ES3_mPiPS6_SA_NS0_5tupleIJS9_S6_EEENSB_IJSA_SA_EEES6_PlJN6thrust23THRUST_200600_302600_NS6detail9not_fun_tINSH_10functional5actorINSJ_9compositeIJNSJ_27transparent_binary_operatorINSG_8equal_toIvEEEENSK_INSJ_8argumentILj0EEEEENSJ_5valueIiEEEEEEEEEEEE10hipError_tPvRmT3_T4_T5_T6_T7_T9_mT8_P12ihipStream_tbDpT10_ENKUlT_T0_E_clISt17integral_constantIbLb0EES1G_IbLb1EEEEDaS1C_S1D_EUlS1C_E_NS1_11comp_targetILNS1_3genE10ELNS1_11target_archE1200ELNS1_3gpuE4ELNS1_3repE0EEENS1_30default_config_static_selectorELNS0_4arch9wavefront6targetE1EEEvT1_: ; @_ZN7rocprim17ROCPRIM_400000_NS6detail17trampoline_kernelINS0_14default_configENS1_25partition_config_selectorILNS1_17partition_subalgoE6EiNS0_10empty_typeEbEEZZNS1_14partition_implILS5_6ELb0ES3_mPiPS6_SA_NS0_5tupleIJS9_S6_EEENSB_IJSA_SA_EEES6_PlJN6thrust23THRUST_200600_302600_NS6detail9not_fun_tINSH_10functional5actorINSJ_9compositeIJNSJ_27transparent_binary_operatorINSG_8equal_toIvEEEENSK_INSJ_8argumentILj0EEEEENSJ_5valueIiEEEEEEEEEEEE10hipError_tPvRmT3_T4_T5_T6_T7_T9_mT8_P12ihipStream_tbDpT10_ENKUlT_T0_E_clISt17integral_constantIbLb0EES1G_IbLb1EEEEDaS1C_S1D_EUlS1C_E_NS1_11comp_targetILNS1_3genE10ELNS1_11target_archE1200ELNS1_3gpuE4ELNS1_3repE0EEENS1_30default_config_static_selectorELNS0_4arch9wavefront6targetE1EEEvT1_
; %bb.0:
	.section	.rodata,"a",@progbits
	.p2align	6, 0x0
	.amdhsa_kernel _ZN7rocprim17ROCPRIM_400000_NS6detail17trampoline_kernelINS0_14default_configENS1_25partition_config_selectorILNS1_17partition_subalgoE6EiNS0_10empty_typeEbEEZZNS1_14partition_implILS5_6ELb0ES3_mPiPS6_SA_NS0_5tupleIJS9_S6_EEENSB_IJSA_SA_EEES6_PlJN6thrust23THRUST_200600_302600_NS6detail9not_fun_tINSH_10functional5actorINSJ_9compositeIJNSJ_27transparent_binary_operatorINSG_8equal_toIvEEEENSK_INSJ_8argumentILj0EEEEENSJ_5valueIiEEEEEEEEEEEE10hipError_tPvRmT3_T4_T5_T6_T7_T9_mT8_P12ihipStream_tbDpT10_ENKUlT_T0_E_clISt17integral_constantIbLb0EES1G_IbLb1EEEEDaS1C_S1D_EUlS1C_E_NS1_11comp_targetILNS1_3genE10ELNS1_11target_archE1200ELNS1_3gpuE4ELNS1_3repE0EEENS1_30default_config_static_selectorELNS0_4arch9wavefront6targetE1EEEvT1_
		.amdhsa_group_segment_fixed_size 0
		.amdhsa_private_segment_fixed_size 0
		.amdhsa_kernarg_size 128
		.amdhsa_user_sgpr_count 6
		.amdhsa_user_sgpr_private_segment_buffer 1
		.amdhsa_user_sgpr_dispatch_ptr 0
		.amdhsa_user_sgpr_queue_ptr 0
		.amdhsa_user_sgpr_kernarg_segment_ptr 1
		.amdhsa_user_sgpr_dispatch_id 0
		.amdhsa_user_sgpr_flat_scratch_init 0
		.amdhsa_user_sgpr_kernarg_preload_length 0
		.amdhsa_user_sgpr_kernarg_preload_offset 0
		.amdhsa_user_sgpr_private_segment_size 0
		.amdhsa_uses_dynamic_stack 0
		.amdhsa_system_sgpr_private_segment_wavefront_offset 0
		.amdhsa_system_sgpr_workgroup_id_x 1
		.amdhsa_system_sgpr_workgroup_id_y 0
		.amdhsa_system_sgpr_workgroup_id_z 0
		.amdhsa_system_sgpr_workgroup_info 0
		.amdhsa_system_vgpr_workitem_id 0
		.amdhsa_next_free_vgpr 1
		.amdhsa_next_free_sgpr 0
		.amdhsa_accum_offset 4
		.amdhsa_reserve_vcc 0
		.amdhsa_reserve_flat_scratch 0
		.amdhsa_float_round_mode_32 0
		.amdhsa_float_round_mode_16_64 0
		.amdhsa_float_denorm_mode_32 3
		.amdhsa_float_denorm_mode_16_64 3
		.amdhsa_dx10_clamp 1
		.amdhsa_ieee_mode 1
		.amdhsa_fp16_overflow 0
		.amdhsa_tg_split 0
		.amdhsa_exception_fp_ieee_invalid_op 0
		.amdhsa_exception_fp_denorm_src 0
		.amdhsa_exception_fp_ieee_div_zero 0
		.amdhsa_exception_fp_ieee_overflow 0
		.amdhsa_exception_fp_ieee_underflow 0
		.amdhsa_exception_fp_ieee_inexact 0
		.amdhsa_exception_int_div_zero 0
	.end_amdhsa_kernel
	.section	.text._ZN7rocprim17ROCPRIM_400000_NS6detail17trampoline_kernelINS0_14default_configENS1_25partition_config_selectorILNS1_17partition_subalgoE6EiNS0_10empty_typeEbEEZZNS1_14partition_implILS5_6ELb0ES3_mPiPS6_SA_NS0_5tupleIJS9_S6_EEENSB_IJSA_SA_EEES6_PlJN6thrust23THRUST_200600_302600_NS6detail9not_fun_tINSH_10functional5actorINSJ_9compositeIJNSJ_27transparent_binary_operatorINSG_8equal_toIvEEEENSK_INSJ_8argumentILj0EEEEENSJ_5valueIiEEEEEEEEEEEE10hipError_tPvRmT3_T4_T5_T6_T7_T9_mT8_P12ihipStream_tbDpT10_ENKUlT_T0_E_clISt17integral_constantIbLb0EES1G_IbLb1EEEEDaS1C_S1D_EUlS1C_E_NS1_11comp_targetILNS1_3genE10ELNS1_11target_archE1200ELNS1_3gpuE4ELNS1_3repE0EEENS1_30default_config_static_selectorELNS0_4arch9wavefront6targetE1EEEvT1_,"axG",@progbits,_ZN7rocprim17ROCPRIM_400000_NS6detail17trampoline_kernelINS0_14default_configENS1_25partition_config_selectorILNS1_17partition_subalgoE6EiNS0_10empty_typeEbEEZZNS1_14partition_implILS5_6ELb0ES3_mPiPS6_SA_NS0_5tupleIJS9_S6_EEENSB_IJSA_SA_EEES6_PlJN6thrust23THRUST_200600_302600_NS6detail9not_fun_tINSH_10functional5actorINSJ_9compositeIJNSJ_27transparent_binary_operatorINSG_8equal_toIvEEEENSK_INSJ_8argumentILj0EEEEENSJ_5valueIiEEEEEEEEEEEE10hipError_tPvRmT3_T4_T5_T6_T7_T9_mT8_P12ihipStream_tbDpT10_ENKUlT_T0_E_clISt17integral_constantIbLb0EES1G_IbLb1EEEEDaS1C_S1D_EUlS1C_E_NS1_11comp_targetILNS1_3genE10ELNS1_11target_archE1200ELNS1_3gpuE4ELNS1_3repE0EEENS1_30default_config_static_selectorELNS0_4arch9wavefront6targetE1EEEvT1_,comdat
.Lfunc_end280:
	.size	_ZN7rocprim17ROCPRIM_400000_NS6detail17trampoline_kernelINS0_14default_configENS1_25partition_config_selectorILNS1_17partition_subalgoE6EiNS0_10empty_typeEbEEZZNS1_14partition_implILS5_6ELb0ES3_mPiPS6_SA_NS0_5tupleIJS9_S6_EEENSB_IJSA_SA_EEES6_PlJN6thrust23THRUST_200600_302600_NS6detail9not_fun_tINSH_10functional5actorINSJ_9compositeIJNSJ_27transparent_binary_operatorINSG_8equal_toIvEEEENSK_INSJ_8argumentILj0EEEEENSJ_5valueIiEEEEEEEEEEEE10hipError_tPvRmT3_T4_T5_T6_T7_T9_mT8_P12ihipStream_tbDpT10_ENKUlT_T0_E_clISt17integral_constantIbLb0EES1G_IbLb1EEEEDaS1C_S1D_EUlS1C_E_NS1_11comp_targetILNS1_3genE10ELNS1_11target_archE1200ELNS1_3gpuE4ELNS1_3repE0EEENS1_30default_config_static_selectorELNS0_4arch9wavefront6targetE1EEEvT1_, .Lfunc_end280-_ZN7rocprim17ROCPRIM_400000_NS6detail17trampoline_kernelINS0_14default_configENS1_25partition_config_selectorILNS1_17partition_subalgoE6EiNS0_10empty_typeEbEEZZNS1_14partition_implILS5_6ELb0ES3_mPiPS6_SA_NS0_5tupleIJS9_S6_EEENSB_IJSA_SA_EEES6_PlJN6thrust23THRUST_200600_302600_NS6detail9not_fun_tINSH_10functional5actorINSJ_9compositeIJNSJ_27transparent_binary_operatorINSG_8equal_toIvEEEENSK_INSJ_8argumentILj0EEEEENSJ_5valueIiEEEEEEEEEEEE10hipError_tPvRmT3_T4_T5_T6_T7_T9_mT8_P12ihipStream_tbDpT10_ENKUlT_T0_E_clISt17integral_constantIbLb0EES1G_IbLb1EEEEDaS1C_S1D_EUlS1C_E_NS1_11comp_targetILNS1_3genE10ELNS1_11target_archE1200ELNS1_3gpuE4ELNS1_3repE0EEENS1_30default_config_static_selectorELNS0_4arch9wavefront6targetE1EEEvT1_
                                        ; -- End function
	.section	.AMDGPU.csdata,"",@progbits
; Kernel info:
; codeLenInByte = 0
; NumSgprs: 4
; NumVgprs: 0
; NumAgprs: 0
; TotalNumVgprs: 0
; ScratchSize: 0
; MemoryBound: 0
; FloatMode: 240
; IeeeMode: 1
; LDSByteSize: 0 bytes/workgroup (compile time only)
; SGPRBlocks: 0
; VGPRBlocks: 0
; NumSGPRsForWavesPerEU: 4
; NumVGPRsForWavesPerEU: 1
; AccumOffset: 4
; Occupancy: 8
; WaveLimiterHint : 0
; COMPUTE_PGM_RSRC2:SCRATCH_EN: 0
; COMPUTE_PGM_RSRC2:USER_SGPR: 6
; COMPUTE_PGM_RSRC2:TRAP_HANDLER: 0
; COMPUTE_PGM_RSRC2:TGID_X_EN: 1
; COMPUTE_PGM_RSRC2:TGID_Y_EN: 0
; COMPUTE_PGM_RSRC2:TGID_Z_EN: 0
; COMPUTE_PGM_RSRC2:TIDIG_COMP_CNT: 0
; COMPUTE_PGM_RSRC3_GFX90A:ACCUM_OFFSET: 0
; COMPUTE_PGM_RSRC3_GFX90A:TG_SPLIT: 0
	.section	.text._ZN7rocprim17ROCPRIM_400000_NS6detail17trampoline_kernelINS0_14default_configENS1_25partition_config_selectorILNS1_17partition_subalgoE6EiNS0_10empty_typeEbEEZZNS1_14partition_implILS5_6ELb0ES3_mPiPS6_SA_NS0_5tupleIJS9_S6_EEENSB_IJSA_SA_EEES6_PlJN6thrust23THRUST_200600_302600_NS6detail9not_fun_tINSH_10functional5actorINSJ_9compositeIJNSJ_27transparent_binary_operatorINSG_8equal_toIvEEEENSK_INSJ_8argumentILj0EEEEENSJ_5valueIiEEEEEEEEEEEE10hipError_tPvRmT3_T4_T5_T6_T7_T9_mT8_P12ihipStream_tbDpT10_ENKUlT_T0_E_clISt17integral_constantIbLb0EES1G_IbLb1EEEEDaS1C_S1D_EUlS1C_E_NS1_11comp_targetILNS1_3genE9ELNS1_11target_archE1100ELNS1_3gpuE3ELNS1_3repE0EEENS1_30default_config_static_selectorELNS0_4arch9wavefront6targetE1EEEvT1_,"axG",@progbits,_ZN7rocprim17ROCPRIM_400000_NS6detail17trampoline_kernelINS0_14default_configENS1_25partition_config_selectorILNS1_17partition_subalgoE6EiNS0_10empty_typeEbEEZZNS1_14partition_implILS5_6ELb0ES3_mPiPS6_SA_NS0_5tupleIJS9_S6_EEENSB_IJSA_SA_EEES6_PlJN6thrust23THRUST_200600_302600_NS6detail9not_fun_tINSH_10functional5actorINSJ_9compositeIJNSJ_27transparent_binary_operatorINSG_8equal_toIvEEEENSK_INSJ_8argumentILj0EEEEENSJ_5valueIiEEEEEEEEEEEE10hipError_tPvRmT3_T4_T5_T6_T7_T9_mT8_P12ihipStream_tbDpT10_ENKUlT_T0_E_clISt17integral_constantIbLb0EES1G_IbLb1EEEEDaS1C_S1D_EUlS1C_E_NS1_11comp_targetILNS1_3genE9ELNS1_11target_archE1100ELNS1_3gpuE3ELNS1_3repE0EEENS1_30default_config_static_selectorELNS0_4arch9wavefront6targetE1EEEvT1_,comdat
	.protected	_ZN7rocprim17ROCPRIM_400000_NS6detail17trampoline_kernelINS0_14default_configENS1_25partition_config_selectorILNS1_17partition_subalgoE6EiNS0_10empty_typeEbEEZZNS1_14partition_implILS5_6ELb0ES3_mPiPS6_SA_NS0_5tupleIJS9_S6_EEENSB_IJSA_SA_EEES6_PlJN6thrust23THRUST_200600_302600_NS6detail9not_fun_tINSH_10functional5actorINSJ_9compositeIJNSJ_27transparent_binary_operatorINSG_8equal_toIvEEEENSK_INSJ_8argumentILj0EEEEENSJ_5valueIiEEEEEEEEEEEE10hipError_tPvRmT3_T4_T5_T6_T7_T9_mT8_P12ihipStream_tbDpT10_ENKUlT_T0_E_clISt17integral_constantIbLb0EES1G_IbLb1EEEEDaS1C_S1D_EUlS1C_E_NS1_11comp_targetILNS1_3genE9ELNS1_11target_archE1100ELNS1_3gpuE3ELNS1_3repE0EEENS1_30default_config_static_selectorELNS0_4arch9wavefront6targetE1EEEvT1_ ; -- Begin function _ZN7rocprim17ROCPRIM_400000_NS6detail17trampoline_kernelINS0_14default_configENS1_25partition_config_selectorILNS1_17partition_subalgoE6EiNS0_10empty_typeEbEEZZNS1_14partition_implILS5_6ELb0ES3_mPiPS6_SA_NS0_5tupleIJS9_S6_EEENSB_IJSA_SA_EEES6_PlJN6thrust23THRUST_200600_302600_NS6detail9not_fun_tINSH_10functional5actorINSJ_9compositeIJNSJ_27transparent_binary_operatorINSG_8equal_toIvEEEENSK_INSJ_8argumentILj0EEEEENSJ_5valueIiEEEEEEEEEEEE10hipError_tPvRmT3_T4_T5_T6_T7_T9_mT8_P12ihipStream_tbDpT10_ENKUlT_T0_E_clISt17integral_constantIbLb0EES1G_IbLb1EEEEDaS1C_S1D_EUlS1C_E_NS1_11comp_targetILNS1_3genE9ELNS1_11target_archE1100ELNS1_3gpuE3ELNS1_3repE0EEENS1_30default_config_static_selectorELNS0_4arch9wavefront6targetE1EEEvT1_
	.globl	_ZN7rocprim17ROCPRIM_400000_NS6detail17trampoline_kernelINS0_14default_configENS1_25partition_config_selectorILNS1_17partition_subalgoE6EiNS0_10empty_typeEbEEZZNS1_14partition_implILS5_6ELb0ES3_mPiPS6_SA_NS0_5tupleIJS9_S6_EEENSB_IJSA_SA_EEES6_PlJN6thrust23THRUST_200600_302600_NS6detail9not_fun_tINSH_10functional5actorINSJ_9compositeIJNSJ_27transparent_binary_operatorINSG_8equal_toIvEEEENSK_INSJ_8argumentILj0EEEEENSJ_5valueIiEEEEEEEEEEEE10hipError_tPvRmT3_T4_T5_T6_T7_T9_mT8_P12ihipStream_tbDpT10_ENKUlT_T0_E_clISt17integral_constantIbLb0EES1G_IbLb1EEEEDaS1C_S1D_EUlS1C_E_NS1_11comp_targetILNS1_3genE9ELNS1_11target_archE1100ELNS1_3gpuE3ELNS1_3repE0EEENS1_30default_config_static_selectorELNS0_4arch9wavefront6targetE1EEEvT1_
	.p2align	8
	.type	_ZN7rocprim17ROCPRIM_400000_NS6detail17trampoline_kernelINS0_14default_configENS1_25partition_config_selectorILNS1_17partition_subalgoE6EiNS0_10empty_typeEbEEZZNS1_14partition_implILS5_6ELb0ES3_mPiPS6_SA_NS0_5tupleIJS9_S6_EEENSB_IJSA_SA_EEES6_PlJN6thrust23THRUST_200600_302600_NS6detail9not_fun_tINSH_10functional5actorINSJ_9compositeIJNSJ_27transparent_binary_operatorINSG_8equal_toIvEEEENSK_INSJ_8argumentILj0EEEEENSJ_5valueIiEEEEEEEEEEEE10hipError_tPvRmT3_T4_T5_T6_T7_T9_mT8_P12ihipStream_tbDpT10_ENKUlT_T0_E_clISt17integral_constantIbLb0EES1G_IbLb1EEEEDaS1C_S1D_EUlS1C_E_NS1_11comp_targetILNS1_3genE9ELNS1_11target_archE1100ELNS1_3gpuE3ELNS1_3repE0EEENS1_30default_config_static_selectorELNS0_4arch9wavefront6targetE1EEEvT1_,@function
_ZN7rocprim17ROCPRIM_400000_NS6detail17trampoline_kernelINS0_14default_configENS1_25partition_config_selectorILNS1_17partition_subalgoE6EiNS0_10empty_typeEbEEZZNS1_14partition_implILS5_6ELb0ES3_mPiPS6_SA_NS0_5tupleIJS9_S6_EEENSB_IJSA_SA_EEES6_PlJN6thrust23THRUST_200600_302600_NS6detail9not_fun_tINSH_10functional5actorINSJ_9compositeIJNSJ_27transparent_binary_operatorINSG_8equal_toIvEEEENSK_INSJ_8argumentILj0EEEEENSJ_5valueIiEEEEEEEEEEEE10hipError_tPvRmT3_T4_T5_T6_T7_T9_mT8_P12ihipStream_tbDpT10_ENKUlT_T0_E_clISt17integral_constantIbLb0EES1G_IbLb1EEEEDaS1C_S1D_EUlS1C_E_NS1_11comp_targetILNS1_3genE9ELNS1_11target_archE1100ELNS1_3gpuE3ELNS1_3repE0EEENS1_30default_config_static_selectorELNS0_4arch9wavefront6targetE1EEEvT1_: ; @_ZN7rocprim17ROCPRIM_400000_NS6detail17trampoline_kernelINS0_14default_configENS1_25partition_config_selectorILNS1_17partition_subalgoE6EiNS0_10empty_typeEbEEZZNS1_14partition_implILS5_6ELb0ES3_mPiPS6_SA_NS0_5tupleIJS9_S6_EEENSB_IJSA_SA_EEES6_PlJN6thrust23THRUST_200600_302600_NS6detail9not_fun_tINSH_10functional5actorINSJ_9compositeIJNSJ_27transparent_binary_operatorINSG_8equal_toIvEEEENSK_INSJ_8argumentILj0EEEEENSJ_5valueIiEEEEEEEEEEEE10hipError_tPvRmT3_T4_T5_T6_T7_T9_mT8_P12ihipStream_tbDpT10_ENKUlT_T0_E_clISt17integral_constantIbLb0EES1G_IbLb1EEEEDaS1C_S1D_EUlS1C_E_NS1_11comp_targetILNS1_3genE9ELNS1_11target_archE1100ELNS1_3gpuE3ELNS1_3repE0EEENS1_30default_config_static_selectorELNS0_4arch9wavefront6targetE1EEEvT1_
; %bb.0:
	.section	.rodata,"a",@progbits
	.p2align	6, 0x0
	.amdhsa_kernel _ZN7rocprim17ROCPRIM_400000_NS6detail17trampoline_kernelINS0_14default_configENS1_25partition_config_selectorILNS1_17partition_subalgoE6EiNS0_10empty_typeEbEEZZNS1_14partition_implILS5_6ELb0ES3_mPiPS6_SA_NS0_5tupleIJS9_S6_EEENSB_IJSA_SA_EEES6_PlJN6thrust23THRUST_200600_302600_NS6detail9not_fun_tINSH_10functional5actorINSJ_9compositeIJNSJ_27transparent_binary_operatorINSG_8equal_toIvEEEENSK_INSJ_8argumentILj0EEEEENSJ_5valueIiEEEEEEEEEEEE10hipError_tPvRmT3_T4_T5_T6_T7_T9_mT8_P12ihipStream_tbDpT10_ENKUlT_T0_E_clISt17integral_constantIbLb0EES1G_IbLb1EEEEDaS1C_S1D_EUlS1C_E_NS1_11comp_targetILNS1_3genE9ELNS1_11target_archE1100ELNS1_3gpuE3ELNS1_3repE0EEENS1_30default_config_static_selectorELNS0_4arch9wavefront6targetE1EEEvT1_
		.amdhsa_group_segment_fixed_size 0
		.amdhsa_private_segment_fixed_size 0
		.amdhsa_kernarg_size 128
		.amdhsa_user_sgpr_count 6
		.amdhsa_user_sgpr_private_segment_buffer 1
		.amdhsa_user_sgpr_dispatch_ptr 0
		.amdhsa_user_sgpr_queue_ptr 0
		.amdhsa_user_sgpr_kernarg_segment_ptr 1
		.amdhsa_user_sgpr_dispatch_id 0
		.amdhsa_user_sgpr_flat_scratch_init 0
		.amdhsa_user_sgpr_kernarg_preload_length 0
		.amdhsa_user_sgpr_kernarg_preload_offset 0
		.amdhsa_user_sgpr_private_segment_size 0
		.amdhsa_uses_dynamic_stack 0
		.amdhsa_system_sgpr_private_segment_wavefront_offset 0
		.amdhsa_system_sgpr_workgroup_id_x 1
		.amdhsa_system_sgpr_workgroup_id_y 0
		.amdhsa_system_sgpr_workgroup_id_z 0
		.amdhsa_system_sgpr_workgroup_info 0
		.amdhsa_system_vgpr_workitem_id 0
		.amdhsa_next_free_vgpr 1
		.amdhsa_next_free_sgpr 0
		.amdhsa_accum_offset 4
		.amdhsa_reserve_vcc 0
		.amdhsa_reserve_flat_scratch 0
		.amdhsa_float_round_mode_32 0
		.amdhsa_float_round_mode_16_64 0
		.amdhsa_float_denorm_mode_32 3
		.amdhsa_float_denorm_mode_16_64 3
		.amdhsa_dx10_clamp 1
		.amdhsa_ieee_mode 1
		.amdhsa_fp16_overflow 0
		.amdhsa_tg_split 0
		.amdhsa_exception_fp_ieee_invalid_op 0
		.amdhsa_exception_fp_denorm_src 0
		.amdhsa_exception_fp_ieee_div_zero 0
		.amdhsa_exception_fp_ieee_overflow 0
		.amdhsa_exception_fp_ieee_underflow 0
		.amdhsa_exception_fp_ieee_inexact 0
		.amdhsa_exception_int_div_zero 0
	.end_amdhsa_kernel
	.section	.text._ZN7rocprim17ROCPRIM_400000_NS6detail17trampoline_kernelINS0_14default_configENS1_25partition_config_selectorILNS1_17partition_subalgoE6EiNS0_10empty_typeEbEEZZNS1_14partition_implILS5_6ELb0ES3_mPiPS6_SA_NS0_5tupleIJS9_S6_EEENSB_IJSA_SA_EEES6_PlJN6thrust23THRUST_200600_302600_NS6detail9not_fun_tINSH_10functional5actorINSJ_9compositeIJNSJ_27transparent_binary_operatorINSG_8equal_toIvEEEENSK_INSJ_8argumentILj0EEEEENSJ_5valueIiEEEEEEEEEEEE10hipError_tPvRmT3_T4_T5_T6_T7_T9_mT8_P12ihipStream_tbDpT10_ENKUlT_T0_E_clISt17integral_constantIbLb0EES1G_IbLb1EEEEDaS1C_S1D_EUlS1C_E_NS1_11comp_targetILNS1_3genE9ELNS1_11target_archE1100ELNS1_3gpuE3ELNS1_3repE0EEENS1_30default_config_static_selectorELNS0_4arch9wavefront6targetE1EEEvT1_,"axG",@progbits,_ZN7rocprim17ROCPRIM_400000_NS6detail17trampoline_kernelINS0_14default_configENS1_25partition_config_selectorILNS1_17partition_subalgoE6EiNS0_10empty_typeEbEEZZNS1_14partition_implILS5_6ELb0ES3_mPiPS6_SA_NS0_5tupleIJS9_S6_EEENSB_IJSA_SA_EEES6_PlJN6thrust23THRUST_200600_302600_NS6detail9not_fun_tINSH_10functional5actorINSJ_9compositeIJNSJ_27transparent_binary_operatorINSG_8equal_toIvEEEENSK_INSJ_8argumentILj0EEEEENSJ_5valueIiEEEEEEEEEEEE10hipError_tPvRmT3_T4_T5_T6_T7_T9_mT8_P12ihipStream_tbDpT10_ENKUlT_T0_E_clISt17integral_constantIbLb0EES1G_IbLb1EEEEDaS1C_S1D_EUlS1C_E_NS1_11comp_targetILNS1_3genE9ELNS1_11target_archE1100ELNS1_3gpuE3ELNS1_3repE0EEENS1_30default_config_static_selectorELNS0_4arch9wavefront6targetE1EEEvT1_,comdat
.Lfunc_end281:
	.size	_ZN7rocprim17ROCPRIM_400000_NS6detail17trampoline_kernelINS0_14default_configENS1_25partition_config_selectorILNS1_17partition_subalgoE6EiNS0_10empty_typeEbEEZZNS1_14partition_implILS5_6ELb0ES3_mPiPS6_SA_NS0_5tupleIJS9_S6_EEENSB_IJSA_SA_EEES6_PlJN6thrust23THRUST_200600_302600_NS6detail9not_fun_tINSH_10functional5actorINSJ_9compositeIJNSJ_27transparent_binary_operatorINSG_8equal_toIvEEEENSK_INSJ_8argumentILj0EEEEENSJ_5valueIiEEEEEEEEEEEE10hipError_tPvRmT3_T4_T5_T6_T7_T9_mT8_P12ihipStream_tbDpT10_ENKUlT_T0_E_clISt17integral_constantIbLb0EES1G_IbLb1EEEEDaS1C_S1D_EUlS1C_E_NS1_11comp_targetILNS1_3genE9ELNS1_11target_archE1100ELNS1_3gpuE3ELNS1_3repE0EEENS1_30default_config_static_selectorELNS0_4arch9wavefront6targetE1EEEvT1_, .Lfunc_end281-_ZN7rocprim17ROCPRIM_400000_NS6detail17trampoline_kernelINS0_14default_configENS1_25partition_config_selectorILNS1_17partition_subalgoE6EiNS0_10empty_typeEbEEZZNS1_14partition_implILS5_6ELb0ES3_mPiPS6_SA_NS0_5tupleIJS9_S6_EEENSB_IJSA_SA_EEES6_PlJN6thrust23THRUST_200600_302600_NS6detail9not_fun_tINSH_10functional5actorINSJ_9compositeIJNSJ_27transparent_binary_operatorINSG_8equal_toIvEEEENSK_INSJ_8argumentILj0EEEEENSJ_5valueIiEEEEEEEEEEEE10hipError_tPvRmT3_T4_T5_T6_T7_T9_mT8_P12ihipStream_tbDpT10_ENKUlT_T0_E_clISt17integral_constantIbLb0EES1G_IbLb1EEEEDaS1C_S1D_EUlS1C_E_NS1_11comp_targetILNS1_3genE9ELNS1_11target_archE1100ELNS1_3gpuE3ELNS1_3repE0EEENS1_30default_config_static_selectorELNS0_4arch9wavefront6targetE1EEEvT1_
                                        ; -- End function
	.section	.AMDGPU.csdata,"",@progbits
; Kernel info:
; codeLenInByte = 0
; NumSgprs: 4
; NumVgprs: 0
; NumAgprs: 0
; TotalNumVgprs: 0
; ScratchSize: 0
; MemoryBound: 0
; FloatMode: 240
; IeeeMode: 1
; LDSByteSize: 0 bytes/workgroup (compile time only)
; SGPRBlocks: 0
; VGPRBlocks: 0
; NumSGPRsForWavesPerEU: 4
; NumVGPRsForWavesPerEU: 1
; AccumOffset: 4
; Occupancy: 8
; WaveLimiterHint : 0
; COMPUTE_PGM_RSRC2:SCRATCH_EN: 0
; COMPUTE_PGM_RSRC2:USER_SGPR: 6
; COMPUTE_PGM_RSRC2:TRAP_HANDLER: 0
; COMPUTE_PGM_RSRC2:TGID_X_EN: 1
; COMPUTE_PGM_RSRC2:TGID_Y_EN: 0
; COMPUTE_PGM_RSRC2:TGID_Z_EN: 0
; COMPUTE_PGM_RSRC2:TIDIG_COMP_CNT: 0
; COMPUTE_PGM_RSRC3_GFX90A:ACCUM_OFFSET: 0
; COMPUTE_PGM_RSRC3_GFX90A:TG_SPLIT: 0
	.section	.text._ZN7rocprim17ROCPRIM_400000_NS6detail17trampoline_kernelINS0_14default_configENS1_25partition_config_selectorILNS1_17partition_subalgoE6EiNS0_10empty_typeEbEEZZNS1_14partition_implILS5_6ELb0ES3_mPiPS6_SA_NS0_5tupleIJS9_S6_EEENSB_IJSA_SA_EEES6_PlJN6thrust23THRUST_200600_302600_NS6detail9not_fun_tINSH_10functional5actorINSJ_9compositeIJNSJ_27transparent_binary_operatorINSG_8equal_toIvEEEENSK_INSJ_8argumentILj0EEEEENSJ_5valueIiEEEEEEEEEEEE10hipError_tPvRmT3_T4_T5_T6_T7_T9_mT8_P12ihipStream_tbDpT10_ENKUlT_T0_E_clISt17integral_constantIbLb0EES1G_IbLb1EEEEDaS1C_S1D_EUlS1C_E_NS1_11comp_targetILNS1_3genE8ELNS1_11target_archE1030ELNS1_3gpuE2ELNS1_3repE0EEENS1_30default_config_static_selectorELNS0_4arch9wavefront6targetE1EEEvT1_,"axG",@progbits,_ZN7rocprim17ROCPRIM_400000_NS6detail17trampoline_kernelINS0_14default_configENS1_25partition_config_selectorILNS1_17partition_subalgoE6EiNS0_10empty_typeEbEEZZNS1_14partition_implILS5_6ELb0ES3_mPiPS6_SA_NS0_5tupleIJS9_S6_EEENSB_IJSA_SA_EEES6_PlJN6thrust23THRUST_200600_302600_NS6detail9not_fun_tINSH_10functional5actorINSJ_9compositeIJNSJ_27transparent_binary_operatorINSG_8equal_toIvEEEENSK_INSJ_8argumentILj0EEEEENSJ_5valueIiEEEEEEEEEEEE10hipError_tPvRmT3_T4_T5_T6_T7_T9_mT8_P12ihipStream_tbDpT10_ENKUlT_T0_E_clISt17integral_constantIbLb0EES1G_IbLb1EEEEDaS1C_S1D_EUlS1C_E_NS1_11comp_targetILNS1_3genE8ELNS1_11target_archE1030ELNS1_3gpuE2ELNS1_3repE0EEENS1_30default_config_static_selectorELNS0_4arch9wavefront6targetE1EEEvT1_,comdat
	.protected	_ZN7rocprim17ROCPRIM_400000_NS6detail17trampoline_kernelINS0_14default_configENS1_25partition_config_selectorILNS1_17partition_subalgoE6EiNS0_10empty_typeEbEEZZNS1_14partition_implILS5_6ELb0ES3_mPiPS6_SA_NS0_5tupleIJS9_S6_EEENSB_IJSA_SA_EEES6_PlJN6thrust23THRUST_200600_302600_NS6detail9not_fun_tINSH_10functional5actorINSJ_9compositeIJNSJ_27transparent_binary_operatorINSG_8equal_toIvEEEENSK_INSJ_8argumentILj0EEEEENSJ_5valueIiEEEEEEEEEEEE10hipError_tPvRmT3_T4_T5_T6_T7_T9_mT8_P12ihipStream_tbDpT10_ENKUlT_T0_E_clISt17integral_constantIbLb0EES1G_IbLb1EEEEDaS1C_S1D_EUlS1C_E_NS1_11comp_targetILNS1_3genE8ELNS1_11target_archE1030ELNS1_3gpuE2ELNS1_3repE0EEENS1_30default_config_static_selectorELNS0_4arch9wavefront6targetE1EEEvT1_ ; -- Begin function _ZN7rocprim17ROCPRIM_400000_NS6detail17trampoline_kernelINS0_14default_configENS1_25partition_config_selectorILNS1_17partition_subalgoE6EiNS0_10empty_typeEbEEZZNS1_14partition_implILS5_6ELb0ES3_mPiPS6_SA_NS0_5tupleIJS9_S6_EEENSB_IJSA_SA_EEES6_PlJN6thrust23THRUST_200600_302600_NS6detail9not_fun_tINSH_10functional5actorINSJ_9compositeIJNSJ_27transparent_binary_operatorINSG_8equal_toIvEEEENSK_INSJ_8argumentILj0EEEEENSJ_5valueIiEEEEEEEEEEEE10hipError_tPvRmT3_T4_T5_T6_T7_T9_mT8_P12ihipStream_tbDpT10_ENKUlT_T0_E_clISt17integral_constantIbLb0EES1G_IbLb1EEEEDaS1C_S1D_EUlS1C_E_NS1_11comp_targetILNS1_3genE8ELNS1_11target_archE1030ELNS1_3gpuE2ELNS1_3repE0EEENS1_30default_config_static_selectorELNS0_4arch9wavefront6targetE1EEEvT1_
	.globl	_ZN7rocprim17ROCPRIM_400000_NS6detail17trampoline_kernelINS0_14default_configENS1_25partition_config_selectorILNS1_17partition_subalgoE6EiNS0_10empty_typeEbEEZZNS1_14partition_implILS5_6ELb0ES3_mPiPS6_SA_NS0_5tupleIJS9_S6_EEENSB_IJSA_SA_EEES6_PlJN6thrust23THRUST_200600_302600_NS6detail9not_fun_tINSH_10functional5actorINSJ_9compositeIJNSJ_27transparent_binary_operatorINSG_8equal_toIvEEEENSK_INSJ_8argumentILj0EEEEENSJ_5valueIiEEEEEEEEEEEE10hipError_tPvRmT3_T4_T5_T6_T7_T9_mT8_P12ihipStream_tbDpT10_ENKUlT_T0_E_clISt17integral_constantIbLb0EES1G_IbLb1EEEEDaS1C_S1D_EUlS1C_E_NS1_11comp_targetILNS1_3genE8ELNS1_11target_archE1030ELNS1_3gpuE2ELNS1_3repE0EEENS1_30default_config_static_selectorELNS0_4arch9wavefront6targetE1EEEvT1_
	.p2align	8
	.type	_ZN7rocprim17ROCPRIM_400000_NS6detail17trampoline_kernelINS0_14default_configENS1_25partition_config_selectorILNS1_17partition_subalgoE6EiNS0_10empty_typeEbEEZZNS1_14partition_implILS5_6ELb0ES3_mPiPS6_SA_NS0_5tupleIJS9_S6_EEENSB_IJSA_SA_EEES6_PlJN6thrust23THRUST_200600_302600_NS6detail9not_fun_tINSH_10functional5actorINSJ_9compositeIJNSJ_27transparent_binary_operatorINSG_8equal_toIvEEEENSK_INSJ_8argumentILj0EEEEENSJ_5valueIiEEEEEEEEEEEE10hipError_tPvRmT3_T4_T5_T6_T7_T9_mT8_P12ihipStream_tbDpT10_ENKUlT_T0_E_clISt17integral_constantIbLb0EES1G_IbLb1EEEEDaS1C_S1D_EUlS1C_E_NS1_11comp_targetILNS1_3genE8ELNS1_11target_archE1030ELNS1_3gpuE2ELNS1_3repE0EEENS1_30default_config_static_selectorELNS0_4arch9wavefront6targetE1EEEvT1_,@function
_ZN7rocprim17ROCPRIM_400000_NS6detail17trampoline_kernelINS0_14default_configENS1_25partition_config_selectorILNS1_17partition_subalgoE6EiNS0_10empty_typeEbEEZZNS1_14partition_implILS5_6ELb0ES3_mPiPS6_SA_NS0_5tupleIJS9_S6_EEENSB_IJSA_SA_EEES6_PlJN6thrust23THRUST_200600_302600_NS6detail9not_fun_tINSH_10functional5actorINSJ_9compositeIJNSJ_27transparent_binary_operatorINSG_8equal_toIvEEEENSK_INSJ_8argumentILj0EEEEENSJ_5valueIiEEEEEEEEEEEE10hipError_tPvRmT3_T4_T5_T6_T7_T9_mT8_P12ihipStream_tbDpT10_ENKUlT_T0_E_clISt17integral_constantIbLb0EES1G_IbLb1EEEEDaS1C_S1D_EUlS1C_E_NS1_11comp_targetILNS1_3genE8ELNS1_11target_archE1030ELNS1_3gpuE2ELNS1_3repE0EEENS1_30default_config_static_selectorELNS0_4arch9wavefront6targetE1EEEvT1_: ; @_ZN7rocprim17ROCPRIM_400000_NS6detail17trampoline_kernelINS0_14default_configENS1_25partition_config_selectorILNS1_17partition_subalgoE6EiNS0_10empty_typeEbEEZZNS1_14partition_implILS5_6ELb0ES3_mPiPS6_SA_NS0_5tupleIJS9_S6_EEENSB_IJSA_SA_EEES6_PlJN6thrust23THRUST_200600_302600_NS6detail9not_fun_tINSH_10functional5actorINSJ_9compositeIJNSJ_27transparent_binary_operatorINSG_8equal_toIvEEEENSK_INSJ_8argumentILj0EEEEENSJ_5valueIiEEEEEEEEEEEE10hipError_tPvRmT3_T4_T5_T6_T7_T9_mT8_P12ihipStream_tbDpT10_ENKUlT_T0_E_clISt17integral_constantIbLb0EES1G_IbLb1EEEEDaS1C_S1D_EUlS1C_E_NS1_11comp_targetILNS1_3genE8ELNS1_11target_archE1030ELNS1_3gpuE2ELNS1_3repE0EEENS1_30default_config_static_selectorELNS0_4arch9wavefront6targetE1EEEvT1_
; %bb.0:
	.section	.rodata,"a",@progbits
	.p2align	6, 0x0
	.amdhsa_kernel _ZN7rocprim17ROCPRIM_400000_NS6detail17trampoline_kernelINS0_14default_configENS1_25partition_config_selectorILNS1_17partition_subalgoE6EiNS0_10empty_typeEbEEZZNS1_14partition_implILS5_6ELb0ES3_mPiPS6_SA_NS0_5tupleIJS9_S6_EEENSB_IJSA_SA_EEES6_PlJN6thrust23THRUST_200600_302600_NS6detail9not_fun_tINSH_10functional5actorINSJ_9compositeIJNSJ_27transparent_binary_operatorINSG_8equal_toIvEEEENSK_INSJ_8argumentILj0EEEEENSJ_5valueIiEEEEEEEEEEEE10hipError_tPvRmT3_T4_T5_T6_T7_T9_mT8_P12ihipStream_tbDpT10_ENKUlT_T0_E_clISt17integral_constantIbLb0EES1G_IbLb1EEEEDaS1C_S1D_EUlS1C_E_NS1_11comp_targetILNS1_3genE8ELNS1_11target_archE1030ELNS1_3gpuE2ELNS1_3repE0EEENS1_30default_config_static_selectorELNS0_4arch9wavefront6targetE1EEEvT1_
		.amdhsa_group_segment_fixed_size 0
		.amdhsa_private_segment_fixed_size 0
		.amdhsa_kernarg_size 128
		.amdhsa_user_sgpr_count 6
		.amdhsa_user_sgpr_private_segment_buffer 1
		.amdhsa_user_sgpr_dispatch_ptr 0
		.amdhsa_user_sgpr_queue_ptr 0
		.amdhsa_user_sgpr_kernarg_segment_ptr 1
		.amdhsa_user_sgpr_dispatch_id 0
		.amdhsa_user_sgpr_flat_scratch_init 0
		.amdhsa_user_sgpr_kernarg_preload_length 0
		.amdhsa_user_sgpr_kernarg_preload_offset 0
		.amdhsa_user_sgpr_private_segment_size 0
		.amdhsa_uses_dynamic_stack 0
		.amdhsa_system_sgpr_private_segment_wavefront_offset 0
		.amdhsa_system_sgpr_workgroup_id_x 1
		.amdhsa_system_sgpr_workgroup_id_y 0
		.amdhsa_system_sgpr_workgroup_id_z 0
		.amdhsa_system_sgpr_workgroup_info 0
		.amdhsa_system_vgpr_workitem_id 0
		.amdhsa_next_free_vgpr 1
		.amdhsa_next_free_sgpr 0
		.amdhsa_accum_offset 4
		.amdhsa_reserve_vcc 0
		.amdhsa_reserve_flat_scratch 0
		.amdhsa_float_round_mode_32 0
		.amdhsa_float_round_mode_16_64 0
		.amdhsa_float_denorm_mode_32 3
		.amdhsa_float_denorm_mode_16_64 3
		.amdhsa_dx10_clamp 1
		.amdhsa_ieee_mode 1
		.amdhsa_fp16_overflow 0
		.amdhsa_tg_split 0
		.amdhsa_exception_fp_ieee_invalid_op 0
		.amdhsa_exception_fp_denorm_src 0
		.amdhsa_exception_fp_ieee_div_zero 0
		.amdhsa_exception_fp_ieee_overflow 0
		.amdhsa_exception_fp_ieee_underflow 0
		.amdhsa_exception_fp_ieee_inexact 0
		.amdhsa_exception_int_div_zero 0
	.end_amdhsa_kernel
	.section	.text._ZN7rocprim17ROCPRIM_400000_NS6detail17trampoline_kernelINS0_14default_configENS1_25partition_config_selectorILNS1_17partition_subalgoE6EiNS0_10empty_typeEbEEZZNS1_14partition_implILS5_6ELb0ES3_mPiPS6_SA_NS0_5tupleIJS9_S6_EEENSB_IJSA_SA_EEES6_PlJN6thrust23THRUST_200600_302600_NS6detail9not_fun_tINSH_10functional5actorINSJ_9compositeIJNSJ_27transparent_binary_operatorINSG_8equal_toIvEEEENSK_INSJ_8argumentILj0EEEEENSJ_5valueIiEEEEEEEEEEEE10hipError_tPvRmT3_T4_T5_T6_T7_T9_mT8_P12ihipStream_tbDpT10_ENKUlT_T0_E_clISt17integral_constantIbLb0EES1G_IbLb1EEEEDaS1C_S1D_EUlS1C_E_NS1_11comp_targetILNS1_3genE8ELNS1_11target_archE1030ELNS1_3gpuE2ELNS1_3repE0EEENS1_30default_config_static_selectorELNS0_4arch9wavefront6targetE1EEEvT1_,"axG",@progbits,_ZN7rocprim17ROCPRIM_400000_NS6detail17trampoline_kernelINS0_14default_configENS1_25partition_config_selectorILNS1_17partition_subalgoE6EiNS0_10empty_typeEbEEZZNS1_14partition_implILS5_6ELb0ES3_mPiPS6_SA_NS0_5tupleIJS9_S6_EEENSB_IJSA_SA_EEES6_PlJN6thrust23THRUST_200600_302600_NS6detail9not_fun_tINSH_10functional5actorINSJ_9compositeIJNSJ_27transparent_binary_operatorINSG_8equal_toIvEEEENSK_INSJ_8argumentILj0EEEEENSJ_5valueIiEEEEEEEEEEEE10hipError_tPvRmT3_T4_T5_T6_T7_T9_mT8_P12ihipStream_tbDpT10_ENKUlT_T0_E_clISt17integral_constantIbLb0EES1G_IbLb1EEEEDaS1C_S1D_EUlS1C_E_NS1_11comp_targetILNS1_3genE8ELNS1_11target_archE1030ELNS1_3gpuE2ELNS1_3repE0EEENS1_30default_config_static_selectorELNS0_4arch9wavefront6targetE1EEEvT1_,comdat
.Lfunc_end282:
	.size	_ZN7rocprim17ROCPRIM_400000_NS6detail17trampoline_kernelINS0_14default_configENS1_25partition_config_selectorILNS1_17partition_subalgoE6EiNS0_10empty_typeEbEEZZNS1_14partition_implILS5_6ELb0ES3_mPiPS6_SA_NS0_5tupleIJS9_S6_EEENSB_IJSA_SA_EEES6_PlJN6thrust23THRUST_200600_302600_NS6detail9not_fun_tINSH_10functional5actorINSJ_9compositeIJNSJ_27transparent_binary_operatorINSG_8equal_toIvEEEENSK_INSJ_8argumentILj0EEEEENSJ_5valueIiEEEEEEEEEEEE10hipError_tPvRmT3_T4_T5_T6_T7_T9_mT8_P12ihipStream_tbDpT10_ENKUlT_T0_E_clISt17integral_constantIbLb0EES1G_IbLb1EEEEDaS1C_S1D_EUlS1C_E_NS1_11comp_targetILNS1_3genE8ELNS1_11target_archE1030ELNS1_3gpuE2ELNS1_3repE0EEENS1_30default_config_static_selectorELNS0_4arch9wavefront6targetE1EEEvT1_, .Lfunc_end282-_ZN7rocprim17ROCPRIM_400000_NS6detail17trampoline_kernelINS0_14default_configENS1_25partition_config_selectorILNS1_17partition_subalgoE6EiNS0_10empty_typeEbEEZZNS1_14partition_implILS5_6ELb0ES3_mPiPS6_SA_NS0_5tupleIJS9_S6_EEENSB_IJSA_SA_EEES6_PlJN6thrust23THRUST_200600_302600_NS6detail9not_fun_tINSH_10functional5actorINSJ_9compositeIJNSJ_27transparent_binary_operatorINSG_8equal_toIvEEEENSK_INSJ_8argumentILj0EEEEENSJ_5valueIiEEEEEEEEEEEE10hipError_tPvRmT3_T4_T5_T6_T7_T9_mT8_P12ihipStream_tbDpT10_ENKUlT_T0_E_clISt17integral_constantIbLb0EES1G_IbLb1EEEEDaS1C_S1D_EUlS1C_E_NS1_11comp_targetILNS1_3genE8ELNS1_11target_archE1030ELNS1_3gpuE2ELNS1_3repE0EEENS1_30default_config_static_selectorELNS0_4arch9wavefront6targetE1EEEvT1_
                                        ; -- End function
	.section	.AMDGPU.csdata,"",@progbits
; Kernel info:
; codeLenInByte = 0
; NumSgprs: 4
; NumVgprs: 0
; NumAgprs: 0
; TotalNumVgprs: 0
; ScratchSize: 0
; MemoryBound: 0
; FloatMode: 240
; IeeeMode: 1
; LDSByteSize: 0 bytes/workgroup (compile time only)
; SGPRBlocks: 0
; VGPRBlocks: 0
; NumSGPRsForWavesPerEU: 4
; NumVGPRsForWavesPerEU: 1
; AccumOffset: 4
; Occupancy: 8
; WaveLimiterHint : 0
; COMPUTE_PGM_RSRC2:SCRATCH_EN: 0
; COMPUTE_PGM_RSRC2:USER_SGPR: 6
; COMPUTE_PGM_RSRC2:TRAP_HANDLER: 0
; COMPUTE_PGM_RSRC2:TGID_X_EN: 1
; COMPUTE_PGM_RSRC2:TGID_Y_EN: 0
; COMPUTE_PGM_RSRC2:TGID_Z_EN: 0
; COMPUTE_PGM_RSRC2:TIDIG_COMP_CNT: 0
; COMPUTE_PGM_RSRC3_GFX90A:ACCUM_OFFSET: 0
; COMPUTE_PGM_RSRC3_GFX90A:TG_SPLIT: 0
	.section	.text._ZN7rocprim17ROCPRIM_400000_NS6detail17trampoline_kernelINS0_13kernel_configILj256ELj4ELj4294967295EEENS1_37radix_sort_block_sort_config_selectorIiiEEZNS1_21radix_sort_block_sortIS4_Lb0EPiS8_S8_S8_NS0_19identity_decomposerEEE10hipError_tT1_T2_T3_T4_jRjT5_jjP12ihipStream_tbEUlT_E_NS1_11comp_targetILNS1_3genE0ELNS1_11target_archE4294967295ELNS1_3gpuE0ELNS1_3repE0EEENS1_44radix_sort_block_sort_config_static_selectorELNS0_4arch9wavefront6targetE1EEEvSB_,"axG",@progbits,_ZN7rocprim17ROCPRIM_400000_NS6detail17trampoline_kernelINS0_13kernel_configILj256ELj4ELj4294967295EEENS1_37radix_sort_block_sort_config_selectorIiiEEZNS1_21radix_sort_block_sortIS4_Lb0EPiS8_S8_S8_NS0_19identity_decomposerEEE10hipError_tT1_T2_T3_T4_jRjT5_jjP12ihipStream_tbEUlT_E_NS1_11comp_targetILNS1_3genE0ELNS1_11target_archE4294967295ELNS1_3gpuE0ELNS1_3repE0EEENS1_44radix_sort_block_sort_config_static_selectorELNS0_4arch9wavefront6targetE1EEEvSB_,comdat
	.protected	_ZN7rocprim17ROCPRIM_400000_NS6detail17trampoline_kernelINS0_13kernel_configILj256ELj4ELj4294967295EEENS1_37radix_sort_block_sort_config_selectorIiiEEZNS1_21radix_sort_block_sortIS4_Lb0EPiS8_S8_S8_NS0_19identity_decomposerEEE10hipError_tT1_T2_T3_T4_jRjT5_jjP12ihipStream_tbEUlT_E_NS1_11comp_targetILNS1_3genE0ELNS1_11target_archE4294967295ELNS1_3gpuE0ELNS1_3repE0EEENS1_44radix_sort_block_sort_config_static_selectorELNS0_4arch9wavefront6targetE1EEEvSB_ ; -- Begin function _ZN7rocprim17ROCPRIM_400000_NS6detail17trampoline_kernelINS0_13kernel_configILj256ELj4ELj4294967295EEENS1_37radix_sort_block_sort_config_selectorIiiEEZNS1_21radix_sort_block_sortIS4_Lb0EPiS8_S8_S8_NS0_19identity_decomposerEEE10hipError_tT1_T2_T3_T4_jRjT5_jjP12ihipStream_tbEUlT_E_NS1_11comp_targetILNS1_3genE0ELNS1_11target_archE4294967295ELNS1_3gpuE0ELNS1_3repE0EEENS1_44radix_sort_block_sort_config_static_selectorELNS0_4arch9wavefront6targetE1EEEvSB_
	.globl	_ZN7rocprim17ROCPRIM_400000_NS6detail17trampoline_kernelINS0_13kernel_configILj256ELj4ELj4294967295EEENS1_37radix_sort_block_sort_config_selectorIiiEEZNS1_21radix_sort_block_sortIS4_Lb0EPiS8_S8_S8_NS0_19identity_decomposerEEE10hipError_tT1_T2_T3_T4_jRjT5_jjP12ihipStream_tbEUlT_E_NS1_11comp_targetILNS1_3genE0ELNS1_11target_archE4294967295ELNS1_3gpuE0ELNS1_3repE0EEENS1_44radix_sort_block_sort_config_static_selectorELNS0_4arch9wavefront6targetE1EEEvSB_
	.p2align	8
	.type	_ZN7rocprim17ROCPRIM_400000_NS6detail17trampoline_kernelINS0_13kernel_configILj256ELj4ELj4294967295EEENS1_37radix_sort_block_sort_config_selectorIiiEEZNS1_21radix_sort_block_sortIS4_Lb0EPiS8_S8_S8_NS0_19identity_decomposerEEE10hipError_tT1_T2_T3_T4_jRjT5_jjP12ihipStream_tbEUlT_E_NS1_11comp_targetILNS1_3genE0ELNS1_11target_archE4294967295ELNS1_3gpuE0ELNS1_3repE0EEENS1_44radix_sort_block_sort_config_static_selectorELNS0_4arch9wavefront6targetE1EEEvSB_,@function
_ZN7rocprim17ROCPRIM_400000_NS6detail17trampoline_kernelINS0_13kernel_configILj256ELj4ELj4294967295EEENS1_37radix_sort_block_sort_config_selectorIiiEEZNS1_21radix_sort_block_sortIS4_Lb0EPiS8_S8_S8_NS0_19identity_decomposerEEE10hipError_tT1_T2_T3_T4_jRjT5_jjP12ihipStream_tbEUlT_E_NS1_11comp_targetILNS1_3genE0ELNS1_11target_archE4294967295ELNS1_3gpuE0ELNS1_3repE0EEENS1_44radix_sort_block_sort_config_static_selectorELNS0_4arch9wavefront6targetE1EEEvSB_: ; @_ZN7rocprim17ROCPRIM_400000_NS6detail17trampoline_kernelINS0_13kernel_configILj256ELj4ELj4294967295EEENS1_37radix_sort_block_sort_config_selectorIiiEEZNS1_21radix_sort_block_sortIS4_Lb0EPiS8_S8_S8_NS0_19identity_decomposerEEE10hipError_tT1_T2_T3_T4_jRjT5_jjP12ihipStream_tbEUlT_E_NS1_11comp_targetILNS1_3genE0ELNS1_11target_archE4294967295ELNS1_3gpuE0ELNS1_3repE0EEENS1_44radix_sort_block_sort_config_static_selectorELNS0_4arch9wavefront6targetE1EEEvSB_
; %bb.0:
	.section	.rodata,"a",@progbits
	.p2align	6, 0x0
	.amdhsa_kernel _ZN7rocprim17ROCPRIM_400000_NS6detail17trampoline_kernelINS0_13kernel_configILj256ELj4ELj4294967295EEENS1_37radix_sort_block_sort_config_selectorIiiEEZNS1_21radix_sort_block_sortIS4_Lb0EPiS8_S8_S8_NS0_19identity_decomposerEEE10hipError_tT1_T2_T3_T4_jRjT5_jjP12ihipStream_tbEUlT_E_NS1_11comp_targetILNS1_3genE0ELNS1_11target_archE4294967295ELNS1_3gpuE0ELNS1_3repE0EEENS1_44radix_sort_block_sort_config_static_selectorELNS0_4arch9wavefront6targetE1EEEvSB_
		.amdhsa_group_segment_fixed_size 0
		.amdhsa_private_segment_fixed_size 0
		.amdhsa_kernarg_size 48
		.amdhsa_user_sgpr_count 6
		.amdhsa_user_sgpr_private_segment_buffer 1
		.amdhsa_user_sgpr_dispatch_ptr 0
		.amdhsa_user_sgpr_queue_ptr 0
		.amdhsa_user_sgpr_kernarg_segment_ptr 1
		.amdhsa_user_sgpr_dispatch_id 0
		.amdhsa_user_sgpr_flat_scratch_init 0
		.amdhsa_user_sgpr_kernarg_preload_length 0
		.amdhsa_user_sgpr_kernarg_preload_offset 0
		.amdhsa_user_sgpr_private_segment_size 0
		.amdhsa_uses_dynamic_stack 0
		.amdhsa_system_sgpr_private_segment_wavefront_offset 0
		.amdhsa_system_sgpr_workgroup_id_x 1
		.amdhsa_system_sgpr_workgroup_id_y 0
		.amdhsa_system_sgpr_workgroup_id_z 0
		.amdhsa_system_sgpr_workgroup_info 0
		.amdhsa_system_vgpr_workitem_id 0
		.amdhsa_next_free_vgpr 1
		.amdhsa_next_free_sgpr 0
		.amdhsa_accum_offset 4
		.amdhsa_reserve_vcc 0
		.amdhsa_reserve_flat_scratch 0
		.amdhsa_float_round_mode_32 0
		.amdhsa_float_round_mode_16_64 0
		.amdhsa_float_denorm_mode_32 3
		.amdhsa_float_denorm_mode_16_64 3
		.amdhsa_dx10_clamp 1
		.amdhsa_ieee_mode 1
		.amdhsa_fp16_overflow 0
		.amdhsa_tg_split 0
		.amdhsa_exception_fp_ieee_invalid_op 0
		.amdhsa_exception_fp_denorm_src 0
		.amdhsa_exception_fp_ieee_div_zero 0
		.amdhsa_exception_fp_ieee_overflow 0
		.amdhsa_exception_fp_ieee_underflow 0
		.amdhsa_exception_fp_ieee_inexact 0
		.amdhsa_exception_int_div_zero 0
	.end_amdhsa_kernel
	.section	.text._ZN7rocprim17ROCPRIM_400000_NS6detail17trampoline_kernelINS0_13kernel_configILj256ELj4ELj4294967295EEENS1_37radix_sort_block_sort_config_selectorIiiEEZNS1_21radix_sort_block_sortIS4_Lb0EPiS8_S8_S8_NS0_19identity_decomposerEEE10hipError_tT1_T2_T3_T4_jRjT5_jjP12ihipStream_tbEUlT_E_NS1_11comp_targetILNS1_3genE0ELNS1_11target_archE4294967295ELNS1_3gpuE0ELNS1_3repE0EEENS1_44radix_sort_block_sort_config_static_selectorELNS0_4arch9wavefront6targetE1EEEvSB_,"axG",@progbits,_ZN7rocprim17ROCPRIM_400000_NS6detail17trampoline_kernelINS0_13kernel_configILj256ELj4ELj4294967295EEENS1_37radix_sort_block_sort_config_selectorIiiEEZNS1_21radix_sort_block_sortIS4_Lb0EPiS8_S8_S8_NS0_19identity_decomposerEEE10hipError_tT1_T2_T3_T4_jRjT5_jjP12ihipStream_tbEUlT_E_NS1_11comp_targetILNS1_3genE0ELNS1_11target_archE4294967295ELNS1_3gpuE0ELNS1_3repE0EEENS1_44radix_sort_block_sort_config_static_selectorELNS0_4arch9wavefront6targetE1EEEvSB_,comdat
.Lfunc_end283:
	.size	_ZN7rocprim17ROCPRIM_400000_NS6detail17trampoline_kernelINS0_13kernel_configILj256ELj4ELj4294967295EEENS1_37radix_sort_block_sort_config_selectorIiiEEZNS1_21radix_sort_block_sortIS4_Lb0EPiS8_S8_S8_NS0_19identity_decomposerEEE10hipError_tT1_T2_T3_T4_jRjT5_jjP12ihipStream_tbEUlT_E_NS1_11comp_targetILNS1_3genE0ELNS1_11target_archE4294967295ELNS1_3gpuE0ELNS1_3repE0EEENS1_44radix_sort_block_sort_config_static_selectorELNS0_4arch9wavefront6targetE1EEEvSB_, .Lfunc_end283-_ZN7rocprim17ROCPRIM_400000_NS6detail17trampoline_kernelINS0_13kernel_configILj256ELj4ELj4294967295EEENS1_37radix_sort_block_sort_config_selectorIiiEEZNS1_21radix_sort_block_sortIS4_Lb0EPiS8_S8_S8_NS0_19identity_decomposerEEE10hipError_tT1_T2_T3_T4_jRjT5_jjP12ihipStream_tbEUlT_E_NS1_11comp_targetILNS1_3genE0ELNS1_11target_archE4294967295ELNS1_3gpuE0ELNS1_3repE0EEENS1_44radix_sort_block_sort_config_static_selectorELNS0_4arch9wavefront6targetE1EEEvSB_
                                        ; -- End function
	.section	.AMDGPU.csdata,"",@progbits
; Kernel info:
; codeLenInByte = 0
; NumSgprs: 4
; NumVgprs: 0
; NumAgprs: 0
; TotalNumVgprs: 0
; ScratchSize: 0
; MemoryBound: 0
; FloatMode: 240
; IeeeMode: 1
; LDSByteSize: 0 bytes/workgroup (compile time only)
; SGPRBlocks: 0
; VGPRBlocks: 0
; NumSGPRsForWavesPerEU: 4
; NumVGPRsForWavesPerEU: 1
; AccumOffset: 4
; Occupancy: 8
; WaveLimiterHint : 0
; COMPUTE_PGM_RSRC2:SCRATCH_EN: 0
; COMPUTE_PGM_RSRC2:USER_SGPR: 6
; COMPUTE_PGM_RSRC2:TRAP_HANDLER: 0
; COMPUTE_PGM_RSRC2:TGID_X_EN: 1
; COMPUTE_PGM_RSRC2:TGID_Y_EN: 0
; COMPUTE_PGM_RSRC2:TGID_Z_EN: 0
; COMPUTE_PGM_RSRC2:TIDIG_COMP_CNT: 0
; COMPUTE_PGM_RSRC3_GFX90A:ACCUM_OFFSET: 0
; COMPUTE_PGM_RSRC3_GFX90A:TG_SPLIT: 0
	.section	.text._ZN7rocprim17ROCPRIM_400000_NS6detail17trampoline_kernelINS0_13kernel_configILj256ELj4ELj4294967295EEENS1_37radix_sort_block_sort_config_selectorIiiEEZNS1_21radix_sort_block_sortIS4_Lb0EPiS8_S8_S8_NS0_19identity_decomposerEEE10hipError_tT1_T2_T3_T4_jRjT5_jjP12ihipStream_tbEUlT_E_NS1_11comp_targetILNS1_3genE5ELNS1_11target_archE942ELNS1_3gpuE9ELNS1_3repE0EEENS1_44radix_sort_block_sort_config_static_selectorELNS0_4arch9wavefront6targetE1EEEvSB_,"axG",@progbits,_ZN7rocprim17ROCPRIM_400000_NS6detail17trampoline_kernelINS0_13kernel_configILj256ELj4ELj4294967295EEENS1_37radix_sort_block_sort_config_selectorIiiEEZNS1_21radix_sort_block_sortIS4_Lb0EPiS8_S8_S8_NS0_19identity_decomposerEEE10hipError_tT1_T2_T3_T4_jRjT5_jjP12ihipStream_tbEUlT_E_NS1_11comp_targetILNS1_3genE5ELNS1_11target_archE942ELNS1_3gpuE9ELNS1_3repE0EEENS1_44radix_sort_block_sort_config_static_selectorELNS0_4arch9wavefront6targetE1EEEvSB_,comdat
	.protected	_ZN7rocprim17ROCPRIM_400000_NS6detail17trampoline_kernelINS0_13kernel_configILj256ELj4ELj4294967295EEENS1_37radix_sort_block_sort_config_selectorIiiEEZNS1_21radix_sort_block_sortIS4_Lb0EPiS8_S8_S8_NS0_19identity_decomposerEEE10hipError_tT1_T2_T3_T4_jRjT5_jjP12ihipStream_tbEUlT_E_NS1_11comp_targetILNS1_3genE5ELNS1_11target_archE942ELNS1_3gpuE9ELNS1_3repE0EEENS1_44radix_sort_block_sort_config_static_selectorELNS0_4arch9wavefront6targetE1EEEvSB_ ; -- Begin function _ZN7rocprim17ROCPRIM_400000_NS6detail17trampoline_kernelINS0_13kernel_configILj256ELj4ELj4294967295EEENS1_37radix_sort_block_sort_config_selectorIiiEEZNS1_21radix_sort_block_sortIS4_Lb0EPiS8_S8_S8_NS0_19identity_decomposerEEE10hipError_tT1_T2_T3_T4_jRjT5_jjP12ihipStream_tbEUlT_E_NS1_11comp_targetILNS1_3genE5ELNS1_11target_archE942ELNS1_3gpuE9ELNS1_3repE0EEENS1_44radix_sort_block_sort_config_static_selectorELNS0_4arch9wavefront6targetE1EEEvSB_
	.globl	_ZN7rocprim17ROCPRIM_400000_NS6detail17trampoline_kernelINS0_13kernel_configILj256ELj4ELj4294967295EEENS1_37radix_sort_block_sort_config_selectorIiiEEZNS1_21radix_sort_block_sortIS4_Lb0EPiS8_S8_S8_NS0_19identity_decomposerEEE10hipError_tT1_T2_T3_T4_jRjT5_jjP12ihipStream_tbEUlT_E_NS1_11comp_targetILNS1_3genE5ELNS1_11target_archE942ELNS1_3gpuE9ELNS1_3repE0EEENS1_44radix_sort_block_sort_config_static_selectorELNS0_4arch9wavefront6targetE1EEEvSB_
	.p2align	8
	.type	_ZN7rocprim17ROCPRIM_400000_NS6detail17trampoline_kernelINS0_13kernel_configILj256ELj4ELj4294967295EEENS1_37radix_sort_block_sort_config_selectorIiiEEZNS1_21radix_sort_block_sortIS4_Lb0EPiS8_S8_S8_NS0_19identity_decomposerEEE10hipError_tT1_T2_T3_T4_jRjT5_jjP12ihipStream_tbEUlT_E_NS1_11comp_targetILNS1_3genE5ELNS1_11target_archE942ELNS1_3gpuE9ELNS1_3repE0EEENS1_44radix_sort_block_sort_config_static_selectorELNS0_4arch9wavefront6targetE1EEEvSB_,@function
_ZN7rocprim17ROCPRIM_400000_NS6detail17trampoline_kernelINS0_13kernel_configILj256ELj4ELj4294967295EEENS1_37radix_sort_block_sort_config_selectorIiiEEZNS1_21radix_sort_block_sortIS4_Lb0EPiS8_S8_S8_NS0_19identity_decomposerEEE10hipError_tT1_T2_T3_T4_jRjT5_jjP12ihipStream_tbEUlT_E_NS1_11comp_targetILNS1_3genE5ELNS1_11target_archE942ELNS1_3gpuE9ELNS1_3repE0EEENS1_44radix_sort_block_sort_config_static_selectorELNS0_4arch9wavefront6targetE1EEEvSB_: ; @_ZN7rocprim17ROCPRIM_400000_NS6detail17trampoline_kernelINS0_13kernel_configILj256ELj4ELj4294967295EEENS1_37radix_sort_block_sort_config_selectorIiiEEZNS1_21radix_sort_block_sortIS4_Lb0EPiS8_S8_S8_NS0_19identity_decomposerEEE10hipError_tT1_T2_T3_T4_jRjT5_jjP12ihipStream_tbEUlT_E_NS1_11comp_targetILNS1_3genE5ELNS1_11target_archE942ELNS1_3gpuE9ELNS1_3repE0EEENS1_44radix_sort_block_sort_config_static_selectorELNS0_4arch9wavefront6targetE1EEEvSB_
; %bb.0:
	.section	.rodata,"a",@progbits
	.p2align	6, 0x0
	.amdhsa_kernel _ZN7rocprim17ROCPRIM_400000_NS6detail17trampoline_kernelINS0_13kernel_configILj256ELj4ELj4294967295EEENS1_37radix_sort_block_sort_config_selectorIiiEEZNS1_21radix_sort_block_sortIS4_Lb0EPiS8_S8_S8_NS0_19identity_decomposerEEE10hipError_tT1_T2_T3_T4_jRjT5_jjP12ihipStream_tbEUlT_E_NS1_11comp_targetILNS1_3genE5ELNS1_11target_archE942ELNS1_3gpuE9ELNS1_3repE0EEENS1_44radix_sort_block_sort_config_static_selectorELNS0_4arch9wavefront6targetE1EEEvSB_
		.amdhsa_group_segment_fixed_size 0
		.amdhsa_private_segment_fixed_size 0
		.amdhsa_kernarg_size 48
		.amdhsa_user_sgpr_count 6
		.amdhsa_user_sgpr_private_segment_buffer 1
		.amdhsa_user_sgpr_dispatch_ptr 0
		.amdhsa_user_sgpr_queue_ptr 0
		.amdhsa_user_sgpr_kernarg_segment_ptr 1
		.amdhsa_user_sgpr_dispatch_id 0
		.amdhsa_user_sgpr_flat_scratch_init 0
		.amdhsa_user_sgpr_kernarg_preload_length 0
		.amdhsa_user_sgpr_kernarg_preload_offset 0
		.amdhsa_user_sgpr_private_segment_size 0
		.amdhsa_uses_dynamic_stack 0
		.amdhsa_system_sgpr_private_segment_wavefront_offset 0
		.amdhsa_system_sgpr_workgroup_id_x 1
		.amdhsa_system_sgpr_workgroup_id_y 0
		.amdhsa_system_sgpr_workgroup_id_z 0
		.amdhsa_system_sgpr_workgroup_info 0
		.amdhsa_system_vgpr_workitem_id 0
		.amdhsa_next_free_vgpr 1
		.amdhsa_next_free_sgpr 0
		.amdhsa_accum_offset 4
		.amdhsa_reserve_vcc 0
		.amdhsa_reserve_flat_scratch 0
		.amdhsa_float_round_mode_32 0
		.amdhsa_float_round_mode_16_64 0
		.amdhsa_float_denorm_mode_32 3
		.amdhsa_float_denorm_mode_16_64 3
		.amdhsa_dx10_clamp 1
		.amdhsa_ieee_mode 1
		.amdhsa_fp16_overflow 0
		.amdhsa_tg_split 0
		.amdhsa_exception_fp_ieee_invalid_op 0
		.amdhsa_exception_fp_denorm_src 0
		.amdhsa_exception_fp_ieee_div_zero 0
		.amdhsa_exception_fp_ieee_overflow 0
		.amdhsa_exception_fp_ieee_underflow 0
		.amdhsa_exception_fp_ieee_inexact 0
		.amdhsa_exception_int_div_zero 0
	.end_amdhsa_kernel
	.section	.text._ZN7rocprim17ROCPRIM_400000_NS6detail17trampoline_kernelINS0_13kernel_configILj256ELj4ELj4294967295EEENS1_37radix_sort_block_sort_config_selectorIiiEEZNS1_21radix_sort_block_sortIS4_Lb0EPiS8_S8_S8_NS0_19identity_decomposerEEE10hipError_tT1_T2_T3_T4_jRjT5_jjP12ihipStream_tbEUlT_E_NS1_11comp_targetILNS1_3genE5ELNS1_11target_archE942ELNS1_3gpuE9ELNS1_3repE0EEENS1_44radix_sort_block_sort_config_static_selectorELNS0_4arch9wavefront6targetE1EEEvSB_,"axG",@progbits,_ZN7rocprim17ROCPRIM_400000_NS6detail17trampoline_kernelINS0_13kernel_configILj256ELj4ELj4294967295EEENS1_37radix_sort_block_sort_config_selectorIiiEEZNS1_21radix_sort_block_sortIS4_Lb0EPiS8_S8_S8_NS0_19identity_decomposerEEE10hipError_tT1_T2_T3_T4_jRjT5_jjP12ihipStream_tbEUlT_E_NS1_11comp_targetILNS1_3genE5ELNS1_11target_archE942ELNS1_3gpuE9ELNS1_3repE0EEENS1_44radix_sort_block_sort_config_static_selectorELNS0_4arch9wavefront6targetE1EEEvSB_,comdat
.Lfunc_end284:
	.size	_ZN7rocprim17ROCPRIM_400000_NS6detail17trampoline_kernelINS0_13kernel_configILj256ELj4ELj4294967295EEENS1_37radix_sort_block_sort_config_selectorIiiEEZNS1_21radix_sort_block_sortIS4_Lb0EPiS8_S8_S8_NS0_19identity_decomposerEEE10hipError_tT1_T2_T3_T4_jRjT5_jjP12ihipStream_tbEUlT_E_NS1_11comp_targetILNS1_3genE5ELNS1_11target_archE942ELNS1_3gpuE9ELNS1_3repE0EEENS1_44radix_sort_block_sort_config_static_selectorELNS0_4arch9wavefront6targetE1EEEvSB_, .Lfunc_end284-_ZN7rocprim17ROCPRIM_400000_NS6detail17trampoline_kernelINS0_13kernel_configILj256ELj4ELj4294967295EEENS1_37radix_sort_block_sort_config_selectorIiiEEZNS1_21radix_sort_block_sortIS4_Lb0EPiS8_S8_S8_NS0_19identity_decomposerEEE10hipError_tT1_T2_T3_T4_jRjT5_jjP12ihipStream_tbEUlT_E_NS1_11comp_targetILNS1_3genE5ELNS1_11target_archE942ELNS1_3gpuE9ELNS1_3repE0EEENS1_44radix_sort_block_sort_config_static_selectorELNS0_4arch9wavefront6targetE1EEEvSB_
                                        ; -- End function
	.section	.AMDGPU.csdata,"",@progbits
; Kernel info:
; codeLenInByte = 0
; NumSgprs: 4
; NumVgprs: 0
; NumAgprs: 0
; TotalNumVgprs: 0
; ScratchSize: 0
; MemoryBound: 0
; FloatMode: 240
; IeeeMode: 1
; LDSByteSize: 0 bytes/workgroup (compile time only)
; SGPRBlocks: 0
; VGPRBlocks: 0
; NumSGPRsForWavesPerEU: 4
; NumVGPRsForWavesPerEU: 1
; AccumOffset: 4
; Occupancy: 8
; WaveLimiterHint : 0
; COMPUTE_PGM_RSRC2:SCRATCH_EN: 0
; COMPUTE_PGM_RSRC2:USER_SGPR: 6
; COMPUTE_PGM_RSRC2:TRAP_HANDLER: 0
; COMPUTE_PGM_RSRC2:TGID_X_EN: 1
; COMPUTE_PGM_RSRC2:TGID_Y_EN: 0
; COMPUTE_PGM_RSRC2:TGID_Z_EN: 0
; COMPUTE_PGM_RSRC2:TIDIG_COMP_CNT: 0
; COMPUTE_PGM_RSRC3_GFX90A:ACCUM_OFFSET: 0
; COMPUTE_PGM_RSRC3_GFX90A:TG_SPLIT: 0
	.section	.text._ZN7rocprim17ROCPRIM_400000_NS6detail17trampoline_kernelINS0_13kernel_configILj256ELj4ELj4294967295EEENS1_37radix_sort_block_sort_config_selectorIiiEEZNS1_21radix_sort_block_sortIS4_Lb0EPiS8_S8_S8_NS0_19identity_decomposerEEE10hipError_tT1_T2_T3_T4_jRjT5_jjP12ihipStream_tbEUlT_E_NS1_11comp_targetILNS1_3genE4ELNS1_11target_archE910ELNS1_3gpuE8ELNS1_3repE0EEENS1_44radix_sort_block_sort_config_static_selectorELNS0_4arch9wavefront6targetE1EEEvSB_,"axG",@progbits,_ZN7rocprim17ROCPRIM_400000_NS6detail17trampoline_kernelINS0_13kernel_configILj256ELj4ELj4294967295EEENS1_37radix_sort_block_sort_config_selectorIiiEEZNS1_21radix_sort_block_sortIS4_Lb0EPiS8_S8_S8_NS0_19identity_decomposerEEE10hipError_tT1_T2_T3_T4_jRjT5_jjP12ihipStream_tbEUlT_E_NS1_11comp_targetILNS1_3genE4ELNS1_11target_archE910ELNS1_3gpuE8ELNS1_3repE0EEENS1_44radix_sort_block_sort_config_static_selectorELNS0_4arch9wavefront6targetE1EEEvSB_,comdat
	.protected	_ZN7rocprim17ROCPRIM_400000_NS6detail17trampoline_kernelINS0_13kernel_configILj256ELj4ELj4294967295EEENS1_37radix_sort_block_sort_config_selectorIiiEEZNS1_21radix_sort_block_sortIS4_Lb0EPiS8_S8_S8_NS0_19identity_decomposerEEE10hipError_tT1_T2_T3_T4_jRjT5_jjP12ihipStream_tbEUlT_E_NS1_11comp_targetILNS1_3genE4ELNS1_11target_archE910ELNS1_3gpuE8ELNS1_3repE0EEENS1_44radix_sort_block_sort_config_static_selectorELNS0_4arch9wavefront6targetE1EEEvSB_ ; -- Begin function _ZN7rocprim17ROCPRIM_400000_NS6detail17trampoline_kernelINS0_13kernel_configILj256ELj4ELj4294967295EEENS1_37radix_sort_block_sort_config_selectorIiiEEZNS1_21radix_sort_block_sortIS4_Lb0EPiS8_S8_S8_NS0_19identity_decomposerEEE10hipError_tT1_T2_T3_T4_jRjT5_jjP12ihipStream_tbEUlT_E_NS1_11comp_targetILNS1_3genE4ELNS1_11target_archE910ELNS1_3gpuE8ELNS1_3repE0EEENS1_44radix_sort_block_sort_config_static_selectorELNS0_4arch9wavefront6targetE1EEEvSB_
	.globl	_ZN7rocprim17ROCPRIM_400000_NS6detail17trampoline_kernelINS0_13kernel_configILj256ELj4ELj4294967295EEENS1_37radix_sort_block_sort_config_selectorIiiEEZNS1_21radix_sort_block_sortIS4_Lb0EPiS8_S8_S8_NS0_19identity_decomposerEEE10hipError_tT1_T2_T3_T4_jRjT5_jjP12ihipStream_tbEUlT_E_NS1_11comp_targetILNS1_3genE4ELNS1_11target_archE910ELNS1_3gpuE8ELNS1_3repE0EEENS1_44radix_sort_block_sort_config_static_selectorELNS0_4arch9wavefront6targetE1EEEvSB_
	.p2align	8
	.type	_ZN7rocprim17ROCPRIM_400000_NS6detail17trampoline_kernelINS0_13kernel_configILj256ELj4ELj4294967295EEENS1_37radix_sort_block_sort_config_selectorIiiEEZNS1_21radix_sort_block_sortIS4_Lb0EPiS8_S8_S8_NS0_19identity_decomposerEEE10hipError_tT1_T2_T3_T4_jRjT5_jjP12ihipStream_tbEUlT_E_NS1_11comp_targetILNS1_3genE4ELNS1_11target_archE910ELNS1_3gpuE8ELNS1_3repE0EEENS1_44radix_sort_block_sort_config_static_selectorELNS0_4arch9wavefront6targetE1EEEvSB_,@function
_ZN7rocprim17ROCPRIM_400000_NS6detail17trampoline_kernelINS0_13kernel_configILj256ELj4ELj4294967295EEENS1_37radix_sort_block_sort_config_selectorIiiEEZNS1_21radix_sort_block_sortIS4_Lb0EPiS8_S8_S8_NS0_19identity_decomposerEEE10hipError_tT1_T2_T3_T4_jRjT5_jjP12ihipStream_tbEUlT_E_NS1_11comp_targetILNS1_3genE4ELNS1_11target_archE910ELNS1_3gpuE8ELNS1_3repE0EEENS1_44radix_sort_block_sort_config_static_selectorELNS0_4arch9wavefront6targetE1EEEvSB_: ; @_ZN7rocprim17ROCPRIM_400000_NS6detail17trampoline_kernelINS0_13kernel_configILj256ELj4ELj4294967295EEENS1_37radix_sort_block_sort_config_selectorIiiEEZNS1_21radix_sort_block_sortIS4_Lb0EPiS8_S8_S8_NS0_19identity_decomposerEEE10hipError_tT1_T2_T3_T4_jRjT5_jjP12ihipStream_tbEUlT_E_NS1_11comp_targetILNS1_3genE4ELNS1_11target_archE910ELNS1_3gpuE8ELNS1_3repE0EEENS1_44radix_sort_block_sort_config_static_selectorELNS0_4arch9wavefront6targetE1EEEvSB_
; %bb.0:
	s_load_dword s7, s[4:5], 0x20
	s_load_dwordx8 s[36:43], s[4:5], 0x0
	s_lshl_b32 s0, s6, 10
	s_mov_b32 s1, 0
	v_mbcnt_lo_u32_b32 v1, -1, 0
	s_waitcnt lgkmcnt(0)
	s_lshr_b32 s2, s7, 10
	s_cmp_lg_u32 s6, s2
	s_cselect_b64 s[30:31], -1, 0
	s_lshl_b64 s[28:29], s[0:1], 2
	v_mbcnt_hi_u32_b32 v1, -1, v1
	v_and_b32_e32 v12, 0x3ff, v0
	s_add_u32 s1, s36, s28
	v_and_b32_e32 v14, 63, v1
	s_addc_u32 s3, s37, s29
	v_lshlrev_b32_e32 v13, 2, v12
	v_lshlrev_b32_e32 v16, 2, v14
	v_and_b32_e32 v18, 0x300, v13
	v_mov_b32_e32 v2, s3
	v_add_co_u32_e32 v3, vcc, s1, v16
	v_addc_co_u32_e32 v4, vcc, 0, v2, vcc
	v_lshlrev_b32_e32 v17, 2, v18
	v_add_co_u32_e32 v2, vcc, v3, v17
	s_cmp_eq_u32 s6, s2
	v_addc_co_u32_e32 v3, vcc, 0, v4, vcc
	v_or_b32_e32 v15, v14, v18
	s_cbranch_scc1 .LBB285_2
; %bb.1:
	s_add_u32 s1, s40, s28
	s_addc_u32 s2, s41, s29
	v_mov_b32_e32 v4, s2
	v_add_co_u32_e32 v5, vcc, s1, v16
	v_addc_co_u32_e32 v4, vcc, 0, v4, vcc
	v_add_co_u32_e32 v20, vcc, v5, v17
	v_addc_co_u32_e32 v21, vcc, 0, v4, vcc
	global_load_dword v8, v[2:3], off
	global_load_dword v9, v[2:3], off offset:256
	global_load_dword v10, v[2:3], off offset:512
	;; [unrolled: 1-line block ×3, first 2 shown]
	global_load_dword v4, v[20:21], off
	global_load_dword v5, v[20:21], off offset:256
	global_load_dword v6, v[20:21], off offset:512
	;; [unrolled: 1-line block ×3, first 2 shown]
	v_or_b32_e32 v22, v14, v18
	v_or_b32_e32 v14, 64, v22
	;; [unrolled: 1-line block ×4, first 2 shown]
	s_load_dwordx2 s[34:35], s[4:5], 0x28
	s_sub_i32 s33, s7, s0
	s_cbranch_execz .LBB285_3
	s_branch .LBB285_17
.LBB285_2:
                                        ; implicit-def: $vgpr8_vgpr9_vgpr10_vgpr11
                                        ; implicit-def: $vgpr4_vgpr5_vgpr6_vgpr7
                                        ; implicit-def: $vgpr22
                                        ; implicit-def: $vgpr14
                                        ; implicit-def: $vgpr24
                                        ; implicit-def: $vgpr25
	s_load_dwordx2 s[34:35], s[4:5], 0x28
	s_sub_i32 s33, s7, s0
.LBB285_3:
	s_brev_b32 s0, -2
	s_mov_b32 s2, s0
	s_mov_b32 s3, s0
	;; [unrolled: 1-line block ×3, first 2 shown]
	s_waitcnt vmcnt(4)
	v_pk_mov_b32 v[10:11], s[2:3], s[2:3] op_sel:[0,1]
	v_cmp_gt_u32_e32 vcc, s33, v15
	v_pk_mov_b32 v[8:9], s[0:1], s[0:1] op_sel:[0,1]
	s_and_saveexec_b64 s[0:1], vcc
	s_cbranch_execz .LBB285_5
; %bb.4:
	global_load_dword v8, v[2:3], off
	v_bfrev_b32_e32 v9, -2
	v_mov_b32_e32 v10, v9
	v_mov_b32_e32 v11, v9
.LBB285_5:
	s_or_b64 exec, exec, s[0:1]
	v_or_b32_e32 v14, 64, v15
	v_cmp_gt_u32_e64 s[0:1], s33, v14
	s_and_saveexec_b64 s[2:3], s[0:1]
	s_cbranch_execz .LBB285_7
; %bb.6:
	global_load_dword v9, v[2:3], off offset:256
.LBB285_7:
	s_or_b64 exec, exec, s[2:3]
	v_or_b32_e32 v24, 0x80, v15
	v_cmp_gt_u32_e64 s[2:3], s33, v24
	s_and_saveexec_b64 s[6:7], s[2:3]
	s_cbranch_execz .LBB285_9
; %bb.8:
	global_load_dword v10, v[2:3], off offset:512
.LBB285_9:
	;; [unrolled: 8-line block ×3, first 2 shown]
	s_or_b64 exec, exec, s[8:9]
	s_add_u32 s8, s40, s28
	s_addc_u32 s9, s41, s29
	v_mov_b32_e32 v2, s9
	v_add_co_u32_e64 v3, s[8:9], s8, v16
	s_waitcnt vmcnt(3)
	v_addc_co_u32_e64 v4, s[8:9], 0, v2, s[8:9]
	v_add_co_u32_e64 v2, s[8:9], v3, v17
	v_addc_co_u32_e64 v3, s[8:9], 0, v4, s[8:9]
                                        ; implicit-def: $vgpr4_vgpr5_vgpr6_vgpr7
	s_and_saveexec_b64 s[8:9], vcc
	s_cbranch_execnz .LBB285_54
; %bb.12:
	s_or_b64 exec, exec, s[8:9]
	s_and_saveexec_b64 s[8:9], s[0:1]
	s_cbranch_execnz .LBB285_55
.LBB285_13:
	s_or_b64 exec, exec, s[8:9]
	s_and_saveexec_b64 s[0:1], s[2:3]
	s_cbranch_execnz .LBB285_56
.LBB285_14:
	s_or_b64 exec, exec, s[0:1]
	s_and_saveexec_b64 s[0:1], s[6:7]
	s_cbranch_execz .LBB285_16
.LBB285_15:
	global_load_dword v7, v[2:3], off offset:768
.LBB285_16:
	s_or_b64 exec, exec, s[0:1]
	v_mov_b32_e32 v22, v15
.LBB285_17:
	s_load_dword s2, s[4:5], 0x3c
	s_waitcnt lgkmcnt(0)
	s_add_i32 s36, s35, s34
	s_getpc_b64 s[0:1]
	s_add_u32 s0, s0, _ZN7rocprim17ROCPRIM_400000_NS16block_radix_sortIiLj256ELj4EiLj1ELj1ELj0ELNS0_26block_radix_rank_algorithmE1ELNS0_18block_padding_hintE2ELNS0_4arch9wavefront6targetE1EE19radix_bits_per_passE@rel32@lo+4
	s_addc_u32 s1, s1, _ZN7rocprim17ROCPRIM_400000_NS16block_radix_sortIiLj256ELj4EiLj1ELj1ELj0ELNS0_26block_radix_rank_algorithmE1ELNS0_18block_padding_hintE2ELNS0_4arch9wavefront6targetE1EE19radix_bits_per_passE@rel32@hi+12
	s_load_dword s37, s[0:1], 0x0
	v_bfe_u32 v2, v0, 10, 10
	s_lshr_b32 s0, s2, 16
	v_bfe_u32 v0, v0, 20, 10
	s_and_b32 s1, s2, 0xffff
	v_mad_u32_u24 v0, v0, s0, v2
	v_mad_u64_u32 v[2:3], s[0:1], v0, s1, v[12:13]
	v_and_b32_e32 v0, 15, v1
	v_cmp_eq_u32_e64 s[0:1], 0, v0
	v_cmp_lt_u32_e64 s[2:3], 1, v0
	v_cmp_lt_u32_e64 s[4:5], 3, v0
	;; [unrolled: 1-line block ×3, first 2 shown]
	v_and_b32_e32 v0, 16, v1
	v_cmp_eq_u32_e64 s[8:9], 0, v0
	v_and_b32_e32 v0, 0x3c0, v12
	v_min_u32_e32 v0, 0xc0, v0
	v_or_b32_e32 v0, 63, v0
	v_lshrrev_b32_e32 v17, 6, v2
	v_cmp_eq_u32_e64 s[12:13], v0, v12
	v_add_u32_e32 v0, -1, v1
	v_and_b32_e32 v2, 64, v1
	v_cmp_lt_i32_e32 vcc, v0, v2
	v_cndmask_b32_e32 v0, v0, v1, vcc
	s_mov_b32 s26, 0
	v_lshlrev_b32_e32 v19, 2, v0
	v_lshrrev_b32_e32 v0, 4, v12
	v_and_b32_e32 v20, 60, v0
	v_and_b32_e32 v0, 3, v1
	s_mov_b32 s27, s26
	s_mov_b32 s40, s26
	;; [unrolled: 1-line block ×3, first 2 shown]
	s_waitcnt vmcnt(0)
	v_xor_b32_e32 v15, 0x80000000, v8
	v_xor_b32_e32 v30, 0x80000000, v9
	;; [unrolled: 1-line block ×4, first 2 shown]
	v_lshlrev_b32_e32 v16, 2, v13
	v_cmp_lt_u32_e64 s[10:11], 31, v1
	v_cmp_gt_u32_e64 s[14:15], 4, v12
	v_cmp_lt_u32_e64 s[16:17], 63, v12
	v_cmp_eq_u32_e64 s[18:19], 0, v1
	v_cmp_eq_u32_e64 s[20:21], 0, v12
	v_mul_i32_i24_e32 v18, -12, v12
	v_cmp_eq_u32_e64 s[22:23], 0, v0
	v_cmp_lt_u32_e64 s[24:25], 1, v0
	v_add_u32_e32 v21, -4, v20
	v_lshlrev_b32_e32 v22, 2, v22
	v_lshlrev_b32_e32 v23, 2, v14
	;; [unrolled: 1-line block ×4, first 2 shown]
	v_pk_mov_b32 v[8:9], s[26:27], s[26:27] op_sel:[0,1]
	v_pk_mov_b32 v[10:11], s[40:41], s[40:41] op_sel:[0,1]
	v_mov_b32_e32 v14, 0
	s_branch .LBB285_19
.LBB285_18:                             ;   in Loop: Header=BB285_19 Depth=1
	s_barrier
	ds_write_b32 v33, v29
	ds_write_b32 v34, v28
	;; [unrolled: 1-line block ×4, first 2 shown]
	s_waitcnt lgkmcnt(0)
	s_barrier
	ds_read_b32 v15, v22
	ds_read_b32 v30, v23
	;; [unrolled: 1-line block ×4, first 2 shown]
	s_waitcnt lgkmcnt(0)
	s_barrier
	ds_write_b32 v33, v0
	ds_write_b32 v34, v1
	;; [unrolled: 1-line block ×4, first 2 shown]
	s_waitcnt lgkmcnt(0)
	s_barrier
	ds_read_b32 v4, v22
	ds_read_b32 v5, v23
	;; [unrolled: 1-line block ×4, first 2 shown]
	s_add_i32 s35, s35, -8
	s_waitcnt lgkmcnt(0)
	s_barrier
	s_cbranch_execz .LBB285_35
.LBB285_19:                             ; =>This Inner Loop Header: Depth=1
	s_waitcnt lgkmcnt(0)
	s_min_u32 s26, s37, s35
	v_mov_b32_e32 v29, v15
	v_pk_mov_b32 v[0:1], v[4:5], v[4:5] op_sel:[0,1]
	s_lshl_b32 s26, -1, s26
	v_pk_mov_b32 v[2:3], v[6:7], v[6:7] op_sel:[0,1]
	s_not_b32 s40, s26
	v_lshrrev_b32_e32 v4, s34, v29
	v_and_b32_e32 v4, s40, v4
	v_lshl_add_u32 v5, v4, 2, v17
	v_mov_b32_e32 v28, v30
	v_lshl_add_u32 v30, v5, 2, 16
	v_and_b32_e32 v5, 1, v4
	v_add_co_u32_e32 v6, vcc, -1, v5
	v_addc_co_u32_e64 v7, s[26:27], 0, -1, vcc
	v_cmp_ne_u32_e32 vcc, 0, v5
	v_lshlrev_b32_e32 v15, 30, v4
	v_xor_b32_e32 v5, vcc_hi, v7
	v_not_b32_e32 v7, v15
	v_xor_b32_e32 v6, vcc_lo, v6
	v_cmp_gt_i64_e32 vcc, 0, v[14:15]
	v_ashrrev_i32_e32 v7, 31, v7
	v_and_b32_e32 v5, exec_hi, v5
	v_xor_b32_e32 v15, vcc_hi, v7
	v_and_b32_e32 v6, exec_lo, v6
	v_xor_b32_e32 v7, vcc_lo, v7
	v_and_b32_e32 v5, v5, v15
	v_lshlrev_b32_e32 v15, 29, v4
	v_and_b32_e32 v6, v6, v7
	v_not_b32_e32 v7, v15
	v_cmp_gt_i64_e32 vcc, 0, v[14:15]
	v_ashrrev_i32_e32 v7, 31, v7
	v_xor_b32_e32 v15, vcc_hi, v7
	v_xor_b32_e32 v7, vcc_lo, v7
	v_and_b32_e32 v5, v5, v15
	v_lshlrev_b32_e32 v15, 28, v4
	v_and_b32_e32 v6, v6, v7
	v_not_b32_e32 v7, v15
	v_cmp_gt_i64_e32 vcc, 0, v[14:15]
	v_ashrrev_i32_e32 v7, 31, v7
	v_xor_b32_e32 v15, vcc_hi, v7
	;; [unrolled: 8-line block ×5, first 2 shown]
	v_and_b32_e32 v5, v5, v15
	v_lshlrev_b32_e32 v15, 24, v4
	v_not_b32_e32 v4, v15
	v_xor_b32_e32 v7, vcc_lo, v7
	v_cmp_gt_i64_e32 vcc, 0, v[14:15]
	v_ashrrev_i32_e32 v4, 31, v4
	v_and_b32_e32 v6, v6, v7
	v_xor_b32_e32 v7, vcc_hi, v4
	v_xor_b32_e32 v4, vcc_lo, v4
	v_and_b32_e32 v4, v6, v4
	v_and_b32_e32 v5, v5, v7
	v_mbcnt_lo_u32_b32 v6, v4, 0
	v_mov_b32_e32 v27, v31
	v_mbcnt_hi_u32_b32 v31, v5, v6
	v_cmp_eq_u32_e32 vcc, 0, v31
	v_cmp_ne_u64_e64 s[26:27], 0, v[4:5]
	v_mov_b32_e32 v26, v32
	s_and_b64 s[44:45], s[26:27], vcc
	ds_write2_b64 v16, v[8:9], v[10:11] offset0:2 offset1:3
	s_waitcnt lgkmcnt(0)
	s_barrier
	s_waitcnt lgkmcnt(0)
	; wave barrier
	s_and_saveexec_b64 s[26:27], s[44:45]
	s_cbranch_execz .LBB285_21
; %bb.20:                               ;   in Loop: Header=BB285_19 Depth=1
	v_bcnt_u32_b32 v4, v4, 0
	v_bcnt_u32_b32 v4, v5, v4
	ds_write_b32 v30, v4
.LBB285_21:                             ;   in Loop: Header=BB285_19 Depth=1
	s_or_b64 exec, exec, s[26:27]
	v_lshrrev_b32_e32 v4, s34, v28
	v_and_b32_e32 v4, s40, v4
	v_lshlrev_b32_e32 v5, 2, v4
	v_add_lshl_u32 v5, v5, v17, 2
	; wave barrier
	v_add_u32_e32 v33, 16, v5
	ds_read_b32 v32, v5 offset:16
	v_and_b32_e32 v5, 1, v4
	v_add_co_u32_e32 v6, vcc, -1, v5
	v_addc_co_u32_e64 v7, s[26:27], 0, -1, vcc
	v_cmp_ne_u32_e32 vcc, 0, v5
	v_lshlrev_b32_e32 v15, 30, v4
	v_xor_b32_e32 v5, vcc_hi, v7
	v_not_b32_e32 v7, v15
	v_xor_b32_e32 v6, vcc_lo, v6
	v_cmp_gt_i64_e32 vcc, 0, v[14:15]
	v_ashrrev_i32_e32 v7, 31, v7
	v_and_b32_e32 v5, exec_hi, v5
	v_xor_b32_e32 v15, vcc_hi, v7
	v_and_b32_e32 v6, exec_lo, v6
	v_xor_b32_e32 v7, vcc_lo, v7
	v_and_b32_e32 v5, v5, v15
	v_lshlrev_b32_e32 v15, 29, v4
	v_and_b32_e32 v6, v6, v7
	v_not_b32_e32 v7, v15
	v_cmp_gt_i64_e32 vcc, 0, v[14:15]
	v_ashrrev_i32_e32 v7, 31, v7
	v_xor_b32_e32 v15, vcc_hi, v7
	v_xor_b32_e32 v7, vcc_lo, v7
	v_and_b32_e32 v5, v5, v15
	v_lshlrev_b32_e32 v15, 28, v4
	v_and_b32_e32 v6, v6, v7
	v_not_b32_e32 v7, v15
	v_cmp_gt_i64_e32 vcc, 0, v[14:15]
	v_ashrrev_i32_e32 v7, 31, v7
	v_xor_b32_e32 v15, vcc_hi, v7
	;; [unrolled: 8-line block ×5, first 2 shown]
	v_and_b32_e32 v5, v5, v15
	v_lshlrev_b32_e32 v15, 24, v4
	v_not_b32_e32 v4, v15
	v_xor_b32_e32 v7, vcc_lo, v7
	v_cmp_gt_i64_e32 vcc, 0, v[14:15]
	v_ashrrev_i32_e32 v4, 31, v4
	v_and_b32_e32 v6, v6, v7
	v_xor_b32_e32 v7, vcc_hi, v4
	v_xor_b32_e32 v4, vcc_lo, v4
	v_and_b32_e32 v4, v6, v4
	v_and_b32_e32 v5, v5, v7
	v_mbcnt_lo_u32_b32 v6, v4, 0
	v_mbcnt_hi_u32_b32 v34, v5, v6
	v_cmp_eq_u32_e32 vcc, 0, v34
	v_cmp_ne_u64_e64 s[26:27], 0, v[4:5]
	s_and_b64 s[44:45], s[26:27], vcc
	; wave barrier
	s_and_saveexec_b64 s[26:27], s[44:45]
	s_cbranch_execz .LBB285_23
; %bb.22:                               ;   in Loop: Header=BB285_19 Depth=1
	v_bcnt_u32_b32 v4, v4, 0
	v_bcnt_u32_b32 v4, v5, v4
	s_waitcnt lgkmcnt(0)
	v_add_u32_e32 v4, v32, v4
	ds_write_b32 v33, v4
.LBB285_23:                             ;   in Loop: Header=BB285_19 Depth=1
	s_or_b64 exec, exec, s[26:27]
	v_lshrrev_b32_e32 v4, s34, v27
	v_and_b32_e32 v4, s40, v4
	v_lshlrev_b32_e32 v5, 2, v4
	v_add_lshl_u32 v5, v5, v17, 2
	; wave barrier
	v_add_u32_e32 v36, 16, v5
	ds_read_b32 v35, v5 offset:16
	v_and_b32_e32 v5, 1, v4
	v_add_co_u32_e32 v6, vcc, -1, v5
	v_addc_co_u32_e64 v7, s[26:27], 0, -1, vcc
	v_cmp_ne_u32_e32 vcc, 0, v5
	v_lshlrev_b32_e32 v15, 30, v4
	v_xor_b32_e32 v5, vcc_hi, v7
	v_not_b32_e32 v7, v15
	v_xor_b32_e32 v6, vcc_lo, v6
	v_cmp_gt_i64_e32 vcc, 0, v[14:15]
	v_ashrrev_i32_e32 v7, 31, v7
	v_and_b32_e32 v5, exec_hi, v5
	v_xor_b32_e32 v15, vcc_hi, v7
	v_and_b32_e32 v6, exec_lo, v6
	v_xor_b32_e32 v7, vcc_lo, v7
	v_and_b32_e32 v5, v5, v15
	v_lshlrev_b32_e32 v15, 29, v4
	v_and_b32_e32 v6, v6, v7
	v_not_b32_e32 v7, v15
	v_cmp_gt_i64_e32 vcc, 0, v[14:15]
	v_ashrrev_i32_e32 v7, 31, v7
	v_xor_b32_e32 v15, vcc_hi, v7
	v_xor_b32_e32 v7, vcc_lo, v7
	v_and_b32_e32 v5, v5, v15
	v_lshlrev_b32_e32 v15, 28, v4
	v_and_b32_e32 v6, v6, v7
	v_not_b32_e32 v7, v15
	v_cmp_gt_i64_e32 vcc, 0, v[14:15]
	v_ashrrev_i32_e32 v7, 31, v7
	v_xor_b32_e32 v15, vcc_hi, v7
	;; [unrolled: 8-line block ×5, first 2 shown]
	v_and_b32_e32 v5, v5, v15
	v_lshlrev_b32_e32 v15, 24, v4
	v_not_b32_e32 v4, v15
	v_xor_b32_e32 v7, vcc_lo, v7
	v_cmp_gt_i64_e32 vcc, 0, v[14:15]
	v_ashrrev_i32_e32 v4, 31, v4
	v_and_b32_e32 v6, v6, v7
	v_xor_b32_e32 v7, vcc_hi, v4
	v_xor_b32_e32 v4, vcc_lo, v4
	v_and_b32_e32 v4, v6, v4
	v_and_b32_e32 v5, v5, v7
	v_mbcnt_lo_u32_b32 v6, v4, 0
	v_mbcnt_hi_u32_b32 v37, v5, v6
	v_cmp_eq_u32_e32 vcc, 0, v37
	v_cmp_ne_u64_e64 s[26:27], 0, v[4:5]
	s_and_b64 s[44:45], s[26:27], vcc
	; wave barrier
	s_and_saveexec_b64 s[26:27], s[44:45]
	s_cbranch_execz .LBB285_25
; %bb.24:                               ;   in Loop: Header=BB285_19 Depth=1
	v_bcnt_u32_b32 v4, v4, 0
	v_bcnt_u32_b32 v4, v5, v4
	s_waitcnt lgkmcnt(0)
	v_add_u32_e32 v4, v35, v4
	ds_write_b32 v36, v4
.LBB285_25:                             ;   in Loop: Header=BB285_19 Depth=1
	s_or_b64 exec, exec, s[26:27]
	v_lshrrev_b32_e32 v4, s34, v26
	v_and_b32_e32 v4, s40, v4
	v_lshlrev_b32_e32 v5, 2, v4
	v_add_lshl_u32 v5, v5, v17, 2
	; wave barrier
	v_add_u32_e32 v39, 16, v5
	ds_read_b32 v38, v5 offset:16
	v_and_b32_e32 v5, 1, v4
	v_add_co_u32_e32 v6, vcc, -1, v5
	v_addc_co_u32_e64 v7, s[26:27], 0, -1, vcc
	v_cmp_ne_u32_e32 vcc, 0, v5
	v_lshlrev_b32_e32 v15, 30, v4
	v_xor_b32_e32 v5, vcc_hi, v7
	v_not_b32_e32 v7, v15
	v_xor_b32_e32 v6, vcc_lo, v6
	v_cmp_gt_i64_e32 vcc, 0, v[14:15]
	v_ashrrev_i32_e32 v7, 31, v7
	v_and_b32_e32 v5, exec_hi, v5
	v_xor_b32_e32 v15, vcc_hi, v7
	v_and_b32_e32 v6, exec_lo, v6
	v_xor_b32_e32 v7, vcc_lo, v7
	v_and_b32_e32 v5, v5, v15
	v_lshlrev_b32_e32 v15, 29, v4
	v_and_b32_e32 v6, v6, v7
	v_not_b32_e32 v7, v15
	v_cmp_gt_i64_e32 vcc, 0, v[14:15]
	v_ashrrev_i32_e32 v7, 31, v7
	v_xor_b32_e32 v15, vcc_hi, v7
	v_xor_b32_e32 v7, vcc_lo, v7
	v_and_b32_e32 v5, v5, v15
	v_lshlrev_b32_e32 v15, 28, v4
	v_and_b32_e32 v6, v6, v7
	v_not_b32_e32 v7, v15
	v_cmp_gt_i64_e32 vcc, 0, v[14:15]
	v_ashrrev_i32_e32 v7, 31, v7
	v_xor_b32_e32 v15, vcc_hi, v7
	;; [unrolled: 8-line block ×5, first 2 shown]
	v_and_b32_e32 v5, v5, v15
	v_lshlrev_b32_e32 v15, 24, v4
	v_not_b32_e32 v4, v15
	v_xor_b32_e32 v7, vcc_lo, v7
	v_cmp_gt_i64_e32 vcc, 0, v[14:15]
	v_ashrrev_i32_e32 v4, 31, v4
	v_and_b32_e32 v6, v6, v7
	v_xor_b32_e32 v7, vcc_hi, v4
	v_xor_b32_e32 v4, vcc_lo, v4
	v_and_b32_e32 v4, v6, v4
	v_and_b32_e32 v5, v5, v7
	v_mbcnt_lo_u32_b32 v6, v4, 0
	v_mbcnt_hi_u32_b32 v15, v5, v6
	v_cmp_eq_u32_e32 vcc, 0, v15
	v_cmp_ne_u64_e64 s[26:27], 0, v[4:5]
	s_and_b64 s[40:41], s[26:27], vcc
	; wave barrier
	s_and_saveexec_b64 s[26:27], s[40:41]
	s_cbranch_execz .LBB285_27
; %bb.26:                               ;   in Loop: Header=BB285_19 Depth=1
	v_bcnt_u32_b32 v4, v4, 0
	v_bcnt_u32_b32 v4, v5, v4
	s_waitcnt lgkmcnt(0)
	v_add_u32_e32 v4, v38, v4
	ds_write_b32 v39, v4
.LBB285_27:                             ;   in Loop: Header=BB285_19 Depth=1
	s_or_b64 exec, exec, s[26:27]
	; wave barrier
	s_waitcnt lgkmcnt(0)
	s_barrier
	ds_read2_b64 v[4:7], v16 offset0:2 offset1:3
	s_waitcnt lgkmcnt(0)
	v_add_u32_e32 v40, v5, v4
	v_add3_u32 v7, v40, v6, v7
	s_nop 1
	v_mov_b32_dpp v40, v7 row_shr:1 row_mask:0xf bank_mask:0xf
	v_cndmask_b32_e64 v40, v40, 0, s[0:1]
	v_add_u32_e32 v7, v40, v7
	s_nop 1
	v_mov_b32_dpp v40, v7 row_shr:2 row_mask:0xf bank_mask:0xf
	v_cndmask_b32_e64 v40, 0, v40, s[2:3]
	v_add_u32_e32 v7, v7, v40
	;; [unrolled: 4-line block ×4, first 2 shown]
	s_nop 1
	v_mov_b32_dpp v40, v7 row_bcast:15 row_mask:0xf bank_mask:0xf
	v_cndmask_b32_e64 v40, v40, 0, s[8:9]
	v_add_u32_e32 v7, v7, v40
	s_nop 1
	v_mov_b32_dpp v40, v7 row_bcast:31 row_mask:0xf bank_mask:0xf
	v_cndmask_b32_e64 v40, 0, v40, s[10:11]
	v_add_u32_e32 v7, v7, v40
	s_and_saveexec_b64 s[26:27], s[12:13]
	s_cbranch_execz .LBB285_29
; %bb.28:                               ;   in Loop: Header=BB285_19 Depth=1
	ds_write_b32 v20, v7
.LBB285_29:                             ;   in Loop: Header=BB285_19 Depth=1
	s_or_b64 exec, exec, s[26:27]
	s_waitcnt lgkmcnt(0)
	s_barrier
	s_and_saveexec_b64 s[26:27], s[14:15]
	s_cbranch_execz .LBB285_31
; %bb.30:                               ;   in Loop: Header=BB285_19 Depth=1
	v_add_u32_e32 v40, v16, v18
	ds_read_b32 v41, v40
	s_waitcnt lgkmcnt(0)
	s_nop 0
	v_mov_b32_dpp v42, v41 row_shr:1 row_mask:0xf bank_mask:0xf
	v_cndmask_b32_e64 v42, v42, 0, s[22:23]
	v_add_u32_e32 v41, v42, v41
	s_nop 1
	v_mov_b32_dpp v42, v41 row_shr:2 row_mask:0xf bank_mask:0xf
	v_cndmask_b32_e64 v42, 0, v42, s[24:25]
	v_add_u32_e32 v41, v41, v42
	ds_write_b32 v40, v41
.LBB285_31:                             ;   in Loop: Header=BB285_19 Depth=1
	s_or_b64 exec, exec, s[26:27]
	v_mov_b32_e32 v40, 0
	s_waitcnt lgkmcnt(0)
	s_barrier
	s_and_saveexec_b64 s[26:27], s[16:17]
	s_cbranch_execz .LBB285_33
; %bb.32:                               ;   in Loop: Header=BB285_19 Depth=1
	ds_read_b32 v40, v21
.LBB285_33:                             ;   in Loop: Header=BB285_19 Depth=1
	s_or_b64 exec, exec, s[26:27]
	s_waitcnt lgkmcnt(0)
	v_add_u32_e32 v7, v40, v7
	ds_bpermute_b32 v7, v19, v7
	s_add_i32 s34, s34, 8
	s_cmp_ge_u32 s34, s36
	s_waitcnt lgkmcnt(0)
	v_cndmask_b32_e64 v7, v7, v40, s[18:19]
	v_cndmask_b32_e64 v40, v7, 0, s[20:21]
	v_add_u32_e32 v41, v40, v4
	v_add_u32_e32 v4, v41, v5
	;; [unrolled: 1-line block ×3, first 2 shown]
	ds_write2_b64 v16, v[40:41], v[4:5] offset0:2 offset1:3
	s_waitcnt lgkmcnt(0)
	s_barrier
	ds_read_b32 v4, v30
	ds_read_b32 v5, v33
	;; [unrolled: 1-line block ×4, first 2 shown]
	v_lshlrev_b32_e32 v30, 2, v31
	s_waitcnt lgkmcnt(3)
	v_lshl_add_u32 v33, v4, 2, v30
	v_lshlrev_b32_e32 v4, 2, v34
	v_lshlrev_b32_e32 v30, 2, v32
	s_waitcnt lgkmcnt(2)
	v_lshlrev_b32_e32 v5, 2, v5
	v_add3_u32 v34, v4, v30, v5
	v_lshlrev_b32_e32 v4, 2, v37
	v_lshlrev_b32_e32 v5, 2, v35
	s_waitcnt lgkmcnt(1)
	v_lshlrev_b32_e32 v6, 2, v6
	v_add3_u32 v35, v4, v5, v6
	;; [unrolled: 5-line block ×3, first 2 shown]
	s_cbranch_scc0 .LBB285_18
; %bb.34:
                                        ; implicit-def: $vgpr32
                                        ; implicit-def: $vgpr31
                                        ; implicit-def: $vgpr30
                                        ; implicit-def: $vgpr15
                                        ; implicit-def: $sgpr34
                                        ; implicit-def: $vgpr4_vgpr5_vgpr6_vgpr7
.LBB285_35:
	v_add_u32_e32 v4, v16, v18
	s_barrier
	ds_write_b32 v33, v29
	ds_write_b32 v34, v28
	ds_write_b32 v35, v27
	ds_write_b32 v36, v26
	s_waitcnt lgkmcnt(0)
	s_barrier
	ds_read2st64_b32 v[6:7], v13 offset0:4 offset1:8
	ds_read_b32 v8, v4
	ds_read_b32 v10, v13 offset:3072
	s_waitcnt lgkmcnt(0)
	s_barrier
	ds_write_b32 v33, v0
	ds_write_b32 v34, v1
	;; [unrolled: 1-line block ×4, first 2 shown]
	s_waitcnt lgkmcnt(0)
	s_barrier
	ds_read2st64_b32 v[0:1], v13 offset0:4 offset1:8
	ds_read_b32 v5, v4
	ds_read_b32 v4, v13 offset:3072
	s_add_u32 s0, s38, s28
	s_addc_u32 s1, s39, s29
	v_mov_b32_e32 v3, s1
	v_add_co_u32_e64 v2, s[0:1], s0, v13
	v_xor_b32_e32 v9, 0x80000000, v8
	v_xor_b32_e32 v8, 0x80000000, v6
	;; [unrolled: 1-line block ×4, first 2 shown]
	s_andn2_b64 vcc, exec, s[30:31]
	v_addc_co_u32_e64 v3, s[0:1], 0, v3, s[0:1]
	s_cbranch_vccnz .LBB285_37
; %bb.36:
	s_add_u32 s0, s42, s28
	s_addc_u32 s1, s43, s29
	global_store_dword v[2:3], v9, off
	global_store_dword v[2:3], v8, off offset:1024
	global_store_dword v[2:3], v7, off offset:2048
	;; [unrolled: 1-line block ×3, first 2 shown]
	s_waitcnt lgkmcnt(1)
	global_store_dword v13, v5, s[0:1]
	global_store_dword v13, v0, s[0:1] offset:1024
	global_store_dword v13, v1, s[0:1] offset:2048
	s_mov_b64 s[6:7], -1
	s_cbranch_execz .LBB285_38
	s_branch .LBB285_51
.LBB285_37:
	s_mov_b64 s[6:7], 0
.LBB285_38:
	v_cmp_gt_u32_e32 vcc, s33, v12
	s_and_saveexec_b64 s[0:1], vcc
	s_cbranch_execz .LBB285_40
; %bb.39:
	global_store_dword v[2:3], v9, off
.LBB285_40:
	s_or_b64 exec, exec, s[0:1]
	v_add_u32_e32 v9, 0x100, v12
	v_cmp_gt_u32_e64 s[0:1], s33, v9
	s_and_saveexec_b64 s[2:3], s[0:1]
	s_cbranch_execz .LBB285_42
; %bb.41:
	global_store_dword v[2:3], v8, off offset:1024
.LBB285_42:
	s_or_b64 exec, exec, s[2:3]
	v_add_u32_e32 v8, 0x200, v12
	v_cmp_gt_u32_e64 s[2:3], s33, v8
	s_and_saveexec_b64 s[4:5], s[2:3]
	s_cbranch_execz .LBB285_44
; %bb.43:
	global_store_dword v[2:3], v7, off offset:2048
.LBB285_44:
	;; [unrolled: 8-line block ×3, first 2 shown]
	s_or_b64 exec, exec, s[4:5]
	s_add_u32 s4, s42, s28
	s_addc_u32 s5, s43, s29
	v_mov_b32_e32 v3, s5
	v_add_co_u32_e64 v2, s[4:5], s4, v13
	v_addc_co_u32_e64 v3, s[4:5], 0, v3, s[4:5]
	s_and_saveexec_b64 s[4:5], vcc
	s_cbranch_execnz .LBB285_57
; %bb.47:
	s_or_b64 exec, exec, s[4:5]
	s_and_saveexec_b64 s[4:5], s[0:1]
	s_cbranch_execnz .LBB285_58
.LBB285_48:
	s_or_b64 exec, exec, s[4:5]
	s_and_saveexec_b64 s[0:1], s[2:3]
	s_cbranch_execz .LBB285_50
.LBB285_49:
	s_waitcnt lgkmcnt(2)
	global_store_dword v[2:3], v1, off offset:2048
.LBB285_50:
	s_or_b64 exec, exec, s[0:1]
.LBB285_51:
	s_and_saveexec_b64 s[0:1], s[6:7]
	s_cbranch_execnz .LBB285_53
; %bb.52:
	s_endpgm
.LBB285_53:
	s_add_u32 s0, s42, s28
	s_addc_u32 s1, s43, s29
	s_waitcnt lgkmcnt(0)
	global_store_dword v13, v4, s[0:1] offset:3072
	s_endpgm
.LBB285_54:
	global_load_dword v4, v[2:3], off
	s_or_b64 exec, exec, s[8:9]
	s_and_saveexec_b64 s[8:9], s[0:1]
	s_cbranch_execz .LBB285_13
.LBB285_55:
	global_load_dword v5, v[2:3], off offset:256
	s_or_b64 exec, exec, s[8:9]
	s_and_saveexec_b64 s[0:1], s[2:3]
	s_cbranch_execz .LBB285_14
.LBB285_56:
	global_load_dword v6, v[2:3], off offset:512
	s_or_b64 exec, exec, s[0:1]
	s_and_saveexec_b64 s[0:1], s[6:7]
	s_cbranch_execnz .LBB285_15
	s_branch .LBB285_16
.LBB285_57:
	s_waitcnt lgkmcnt(1)
	global_store_dword v[2:3], v5, off
	s_or_b64 exec, exec, s[4:5]
	s_and_saveexec_b64 s[4:5], s[0:1]
	s_cbranch_execz .LBB285_48
.LBB285_58:
	s_waitcnt lgkmcnt(2)
	global_store_dword v[2:3], v0, off offset:1024
	s_or_b64 exec, exec, s[4:5]
	s_and_saveexec_b64 s[0:1], s[2:3]
	s_cbranch_execnz .LBB285_49
	s_branch .LBB285_50
	.section	.rodata,"a",@progbits
	.p2align	6, 0x0
	.amdhsa_kernel _ZN7rocprim17ROCPRIM_400000_NS6detail17trampoline_kernelINS0_13kernel_configILj256ELj4ELj4294967295EEENS1_37radix_sort_block_sort_config_selectorIiiEEZNS1_21radix_sort_block_sortIS4_Lb0EPiS8_S8_S8_NS0_19identity_decomposerEEE10hipError_tT1_T2_T3_T4_jRjT5_jjP12ihipStream_tbEUlT_E_NS1_11comp_targetILNS1_3genE4ELNS1_11target_archE910ELNS1_3gpuE8ELNS1_3repE0EEENS1_44radix_sort_block_sort_config_static_selectorELNS0_4arch9wavefront6targetE1EEEvSB_
		.amdhsa_group_segment_fixed_size 4112
		.amdhsa_private_segment_fixed_size 0
		.amdhsa_kernarg_size 304
		.amdhsa_user_sgpr_count 6
		.amdhsa_user_sgpr_private_segment_buffer 1
		.amdhsa_user_sgpr_dispatch_ptr 0
		.amdhsa_user_sgpr_queue_ptr 0
		.amdhsa_user_sgpr_kernarg_segment_ptr 1
		.amdhsa_user_sgpr_dispatch_id 0
		.amdhsa_user_sgpr_flat_scratch_init 0
		.amdhsa_user_sgpr_kernarg_preload_length 0
		.amdhsa_user_sgpr_kernarg_preload_offset 0
		.amdhsa_user_sgpr_private_segment_size 0
		.amdhsa_uses_dynamic_stack 0
		.amdhsa_system_sgpr_private_segment_wavefront_offset 0
		.amdhsa_system_sgpr_workgroup_id_x 1
		.amdhsa_system_sgpr_workgroup_id_y 0
		.amdhsa_system_sgpr_workgroup_id_z 0
		.amdhsa_system_sgpr_workgroup_info 0
		.amdhsa_system_vgpr_workitem_id 2
		.amdhsa_next_free_vgpr 43
		.amdhsa_next_free_sgpr 46
		.amdhsa_accum_offset 44
		.amdhsa_reserve_vcc 1
		.amdhsa_reserve_flat_scratch 0
		.amdhsa_float_round_mode_32 0
		.amdhsa_float_round_mode_16_64 0
		.amdhsa_float_denorm_mode_32 3
		.amdhsa_float_denorm_mode_16_64 3
		.amdhsa_dx10_clamp 1
		.amdhsa_ieee_mode 1
		.amdhsa_fp16_overflow 0
		.amdhsa_tg_split 0
		.amdhsa_exception_fp_ieee_invalid_op 0
		.amdhsa_exception_fp_denorm_src 0
		.amdhsa_exception_fp_ieee_div_zero 0
		.amdhsa_exception_fp_ieee_overflow 0
		.amdhsa_exception_fp_ieee_underflow 0
		.amdhsa_exception_fp_ieee_inexact 0
		.amdhsa_exception_int_div_zero 0
	.end_amdhsa_kernel
	.section	.text._ZN7rocprim17ROCPRIM_400000_NS6detail17trampoline_kernelINS0_13kernel_configILj256ELj4ELj4294967295EEENS1_37radix_sort_block_sort_config_selectorIiiEEZNS1_21radix_sort_block_sortIS4_Lb0EPiS8_S8_S8_NS0_19identity_decomposerEEE10hipError_tT1_T2_T3_T4_jRjT5_jjP12ihipStream_tbEUlT_E_NS1_11comp_targetILNS1_3genE4ELNS1_11target_archE910ELNS1_3gpuE8ELNS1_3repE0EEENS1_44radix_sort_block_sort_config_static_selectorELNS0_4arch9wavefront6targetE1EEEvSB_,"axG",@progbits,_ZN7rocprim17ROCPRIM_400000_NS6detail17trampoline_kernelINS0_13kernel_configILj256ELj4ELj4294967295EEENS1_37radix_sort_block_sort_config_selectorIiiEEZNS1_21radix_sort_block_sortIS4_Lb0EPiS8_S8_S8_NS0_19identity_decomposerEEE10hipError_tT1_T2_T3_T4_jRjT5_jjP12ihipStream_tbEUlT_E_NS1_11comp_targetILNS1_3genE4ELNS1_11target_archE910ELNS1_3gpuE8ELNS1_3repE0EEENS1_44radix_sort_block_sort_config_static_selectorELNS0_4arch9wavefront6targetE1EEEvSB_,comdat
.Lfunc_end285:
	.size	_ZN7rocprim17ROCPRIM_400000_NS6detail17trampoline_kernelINS0_13kernel_configILj256ELj4ELj4294967295EEENS1_37radix_sort_block_sort_config_selectorIiiEEZNS1_21radix_sort_block_sortIS4_Lb0EPiS8_S8_S8_NS0_19identity_decomposerEEE10hipError_tT1_T2_T3_T4_jRjT5_jjP12ihipStream_tbEUlT_E_NS1_11comp_targetILNS1_3genE4ELNS1_11target_archE910ELNS1_3gpuE8ELNS1_3repE0EEENS1_44radix_sort_block_sort_config_static_selectorELNS0_4arch9wavefront6targetE1EEEvSB_, .Lfunc_end285-_ZN7rocprim17ROCPRIM_400000_NS6detail17trampoline_kernelINS0_13kernel_configILj256ELj4ELj4294967295EEENS1_37radix_sort_block_sort_config_selectorIiiEEZNS1_21radix_sort_block_sortIS4_Lb0EPiS8_S8_S8_NS0_19identity_decomposerEEE10hipError_tT1_T2_T3_T4_jRjT5_jjP12ihipStream_tbEUlT_E_NS1_11comp_targetILNS1_3genE4ELNS1_11target_archE910ELNS1_3gpuE8ELNS1_3repE0EEENS1_44radix_sort_block_sort_config_static_selectorELNS0_4arch9wavefront6targetE1EEEvSB_
                                        ; -- End function
	.section	.AMDGPU.csdata,"",@progbits
; Kernel info:
; codeLenInByte = 3792
; NumSgprs: 50
; NumVgprs: 43
; NumAgprs: 0
; TotalNumVgprs: 43
; ScratchSize: 0
; MemoryBound: 0
; FloatMode: 240
; IeeeMode: 1
; LDSByteSize: 4112 bytes/workgroup (compile time only)
; SGPRBlocks: 6
; VGPRBlocks: 5
; NumSGPRsForWavesPerEU: 50
; NumVGPRsForWavesPerEU: 43
; AccumOffset: 44
; Occupancy: 8
; WaveLimiterHint : 1
; COMPUTE_PGM_RSRC2:SCRATCH_EN: 0
; COMPUTE_PGM_RSRC2:USER_SGPR: 6
; COMPUTE_PGM_RSRC2:TRAP_HANDLER: 0
; COMPUTE_PGM_RSRC2:TGID_X_EN: 1
; COMPUTE_PGM_RSRC2:TGID_Y_EN: 0
; COMPUTE_PGM_RSRC2:TGID_Z_EN: 0
; COMPUTE_PGM_RSRC2:TIDIG_COMP_CNT: 2
; COMPUTE_PGM_RSRC3_GFX90A:ACCUM_OFFSET: 10
; COMPUTE_PGM_RSRC3_GFX90A:TG_SPLIT: 0
	.section	.text._ZN7rocprim17ROCPRIM_400000_NS6detail17trampoline_kernelINS0_13kernel_configILj256ELj4ELj4294967295EEENS1_37radix_sort_block_sort_config_selectorIiiEEZNS1_21radix_sort_block_sortIS4_Lb0EPiS8_S8_S8_NS0_19identity_decomposerEEE10hipError_tT1_T2_T3_T4_jRjT5_jjP12ihipStream_tbEUlT_E_NS1_11comp_targetILNS1_3genE3ELNS1_11target_archE908ELNS1_3gpuE7ELNS1_3repE0EEENS1_44radix_sort_block_sort_config_static_selectorELNS0_4arch9wavefront6targetE1EEEvSB_,"axG",@progbits,_ZN7rocprim17ROCPRIM_400000_NS6detail17trampoline_kernelINS0_13kernel_configILj256ELj4ELj4294967295EEENS1_37radix_sort_block_sort_config_selectorIiiEEZNS1_21radix_sort_block_sortIS4_Lb0EPiS8_S8_S8_NS0_19identity_decomposerEEE10hipError_tT1_T2_T3_T4_jRjT5_jjP12ihipStream_tbEUlT_E_NS1_11comp_targetILNS1_3genE3ELNS1_11target_archE908ELNS1_3gpuE7ELNS1_3repE0EEENS1_44radix_sort_block_sort_config_static_selectorELNS0_4arch9wavefront6targetE1EEEvSB_,comdat
	.protected	_ZN7rocprim17ROCPRIM_400000_NS6detail17trampoline_kernelINS0_13kernel_configILj256ELj4ELj4294967295EEENS1_37radix_sort_block_sort_config_selectorIiiEEZNS1_21radix_sort_block_sortIS4_Lb0EPiS8_S8_S8_NS0_19identity_decomposerEEE10hipError_tT1_T2_T3_T4_jRjT5_jjP12ihipStream_tbEUlT_E_NS1_11comp_targetILNS1_3genE3ELNS1_11target_archE908ELNS1_3gpuE7ELNS1_3repE0EEENS1_44radix_sort_block_sort_config_static_selectorELNS0_4arch9wavefront6targetE1EEEvSB_ ; -- Begin function _ZN7rocprim17ROCPRIM_400000_NS6detail17trampoline_kernelINS0_13kernel_configILj256ELj4ELj4294967295EEENS1_37radix_sort_block_sort_config_selectorIiiEEZNS1_21radix_sort_block_sortIS4_Lb0EPiS8_S8_S8_NS0_19identity_decomposerEEE10hipError_tT1_T2_T3_T4_jRjT5_jjP12ihipStream_tbEUlT_E_NS1_11comp_targetILNS1_3genE3ELNS1_11target_archE908ELNS1_3gpuE7ELNS1_3repE0EEENS1_44radix_sort_block_sort_config_static_selectorELNS0_4arch9wavefront6targetE1EEEvSB_
	.globl	_ZN7rocprim17ROCPRIM_400000_NS6detail17trampoline_kernelINS0_13kernel_configILj256ELj4ELj4294967295EEENS1_37radix_sort_block_sort_config_selectorIiiEEZNS1_21radix_sort_block_sortIS4_Lb0EPiS8_S8_S8_NS0_19identity_decomposerEEE10hipError_tT1_T2_T3_T4_jRjT5_jjP12ihipStream_tbEUlT_E_NS1_11comp_targetILNS1_3genE3ELNS1_11target_archE908ELNS1_3gpuE7ELNS1_3repE0EEENS1_44radix_sort_block_sort_config_static_selectorELNS0_4arch9wavefront6targetE1EEEvSB_
	.p2align	8
	.type	_ZN7rocprim17ROCPRIM_400000_NS6detail17trampoline_kernelINS0_13kernel_configILj256ELj4ELj4294967295EEENS1_37radix_sort_block_sort_config_selectorIiiEEZNS1_21radix_sort_block_sortIS4_Lb0EPiS8_S8_S8_NS0_19identity_decomposerEEE10hipError_tT1_T2_T3_T4_jRjT5_jjP12ihipStream_tbEUlT_E_NS1_11comp_targetILNS1_3genE3ELNS1_11target_archE908ELNS1_3gpuE7ELNS1_3repE0EEENS1_44radix_sort_block_sort_config_static_selectorELNS0_4arch9wavefront6targetE1EEEvSB_,@function
_ZN7rocprim17ROCPRIM_400000_NS6detail17trampoline_kernelINS0_13kernel_configILj256ELj4ELj4294967295EEENS1_37radix_sort_block_sort_config_selectorIiiEEZNS1_21radix_sort_block_sortIS4_Lb0EPiS8_S8_S8_NS0_19identity_decomposerEEE10hipError_tT1_T2_T3_T4_jRjT5_jjP12ihipStream_tbEUlT_E_NS1_11comp_targetILNS1_3genE3ELNS1_11target_archE908ELNS1_3gpuE7ELNS1_3repE0EEENS1_44radix_sort_block_sort_config_static_selectorELNS0_4arch9wavefront6targetE1EEEvSB_: ; @_ZN7rocprim17ROCPRIM_400000_NS6detail17trampoline_kernelINS0_13kernel_configILj256ELj4ELj4294967295EEENS1_37radix_sort_block_sort_config_selectorIiiEEZNS1_21radix_sort_block_sortIS4_Lb0EPiS8_S8_S8_NS0_19identity_decomposerEEE10hipError_tT1_T2_T3_T4_jRjT5_jjP12ihipStream_tbEUlT_E_NS1_11comp_targetILNS1_3genE3ELNS1_11target_archE908ELNS1_3gpuE7ELNS1_3repE0EEENS1_44radix_sort_block_sort_config_static_selectorELNS0_4arch9wavefront6targetE1EEEvSB_
; %bb.0:
	.section	.rodata,"a",@progbits
	.p2align	6, 0x0
	.amdhsa_kernel _ZN7rocprim17ROCPRIM_400000_NS6detail17trampoline_kernelINS0_13kernel_configILj256ELj4ELj4294967295EEENS1_37radix_sort_block_sort_config_selectorIiiEEZNS1_21radix_sort_block_sortIS4_Lb0EPiS8_S8_S8_NS0_19identity_decomposerEEE10hipError_tT1_T2_T3_T4_jRjT5_jjP12ihipStream_tbEUlT_E_NS1_11comp_targetILNS1_3genE3ELNS1_11target_archE908ELNS1_3gpuE7ELNS1_3repE0EEENS1_44radix_sort_block_sort_config_static_selectorELNS0_4arch9wavefront6targetE1EEEvSB_
		.amdhsa_group_segment_fixed_size 0
		.amdhsa_private_segment_fixed_size 0
		.amdhsa_kernarg_size 48
		.amdhsa_user_sgpr_count 6
		.amdhsa_user_sgpr_private_segment_buffer 1
		.amdhsa_user_sgpr_dispatch_ptr 0
		.amdhsa_user_sgpr_queue_ptr 0
		.amdhsa_user_sgpr_kernarg_segment_ptr 1
		.amdhsa_user_sgpr_dispatch_id 0
		.amdhsa_user_sgpr_flat_scratch_init 0
		.amdhsa_user_sgpr_kernarg_preload_length 0
		.amdhsa_user_sgpr_kernarg_preload_offset 0
		.amdhsa_user_sgpr_private_segment_size 0
		.amdhsa_uses_dynamic_stack 0
		.amdhsa_system_sgpr_private_segment_wavefront_offset 0
		.amdhsa_system_sgpr_workgroup_id_x 1
		.amdhsa_system_sgpr_workgroup_id_y 0
		.amdhsa_system_sgpr_workgroup_id_z 0
		.amdhsa_system_sgpr_workgroup_info 0
		.amdhsa_system_vgpr_workitem_id 0
		.amdhsa_next_free_vgpr 1
		.amdhsa_next_free_sgpr 0
		.amdhsa_accum_offset 4
		.amdhsa_reserve_vcc 0
		.amdhsa_reserve_flat_scratch 0
		.amdhsa_float_round_mode_32 0
		.amdhsa_float_round_mode_16_64 0
		.amdhsa_float_denorm_mode_32 3
		.amdhsa_float_denorm_mode_16_64 3
		.amdhsa_dx10_clamp 1
		.amdhsa_ieee_mode 1
		.amdhsa_fp16_overflow 0
		.amdhsa_tg_split 0
		.amdhsa_exception_fp_ieee_invalid_op 0
		.amdhsa_exception_fp_denorm_src 0
		.amdhsa_exception_fp_ieee_div_zero 0
		.amdhsa_exception_fp_ieee_overflow 0
		.amdhsa_exception_fp_ieee_underflow 0
		.amdhsa_exception_fp_ieee_inexact 0
		.amdhsa_exception_int_div_zero 0
	.end_amdhsa_kernel
	.section	.text._ZN7rocprim17ROCPRIM_400000_NS6detail17trampoline_kernelINS0_13kernel_configILj256ELj4ELj4294967295EEENS1_37radix_sort_block_sort_config_selectorIiiEEZNS1_21radix_sort_block_sortIS4_Lb0EPiS8_S8_S8_NS0_19identity_decomposerEEE10hipError_tT1_T2_T3_T4_jRjT5_jjP12ihipStream_tbEUlT_E_NS1_11comp_targetILNS1_3genE3ELNS1_11target_archE908ELNS1_3gpuE7ELNS1_3repE0EEENS1_44radix_sort_block_sort_config_static_selectorELNS0_4arch9wavefront6targetE1EEEvSB_,"axG",@progbits,_ZN7rocprim17ROCPRIM_400000_NS6detail17trampoline_kernelINS0_13kernel_configILj256ELj4ELj4294967295EEENS1_37radix_sort_block_sort_config_selectorIiiEEZNS1_21radix_sort_block_sortIS4_Lb0EPiS8_S8_S8_NS0_19identity_decomposerEEE10hipError_tT1_T2_T3_T4_jRjT5_jjP12ihipStream_tbEUlT_E_NS1_11comp_targetILNS1_3genE3ELNS1_11target_archE908ELNS1_3gpuE7ELNS1_3repE0EEENS1_44radix_sort_block_sort_config_static_selectorELNS0_4arch9wavefront6targetE1EEEvSB_,comdat
.Lfunc_end286:
	.size	_ZN7rocprim17ROCPRIM_400000_NS6detail17trampoline_kernelINS0_13kernel_configILj256ELj4ELj4294967295EEENS1_37radix_sort_block_sort_config_selectorIiiEEZNS1_21radix_sort_block_sortIS4_Lb0EPiS8_S8_S8_NS0_19identity_decomposerEEE10hipError_tT1_T2_T3_T4_jRjT5_jjP12ihipStream_tbEUlT_E_NS1_11comp_targetILNS1_3genE3ELNS1_11target_archE908ELNS1_3gpuE7ELNS1_3repE0EEENS1_44radix_sort_block_sort_config_static_selectorELNS0_4arch9wavefront6targetE1EEEvSB_, .Lfunc_end286-_ZN7rocprim17ROCPRIM_400000_NS6detail17trampoline_kernelINS0_13kernel_configILj256ELj4ELj4294967295EEENS1_37radix_sort_block_sort_config_selectorIiiEEZNS1_21radix_sort_block_sortIS4_Lb0EPiS8_S8_S8_NS0_19identity_decomposerEEE10hipError_tT1_T2_T3_T4_jRjT5_jjP12ihipStream_tbEUlT_E_NS1_11comp_targetILNS1_3genE3ELNS1_11target_archE908ELNS1_3gpuE7ELNS1_3repE0EEENS1_44radix_sort_block_sort_config_static_selectorELNS0_4arch9wavefront6targetE1EEEvSB_
                                        ; -- End function
	.section	.AMDGPU.csdata,"",@progbits
; Kernel info:
; codeLenInByte = 0
; NumSgprs: 4
; NumVgprs: 0
; NumAgprs: 0
; TotalNumVgprs: 0
; ScratchSize: 0
; MemoryBound: 0
; FloatMode: 240
; IeeeMode: 1
; LDSByteSize: 0 bytes/workgroup (compile time only)
; SGPRBlocks: 0
; VGPRBlocks: 0
; NumSGPRsForWavesPerEU: 4
; NumVGPRsForWavesPerEU: 1
; AccumOffset: 4
; Occupancy: 8
; WaveLimiterHint : 0
; COMPUTE_PGM_RSRC2:SCRATCH_EN: 0
; COMPUTE_PGM_RSRC2:USER_SGPR: 6
; COMPUTE_PGM_RSRC2:TRAP_HANDLER: 0
; COMPUTE_PGM_RSRC2:TGID_X_EN: 1
; COMPUTE_PGM_RSRC2:TGID_Y_EN: 0
; COMPUTE_PGM_RSRC2:TGID_Z_EN: 0
; COMPUTE_PGM_RSRC2:TIDIG_COMP_CNT: 0
; COMPUTE_PGM_RSRC3_GFX90A:ACCUM_OFFSET: 0
; COMPUTE_PGM_RSRC3_GFX90A:TG_SPLIT: 0
	.section	.text._ZN7rocprim17ROCPRIM_400000_NS6detail17trampoline_kernelINS0_13kernel_configILj256ELj4ELj4294967295EEENS1_37radix_sort_block_sort_config_selectorIiiEEZNS1_21radix_sort_block_sortIS4_Lb0EPiS8_S8_S8_NS0_19identity_decomposerEEE10hipError_tT1_T2_T3_T4_jRjT5_jjP12ihipStream_tbEUlT_E_NS1_11comp_targetILNS1_3genE2ELNS1_11target_archE906ELNS1_3gpuE6ELNS1_3repE0EEENS1_44radix_sort_block_sort_config_static_selectorELNS0_4arch9wavefront6targetE1EEEvSB_,"axG",@progbits,_ZN7rocprim17ROCPRIM_400000_NS6detail17trampoline_kernelINS0_13kernel_configILj256ELj4ELj4294967295EEENS1_37radix_sort_block_sort_config_selectorIiiEEZNS1_21radix_sort_block_sortIS4_Lb0EPiS8_S8_S8_NS0_19identity_decomposerEEE10hipError_tT1_T2_T3_T4_jRjT5_jjP12ihipStream_tbEUlT_E_NS1_11comp_targetILNS1_3genE2ELNS1_11target_archE906ELNS1_3gpuE6ELNS1_3repE0EEENS1_44radix_sort_block_sort_config_static_selectorELNS0_4arch9wavefront6targetE1EEEvSB_,comdat
	.protected	_ZN7rocprim17ROCPRIM_400000_NS6detail17trampoline_kernelINS0_13kernel_configILj256ELj4ELj4294967295EEENS1_37radix_sort_block_sort_config_selectorIiiEEZNS1_21radix_sort_block_sortIS4_Lb0EPiS8_S8_S8_NS0_19identity_decomposerEEE10hipError_tT1_T2_T3_T4_jRjT5_jjP12ihipStream_tbEUlT_E_NS1_11comp_targetILNS1_3genE2ELNS1_11target_archE906ELNS1_3gpuE6ELNS1_3repE0EEENS1_44radix_sort_block_sort_config_static_selectorELNS0_4arch9wavefront6targetE1EEEvSB_ ; -- Begin function _ZN7rocprim17ROCPRIM_400000_NS6detail17trampoline_kernelINS0_13kernel_configILj256ELj4ELj4294967295EEENS1_37radix_sort_block_sort_config_selectorIiiEEZNS1_21radix_sort_block_sortIS4_Lb0EPiS8_S8_S8_NS0_19identity_decomposerEEE10hipError_tT1_T2_T3_T4_jRjT5_jjP12ihipStream_tbEUlT_E_NS1_11comp_targetILNS1_3genE2ELNS1_11target_archE906ELNS1_3gpuE6ELNS1_3repE0EEENS1_44radix_sort_block_sort_config_static_selectorELNS0_4arch9wavefront6targetE1EEEvSB_
	.globl	_ZN7rocprim17ROCPRIM_400000_NS6detail17trampoline_kernelINS0_13kernel_configILj256ELj4ELj4294967295EEENS1_37radix_sort_block_sort_config_selectorIiiEEZNS1_21radix_sort_block_sortIS4_Lb0EPiS8_S8_S8_NS0_19identity_decomposerEEE10hipError_tT1_T2_T3_T4_jRjT5_jjP12ihipStream_tbEUlT_E_NS1_11comp_targetILNS1_3genE2ELNS1_11target_archE906ELNS1_3gpuE6ELNS1_3repE0EEENS1_44radix_sort_block_sort_config_static_selectorELNS0_4arch9wavefront6targetE1EEEvSB_
	.p2align	8
	.type	_ZN7rocprim17ROCPRIM_400000_NS6detail17trampoline_kernelINS0_13kernel_configILj256ELj4ELj4294967295EEENS1_37radix_sort_block_sort_config_selectorIiiEEZNS1_21radix_sort_block_sortIS4_Lb0EPiS8_S8_S8_NS0_19identity_decomposerEEE10hipError_tT1_T2_T3_T4_jRjT5_jjP12ihipStream_tbEUlT_E_NS1_11comp_targetILNS1_3genE2ELNS1_11target_archE906ELNS1_3gpuE6ELNS1_3repE0EEENS1_44radix_sort_block_sort_config_static_selectorELNS0_4arch9wavefront6targetE1EEEvSB_,@function
_ZN7rocprim17ROCPRIM_400000_NS6detail17trampoline_kernelINS0_13kernel_configILj256ELj4ELj4294967295EEENS1_37radix_sort_block_sort_config_selectorIiiEEZNS1_21radix_sort_block_sortIS4_Lb0EPiS8_S8_S8_NS0_19identity_decomposerEEE10hipError_tT1_T2_T3_T4_jRjT5_jjP12ihipStream_tbEUlT_E_NS1_11comp_targetILNS1_3genE2ELNS1_11target_archE906ELNS1_3gpuE6ELNS1_3repE0EEENS1_44radix_sort_block_sort_config_static_selectorELNS0_4arch9wavefront6targetE1EEEvSB_: ; @_ZN7rocprim17ROCPRIM_400000_NS6detail17trampoline_kernelINS0_13kernel_configILj256ELj4ELj4294967295EEENS1_37radix_sort_block_sort_config_selectorIiiEEZNS1_21radix_sort_block_sortIS4_Lb0EPiS8_S8_S8_NS0_19identity_decomposerEEE10hipError_tT1_T2_T3_T4_jRjT5_jjP12ihipStream_tbEUlT_E_NS1_11comp_targetILNS1_3genE2ELNS1_11target_archE906ELNS1_3gpuE6ELNS1_3repE0EEENS1_44radix_sort_block_sort_config_static_selectorELNS0_4arch9wavefront6targetE1EEEvSB_
; %bb.0:
	.section	.rodata,"a",@progbits
	.p2align	6, 0x0
	.amdhsa_kernel _ZN7rocprim17ROCPRIM_400000_NS6detail17trampoline_kernelINS0_13kernel_configILj256ELj4ELj4294967295EEENS1_37radix_sort_block_sort_config_selectorIiiEEZNS1_21radix_sort_block_sortIS4_Lb0EPiS8_S8_S8_NS0_19identity_decomposerEEE10hipError_tT1_T2_T3_T4_jRjT5_jjP12ihipStream_tbEUlT_E_NS1_11comp_targetILNS1_3genE2ELNS1_11target_archE906ELNS1_3gpuE6ELNS1_3repE0EEENS1_44radix_sort_block_sort_config_static_selectorELNS0_4arch9wavefront6targetE1EEEvSB_
		.amdhsa_group_segment_fixed_size 0
		.amdhsa_private_segment_fixed_size 0
		.amdhsa_kernarg_size 48
		.amdhsa_user_sgpr_count 6
		.amdhsa_user_sgpr_private_segment_buffer 1
		.amdhsa_user_sgpr_dispatch_ptr 0
		.amdhsa_user_sgpr_queue_ptr 0
		.amdhsa_user_sgpr_kernarg_segment_ptr 1
		.amdhsa_user_sgpr_dispatch_id 0
		.amdhsa_user_sgpr_flat_scratch_init 0
		.amdhsa_user_sgpr_kernarg_preload_length 0
		.amdhsa_user_sgpr_kernarg_preload_offset 0
		.amdhsa_user_sgpr_private_segment_size 0
		.amdhsa_uses_dynamic_stack 0
		.amdhsa_system_sgpr_private_segment_wavefront_offset 0
		.amdhsa_system_sgpr_workgroup_id_x 1
		.amdhsa_system_sgpr_workgroup_id_y 0
		.amdhsa_system_sgpr_workgroup_id_z 0
		.amdhsa_system_sgpr_workgroup_info 0
		.amdhsa_system_vgpr_workitem_id 0
		.amdhsa_next_free_vgpr 1
		.amdhsa_next_free_sgpr 0
		.amdhsa_accum_offset 4
		.amdhsa_reserve_vcc 0
		.amdhsa_reserve_flat_scratch 0
		.amdhsa_float_round_mode_32 0
		.amdhsa_float_round_mode_16_64 0
		.amdhsa_float_denorm_mode_32 3
		.amdhsa_float_denorm_mode_16_64 3
		.amdhsa_dx10_clamp 1
		.amdhsa_ieee_mode 1
		.amdhsa_fp16_overflow 0
		.amdhsa_tg_split 0
		.amdhsa_exception_fp_ieee_invalid_op 0
		.amdhsa_exception_fp_denorm_src 0
		.amdhsa_exception_fp_ieee_div_zero 0
		.amdhsa_exception_fp_ieee_overflow 0
		.amdhsa_exception_fp_ieee_underflow 0
		.amdhsa_exception_fp_ieee_inexact 0
		.amdhsa_exception_int_div_zero 0
	.end_amdhsa_kernel
	.section	.text._ZN7rocprim17ROCPRIM_400000_NS6detail17trampoline_kernelINS0_13kernel_configILj256ELj4ELj4294967295EEENS1_37radix_sort_block_sort_config_selectorIiiEEZNS1_21radix_sort_block_sortIS4_Lb0EPiS8_S8_S8_NS0_19identity_decomposerEEE10hipError_tT1_T2_T3_T4_jRjT5_jjP12ihipStream_tbEUlT_E_NS1_11comp_targetILNS1_3genE2ELNS1_11target_archE906ELNS1_3gpuE6ELNS1_3repE0EEENS1_44radix_sort_block_sort_config_static_selectorELNS0_4arch9wavefront6targetE1EEEvSB_,"axG",@progbits,_ZN7rocprim17ROCPRIM_400000_NS6detail17trampoline_kernelINS0_13kernel_configILj256ELj4ELj4294967295EEENS1_37radix_sort_block_sort_config_selectorIiiEEZNS1_21radix_sort_block_sortIS4_Lb0EPiS8_S8_S8_NS0_19identity_decomposerEEE10hipError_tT1_T2_T3_T4_jRjT5_jjP12ihipStream_tbEUlT_E_NS1_11comp_targetILNS1_3genE2ELNS1_11target_archE906ELNS1_3gpuE6ELNS1_3repE0EEENS1_44radix_sort_block_sort_config_static_selectorELNS0_4arch9wavefront6targetE1EEEvSB_,comdat
.Lfunc_end287:
	.size	_ZN7rocprim17ROCPRIM_400000_NS6detail17trampoline_kernelINS0_13kernel_configILj256ELj4ELj4294967295EEENS1_37radix_sort_block_sort_config_selectorIiiEEZNS1_21radix_sort_block_sortIS4_Lb0EPiS8_S8_S8_NS0_19identity_decomposerEEE10hipError_tT1_T2_T3_T4_jRjT5_jjP12ihipStream_tbEUlT_E_NS1_11comp_targetILNS1_3genE2ELNS1_11target_archE906ELNS1_3gpuE6ELNS1_3repE0EEENS1_44radix_sort_block_sort_config_static_selectorELNS0_4arch9wavefront6targetE1EEEvSB_, .Lfunc_end287-_ZN7rocprim17ROCPRIM_400000_NS6detail17trampoline_kernelINS0_13kernel_configILj256ELj4ELj4294967295EEENS1_37radix_sort_block_sort_config_selectorIiiEEZNS1_21radix_sort_block_sortIS4_Lb0EPiS8_S8_S8_NS0_19identity_decomposerEEE10hipError_tT1_T2_T3_T4_jRjT5_jjP12ihipStream_tbEUlT_E_NS1_11comp_targetILNS1_3genE2ELNS1_11target_archE906ELNS1_3gpuE6ELNS1_3repE0EEENS1_44radix_sort_block_sort_config_static_selectorELNS0_4arch9wavefront6targetE1EEEvSB_
                                        ; -- End function
	.section	.AMDGPU.csdata,"",@progbits
; Kernel info:
; codeLenInByte = 0
; NumSgprs: 4
; NumVgprs: 0
; NumAgprs: 0
; TotalNumVgprs: 0
; ScratchSize: 0
; MemoryBound: 0
; FloatMode: 240
; IeeeMode: 1
; LDSByteSize: 0 bytes/workgroup (compile time only)
; SGPRBlocks: 0
; VGPRBlocks: 0
; NumSGPRsForWavesPerEU: 4
; NumVGPRsForWavesPerEU: 1
; AccumOffset: 4
; Occupancy: 8
; WaveLimiterHint : 0
; COMPUTE_PGM_RSRC2:SCRATCH_EN: 0
; COMPUTE_PGM_RSRC2:USER_SGPR: 6
; COMPUTE_PGM_RSRC2:TRAP_HANDLER: 0
; COMPUTE_PGM_RSRC2:TGID_X_EN: 1
; COMPUTE_PGM_RSRC2:TGID_Y_EN: 0
; COMPUTE_PGM_RSRC2:TGID_Z_EN: 0
; COMPUTE_PGM_RSRC2:TIDIG_COMP_CNT: 0
; COMPUTE_PGM_RSRC3_GFX90A:ACCUM_OFFSET: 0
; COMPUTE_PGM_RSRC3_GFX90A:TG_SPLIT: 0
	.section	.text._ZN7rocprim17ROCPRIM_400000_NS6detail17trampoline_kernelINS0_13kernel_configILj256ELj4ELj4294967295EEENS1_37radix_sort_block_sort_config_selectorIiiEEZNS1_21radix_sort_block_sortIS4_Lb0EPiS8_S8_S8_NS0_19identity_decomposerEEE10hipError_tT1_T2_T3_T4_jRjT5_jjP12ihipStream_tbEUlT_E_NS1_11comp_targetILNS1_3genE10ELNS1_11target_archE1201ELNS1_3gpuE5ELNS1_3repE0EEENS1_44radix_sort_block_sort_config_static_selectorELNS0_4arch9wavefront6targetE1EEEvSB_,"axG",@progbits,_ZN7rocprim17ROCPRIM_400000_NS6detail17trampoline_kernelINS0_13kernel_configILj256ELj4ELj4294967295EEENS1_37radix_sort_block_sort_config_selectorIiiEEZNS1_21radix_sort_block_sortIS4_Lb0EPiS8_S8_S8_NS0_19identity_decomposerEEE10hipError_tT1_T2_T3_T4_jRjT5_jjP12ihipStream_tbEUlT_E_NS1_11comp_targetILNS1_3genE10ELNS1_11target_archE1201ELNS1_3gpuE5ELNS1_3repE0EEENS1_44radix_sort_block_sort_config_static_selectorELNS0_4arch9wavefront6targetE1EEEvSB_,comdat
	.protected	_ZN7rocprim17ROCPRIM_400000_NS6detail17trampoline_kernelINS0_13kernel_configILj256ELj4ELj4294967295EEENS1_37radix_sort_block_sort_config_selectorIiiEEZNS1_21radix_sort_block_sortIS4_Lb0EPiS8_S8_S8_NS0_19identity_decomposerEEE10hipError_tT1_T2_T3_T4_jRjT5_jjP12ihipStream_tbEUlT_E_NS1_11comp_targetILNS1_3genE10ELNS1_11target_archE1201ELNS1_3gpuE5ELNS1_3repE0EEENS1_44radix_sort_block_sort_config_static_selectorELNS0_4arch9wavefront6targetE1EEEvSB_ ; -- Begin function _ZN7rocprim17ROCPRIM_400000_NS6detail17trampoline_kernelINS0_13kernel_configILj256ELj4ELj4294967295EEENS1_37radix_sort_block_sort_config_selectorIiiEEZNS1_21radix_sort_block_sortIS4_Lb0EPiS8_S8_S8_NS0_19identity_decomposerEEE10hipError_tT1_T2_T3_T4_jRjT5_jjP12ihipStream_tbEUlT_E_NS1_11comp_targetILNS1_3genE10ELNS1_11target_archE1201ELNS1_3gpuE5ELNS1_3repE0EEENS1_44radix_sort_block_sort_config_static_selectorELNS0_4arch9wavefront6targetE1EEEvSB_
	.globl	_ZN7rocprim17ROCPRIM_400000_NS6detail17trampoline_kernelINS0_13kernel_configILj256ELj4ELj4294967295EEENS1_37radix_sort_block_sort_config_selectorIiiEEZNS1_21radix_sort_block_sortIS4_Lb0EPiS8_S8_S8_NS0_19identity_decomposerEEE10hipError_tT1_T2_T3_T4_jRjT5_jjP12ihipStream_tbEUlT_E_NS1_11comp_targetILNS1_3genE10ELNS1_11target_archE1201ELNS1_3gpuE5ELNS1_3repE0EEENS1_44radix_sort_block_sort_config_static_selectorELNS0_4arch9wavefront6targetE1EEEvSB_
	.p2align	8
	.type	_ZN7rocprim17ROCPRIM_400000_NS6detail17trampoline_kernelINS0_13kernel_configILj256ELj4ELj4294967295EEENS1_37radix_sort_block_sort_config_selectorIiiEEZNS1_21radix_sort_block_sortIS4_Lb0EPiS8_S8_S8_NS0_19identity_decomposerEEE10hipError_tT1_T2_T3_T4_jRjT5_jjP12ihipStream_tbEUlT_E_NS1_11comp_targetILNS1_3genE10ELNS1_11target_archE1201ELNS1_3gpuE5ELNS1_3repE0EEENS1_44radix_sort_block_sort_config_static_selectorELNS0_4arch9wavefront6targetE1EEEvSB_,@function
_ZN7rocprim17ROCPRIM_400000_NS6detail17trampoline_kernelINS0_13kernel_configILj256ELj4ELj4294967295EEENS1_37radix_sort_block_sort_config_selectorIiiEEZNS1_21radix_sort_block_sortIS4_Lb0EPiS8_S8_S8_NS0_19identity_decomposerEEE10hipError_tT1_T2_T3_T4_jRjT5_jjP12ihipStream_tbEUlT_E_NS1_11comp_targetILNS1_3genE10ELNS1_11target_archE1201ELNS1_3gpuE5ELNS1_3repE0EEENS1_44radix_sort_block_sort_config_static_selectorELNS0_4arch9wavefront6targetE1EEEvSB_: ; @_ZN7rocprim17ROCPRIM_400000_NS6detail17trampoline_kernelINS0_13kernel_configILj256ELj4ELj4294967295EEENS1_37radix_sort_block_sort_config_selectorIiiEEZNS1_21radix_sort_block_sortIS4_Lb0EPiS8_S8_S8_NS0_19identity_decomposerEEE10hipError_tT1_T2_T3_T4_jRjT5_jjP12ihipStream_tbEUlT_E_NS1_11comp_targetILNS1_3genE10ELNS1_11target_archE1201ELNS1_3gpuE5ELNS1_3repE0EEENS1_44radix_sort_block_sort_config_static_selectorELNS0_4arch9wavefront6targetE1EEEvSB_
; %bb.0:
	.section	.rodata,"a",@progbits
	.p2align	6, 0x0
	.amdhsa_kernel _ZN7rocprim17ROCPRIM_400000_NS6detail17trampoline_kernelINS0_13kernel_configILj256ELj4ELj4294967295EEENS1_37radix_sort_block_sort_config_selectorIiiEEZNS1_21radix_sort_block_sortIS4_Lb0EPiS8_S8_S8_NS0_19identity_decomposerEEE10hipError_tT1_T2_T3_T4_jRjT5_jjP12ihipStream_tbEUlT_E_NS1_11comp_targetILNS1_3genE10ELNS1_11target_archE1201ELNS1_3gpuE5ELNS1_3repE0EEENS1_44radix_sort_block_sort_config_static_selectorELNS0_4arch9wavefront6targetE1EEEvSB_
		.amdhsa_group_segment_fixed_size 0
		.amdhsa_private_segment_fixed_size 0
		.amdhsa_kernarg_size 48
		.amdhsa_user_sgpr_count 6
		.amdhsa_user_sgpr_private_segment_buffer 1
		.amdhsa_user_sgpr_dispatch_ptr 0
		.amdhsa_user_sgpr_queue_ptr 0
		.amdhsa_user_sgpr_kernarg_segment_ptr 1
		.amdhsa_user_sgpr_dispatch_id 0
		.amdhsa_user_sgpr_flat_scratch_init 0
		.amdhsa_user_sgpr_kernarg_preload_length 0
		.amdhsa_user_sgpr_kernarg_preload_offset 0
		.amdhsa_user_sgpr_private_segment_size 0
		.amdhsa_uses_dynamic_stack 0
		.amdhsa_system_sgpr_private_segment_wavefront_offset 0
		.amdhsa_system_sgpr_workgroup_id_x 1
		.amdhsa_system_sgpr_workgroup_id_y 0
		.amdhsa_system_sgpr_workgroup_id_z 0
		.amdhsa_system_sgpr_workgroup_info 0
		.amdhsa_system_vgpr_workitem_id 0
		.amdhsa_next_free_vgpr 1
		.amdhsa_next_free_sgpr 0
		.amdhsa_accum_offset 4
		.amdhsa_reserve_vcc 0
		.amdhsa_reserve_flat_scratch 0
		.amdhsa_float_round_mode_32 0
		.amdhsa_float_round_mode_16_64 0
		.amdhsa_float_denorm_mode_32 3
		.amdhsa_float_denorm_mode_16_64 3
		.amdhsa_dx10_clamp 1
		.amdhsa_ieee_mode 1
		.amdhsa_fp16_overflow 0
		.amdhsa_tg_split 0
		.amdhsa_exception_fp_ieee_invalid_op 0
		.amdhsa_exception_fp_denorm_src 0
		.amdhsa_exception_fp_ieee_div_zero 0
		.amdhsa_exception_fp_ieee_overflow 0
		.amdhsa_exception_fp_ieee_underflow 0
		.amdhsa_exception_fp_ieee_inexact 0
		.amdhsa_exception_int_div_zero 0
	.end_amdhsa_kernel
	.section	.text._ZN7rocprim17ROCPRIM_400000_NS6detail17trampoline_kernelINS0_13kernel_configILj256ELj4ELj4294967295EEENS1_37radix_sort_block_sort_config_selectorIiiEEZNS1_21radix_sort_block_sortIS4_Lb0EPiS8_S8_S8_NS0_19identity_decomposerEEE10hipError_tT1_T2_T3_T4_jRjT5_jjP12ihipStream_tbEUlT_E_NS1_11comp_targetILNS1_3genE10ELNS1_11target_archE1201ELNS1_3gpuE5ELNS1_3repE0EEENS1_44radix_sort_block_sort_config_static_selectorELNS0_4arch9wavefront6targetE1EEEvSB_,"axG",@progbits,_ZN7rocprim17ROCPRIM_400000_NS6detail17trampoline_kernelINS0_13kernel_configILj256ELj4ELj4294967295EEENS1_37radix_sort_block_sort_config_selectorIiiEEZNS1_21radix_sort_block_sortIS4_Lb0EPiS8_S8_S8_NS0_19identity_decomposerEEE10hipError_tT1_T2_T3_T4_jRjT5_jjP12ihipStream_tbEUlT_E_NS1_11comp_targetILNS1_3genE10ELNS1_11target_archE1201ELNS1_3gpuE5ELNS1_3repE0EEENS1_44radix_sort_block_sort_config_static_selectorELNS0_4arch9wavefront6targetE1EEEvSB_,comdat
.Lfunc_end288:
	.size	_ZN7rocprim17ROCPRIM_400000_NS6detail17trampoline_kernelINS0_13kernel_configILj256ELj4ELj4294967295EEENS1_37radix_sort_block_sort_config_selectorIiiEEZNS1_21radix_sort_block_sortIS4_Lb0EPiS8_S8_S8_NS0_19identity_decomposerEEE10hipError_tT1_T2_T3_T4_jRjT5_jjP12ihipStream_tbEUlT_E_NS1_11comp_targetILNS1_3genE10ELNS1_11target_archE1201ELNS1_3gpuE5ELNS1_3repE0EEENS1_44radix_sort_block_sort_config_static_selectorELNS0_4arch9wavefront6targetE1EEEvSB_, .Lfunc_end288-_ZN7rocprim17ROCPRIM_400000_NS6detail17trampoline_kernelINS0_13kernel_configILj256ELj4ELj4294967295EEENS1_37radix_sort_block_sort_config_selectorIiiEEZNS1_21radix_sort_block_sortIS4_Lb0EPiS8_S8_S8_NS0_19identity_decomposerEEE10hipError_tT1_T2_T3_T4_jRjT5_jjP12ihipStream_tbEUlT_E_NS1_11comp_targetILNS1_3genE10ELNS1_11target_archE1201ELNS1_3gpuE5ELNS1_3repE0EEENS1_44radix_sort_block_sort_config_static_selectorELNS0_4arch9wavefront6targetE1EEEvSB_
                                        ; -- End function
	.section	.AMDGPU.csdata,"",@progbits
; Kernel info:
; codeLenInByte = 0
; NumSgprs: 4
; NumVgprs: 0
; NumAgprs: 0
; TotalNumVgprs: 0
; ScratchSize: 0
; MemoryBound: 0
; FloatMode: 240
; IeeeMode: 1
; LDSByteSize: 0 bytes/workgroup (compile time only)
; SGPRBlocks: 0
; VGPRBlocks: 0
; NumSGPRsForWavesPerEU: 4
; NumVGPRsForWavesPerEU: 1
; AccumOffset: 4
; Occupancy: 8
; WaveLimiterHint : 0
; COMPUTE_PGM_RSRC2:SCRATCH_EN: 0
; COMPUTE_PGM_RSRC2:USER_SGPR: 6
; COMPUTE_PGM_RSRC2:TRAP_HANDLER: 0
; COMPUTE_PGM_RSRC2:TGID_X_EN: 1
; COMPUTE_PGM_RSRC2:TGID_Y_EN: 0
; COMPUTE_PGM_RSRC2:TGID_Z_EN: 0
; COMPUTE_PGM_RSRC2:TIDIG_COMP_CNT: 0
; COMPUTE_PGM_RSRC3_GFX90A:ACCUM_OFFSET: 0
; COMPUTE_PGM_RSRC3_GFX90A:TG_SPLIT: 0
	.section	.text._ZN7rocprim17ROCPRIM_400000_NS6detail17trampoline_kernelINS0_13kernel_configILj256ELj4ELj4294967295EEENS1_37radix_sort_block_sort_config_selectorIiiEEZNS1_21radix_sort_block_sortIS4_Lb0EPiS8_S8_S8_NS0_19identity_decomposerEEE10hipError_tT1_T2_T3_T4_jRjT5_jjP12ihipStream_tbEUlT_E_NS1_11comp_targetILNS1_3genE10ELNS1_11target_archE1200ELNS1_3gpuE4ELNS1_3repE0EEENS1_44radix_sort_block_sort_config_static_selectorELNS0_4arch9wavefront6targetE1EEEvSB_,"axG",@progbits,_ZN7rocprim17ROCPRIM_400000_NS6detail17trampoline_kernelINS0_13kernel_configILj256ELj4ELj4294967295EEENS1_37radix_sort_block_sort_config_selectorIiiEEZNS1_21radix_sort_block_sortIS4_Lb0EPiS8_S8_S8_NS0_19identity_decomposerEEE10hipError_tT1_T2_T3_T4_jRjT5_jjP12ihipStream_tbEUlT_E_NS1_11comp_targetILNS1_3genE10ELNS1_11target_archE1200ELNS1_3gpuE4ELNS1_3repE0EEENS1_44radix_sort_block_sort_config_static_selectorELNS0_4arch9wavefront6targetE1EEEvSB_,comdat
	.protected	_ZN7rocprim17ROCPRIM_400000_NS6detail17trampoline_kernelINS0_13kernel_configILj256ELj4ELj4294967295EEENS1_37radix_sort_block_sort_config_selectorIiiEEZNS1_21radix_sort_block_sortIS4_Lb0EPiS8_S8_S8_NS0_19identity_decomposerEEE10hipError_tT1_T2_T3_T4_jRjT5_jjP12ihipStream_tbEUlT_E_NS1_11comp_targetILNS1_3genE10ELNS1_11target_archE1200ELNS1_3gpuE4ELNS1_3repE0EEENS1_44radix_sort_block_sort_config_static_selectorELNS0_4arch9wavefront6targetE1EEEvSB_ ; -- Begin function _ZN7rocprim17ROCPRIM_400000_NS6detail17trampoline_kernelINS0_13kernel_configILj256ELj4ELj4294967295EEENS1_37radix_sort_block_sort_config_selectorIiiEEZNS1_21radix_sort_block_sortIS4_Lb0EPiS8_S8_S8_NS0_19identity_decomposerEEE10hipError_tT1_T2_T3_T4_jRjT5_jjP12ihipStream_tbEUlT_E_NS1_11comp_targetILNS1_3genE10ELNS1_11target_archE1200ELNS1_3gpuE4ELNS1_3repE0EEENS1_44radix_sort_block_sort_config_static_selectorELNS0_4arch9wavefront6targetE1EEEvSB_
	.globl	_ZN7rocprim17ROCPRIM_400000_NS6detail17trampoline_kernelINS0_13kernel_configILj256ELj4ELj4294967295EEENS1_37radix_sort_block_sort_config_selectorIiiEEZNS1_21radix_sort_block_sortIS4_Lb0EPiS8_S8_S8_NS0_19identity_decomposerEEE10hipError_tT1_T2_T3_T4_jRjT5_jjP12ihipStream_tbEUlT_E_NS1_11comp_targetILNS1_3genE10ELNS1_11target_archE1200ELNS1_3gpuE4ELNS1_3repE0EEENS1_44radix_sort_block_sort_config_static_selectorELNS0_4arch9wavefront6targetE1EEEvSB_
	.p2align	8
	.type	_ZN7rocprim17ROCPRIM_400000_NS6detail17trampoline_kernelINS0_13kernel_configILj256ELj4ELj4294967295EEENS1_37radix_sort_block_sort_config_selectorIiiEEZNS1_21radix_sort_block_sortIS4_Lb0EPiS8_S8_S8_NS0_19identity_decomposerEEE10hipError_tT1_T2_T3_T4_jRjT5_jjP12ihipStream_tbEUlT_E_NS1_11comp_targetILNS1_3genE10ELNS1_11target_archE1200ELNS1_3gpuE4ELNS1_3repE0EEENS1_44radix_sort_block_sort_config_static_selectorELNS0_4arch9wavefront6targetE1EEEvSB_,@function
_ZN7rocprim17ROCPRIM_400000_NS6detail17trampoline_kernelINS0_13kernel_configILj256ELj4ELj4294967295EEENS1_37radix_sort_block_sort_config_selectorIiiEEZNS1_21radix_sort_block_sortIS4_Lb0EPiS8_S8_S8_NS0_19identity_decomposerEEE10hipError_tT1_T2_T3_T4_jRjT5_jjP12ihipStream_tbEUlT_E_NS1_11comp_targetILNS1_3genE10ELNS1_11target_archE1200ELNS1_3gpuE4ELNS1_3repE0EEENS1_44radix_sort_block_sort_config_static_selectorELNS0_4arch9wavefront6targetE1EEEvSB_: ; @_ZN7rocprim17ROCPRIM_400000_NS6detail17trampoline_kernelINS0_13kernel_configILj256ELj4ELj4294967295EEENS1_37radix_sort_block_sort_config_selectorIiiEEZNS1_21radix_sort_block_sortIS4_Lb0EPiS8_S8_S8_NS0_19identity_decomposerEEE10hipError_tT1_T2_T3_T4_jRjT5_jjP12ihipStream_tbEUlT_E_NS1_11comp_targetILNS1_3genE10ELNS1_11target_archE1200ELNS1_3gpuE4ELNS1_3repE0EEENS1_44radix_sort_block_sort_config_static_selectorELNS0_4arch9wavefront6targetE1EEEvSB_
; %bb.0:
	.section	.rodata,"a",@progbits
	.p2align	6, 0x0
	.amdhsa_kernel _ZN7rocprim17ROCPRIM_400000_NS6detail17trampoline_kernelINS0_13kernel_configILj256ELj4ELj4294967295EEENS1_37radix_sort_block_sort_config_selectorIiiEEZNS1_21radix_sort_block_sortIS4_Lb0EPiS8_S8_S8_NS0_19identity_decomposerEEE10hipError_tT1_T2_T3_T4_jRjT5_jjP12ihipStream_tbEUlT_E_NS1_11comp_targetILNS1_3genE10ELNS1_11target_archE1200ELNS1_3gpuE4ELNS1_3repE0EEENS1_44radix_sort_block_sort_config_static_selectorELNS0_4arch9wavefront6targetE1EEEvSB_
		.amdhsa_group_segment_fixed_size 0
		.amdhsa_private_segment_fixed_size 0
		.amdhsa_kernarg_size 48
		.amdhsa_user_sgpr_count 6
		.amdhsa_user_sgpr_private_segment_buffer 1
		.amdhsa_user_sgpr_dispatch_ptr 0
		.amdhsa_user_sgpr_queue_ptr 0
		.amdhsa_user_sgpr_kernarg_segment_ptr 1
		.amdhsa_user_sgpr_dispatch_id 0
		.amdhsa_user_sgpr_flat_scratch_init 0
		.amdhsa_user_sgpr_kernarg_preload_length 0
		.amdhsa_user_sgpr_kernarg_preload_offset 0
		.amdhsa_user_sgpr_private_segment_size 0
		.amdhsa_uses_dynamic_stack 0
		.amdhsa_system_sgpr_private_segment_wavefront_offset 0
		.amdhsa_system_sgpr_workgroup_id_x 1
		.amdhsa_system_sgpr_workgroup_id_y 0
		.amdhsa_system_sgpr_workgroup_id_z 0
		.amdhsa_system_sgpr_workgroup_info 0
		.amdhsa_system_vgpr_workitem_id 0
		.amdhsa_next_free_vgpr 1
		.amdhsa_next_free_sgpr 0
		.amdhsa_accum_offset 4
		.amdhsa_reserve_vcc 0
		.amdhsa_reserve_flat_scratch 0
		.amdhsa_float_round_mode_32 0
		.amdhsa_float_round_mode_16_64 0
		.amdhsa_float_denorm_mode_32 3
		.amdhsa_float_denorm_mode_16_64 3
		.amdhsa_dx10_clamp 1
		.amdhsa_ieee_mode 1
		.amdhsa_fp16_overflow 0
		.amdhsa_tg_split 0
		.amdhsa_exception_fp_ieee_invalid_op 0
		.amdhsa_exception_fp_denorm_src 0
		.amdhsa_exception_fp_ieee_div_zero 0
		.amdhsa_exception_fp_ieee_overflow 0
		.amdhsa_exception_fp_ieee_underflow 0
		.amdhsa_exception_fp_ieee_inexact 0
		.amdhsa_exception_int_div_zero 0
	.end_amdhsa_kernel
	.section	.text._ZN7rocprim17ROCPRIM_400000_NS6detail17trampoline_kernelINS0_13kernel_configILj256ELj4ELj4294967295EEENS1_37radix_sort_block_sort_config_selectorIiiEEZNS1_21radix_sort_block_sortIS4_Lb0EPiS8_S8_S8_NS0_19identity_decomposerEEE10hipError_tT1_T2_T3_T4_jRjT5_jjP12ihipStream_tbEUlT_E_NS1_11comp_targetILNS1_3genE10ELNS1_11target_archE1200ELNS1_3gpuE4ELNS1_3repE0EEENS1_44radix_sort_block_sort_config_static_selectorELNS0_4arch9wavefront6targetE1EEEvSB_,"axG",@progbits,_ZN7rocprim17ROCPRIM_400000_NS6detail17trampoline_kernelINS0_13kernel_configILj256ELj4ELj4294967295EEENS1_37radix_sort_block_sort_config_selectorIiiEEZNS1_21radix_sort_block_sortIS4_Lb0EPiS8_S8_S8_NS0_19identity_decomposerEEE10hipError_tT1_T2_T3_T4_jRjT5_jjP12ihipStream_tbEUlT_E_NS1_11comp_targetILNS1_3genE10ELNS1_11target_archE1200ELNS1_3gpuE4ELNS1_3repE0EEENS1_44radix_sort_block_sort_config_static_selectorELNS0_4arch9wavefront6targetE1EEEvSB_,comdat
.Lfunc_end289:
	.size	_ZN7rocprim17ROCPRIM_400000_NS6detail17trampoline_kernelINS0_13kernel_configILj256ELj4ELj4294967295EEENS1_37radix_sort_block_sort_config_selectorIiiEEZNS1_21radix_sort_block_sortIS4_Lb0EPiS8_S8_S8_NS0_19identity_decomposerEEE10hipError_tT1_T2_T3_T4_jRjT5_jjP12ihipStream_tbEUlT_E_NS1_11comp_targetILNS1_3genE10ELNS1_11target_archE1200ELNS1_3gpuE4ELNS1_3repE0EEENS1_44radix_sort_block_sort_config_static_selectorELNS0_4arch9wavefront6targetE1EEEvSB_, .Lfunc_end289-_ZN7rocprim17ROCPRIM_400000_NS6detail17trampoline_kernelINS0_13kernel_configILj256ELj4ELj4294967295EEENS1_37radix_sort_block_sort_config_selectorIiiEEZNS1_21radix_sort_block_sortIS4_Lb0EPiS8_S8_S8_NS0_19identity_decomposerEEE10hipError_tT1_T2_T3_T4_jRjT5_jjP12ihipStream_tbEUlT_E_NS1_11comp_targetILNS1_3genE10ELNS1_11target_archE1200ELNS1_3gpuE4ELNS1_3repE0EEENS1_44radix_sort_block_sort_config_static_selectorELNS0_4arch9wavefront6targetE1EEEvSB_
                                        ; -- End function
	.section	.AMDGPU.csdata,"",@progbits
; Kernel info:
; codeLenInByte = 0
; NumSgprs: 4
; NumVgprs: 0
; NumAgprs: 0
; TotalNumVgprs: 0
; ScratchSize: 0
; MemoryBound: 0
; FloatMode: 240
; IeeeMode: 1
; LDSByteSize: 0 bytes/workgroup (compile time only)
; SGPRBlocks: 0
; VGPRBlocks: 0
; NumSGPRsForWavesPerEU: 4
; NumVGPRsForWavesPerEU: 1
; AccumOffset: 4
; Occupancy: 8
; WaveLimiterHint : 0
; COMPUTE_PGM_RSRC2:SCRATCH_EN: 0
; COMPUTE_PGM_RSRC2:USER_SGPR: 6
; COMPUTE_PGM_RSRC2:TRAP_HANDLER: 0
; COMPUTE_PGM_RSRC2:TGID_X_EN: 1
; COMPUTE_PGM_RSRC2:TGID_Y_EN: 0
; COMPUTE_PGM_RSRC2:TGID_Z_EN: 0
; COMPUTE_PGM_RSRC2:TIDIG_COMP_CNT: 0
; COMPUTE_PGM_RSRC3_GFX90A:ACCUM_OFFSET: 0
; COMPUTE_PGM_RSRC3_GFX90A:TG_SPLIT: 0
	.section	.text._ZN7rocprim17ROCPRIM_400000_NS6detail17trampoline_kernelINS0_13kernel_configILj256ELj4ELj4294967295EEENS1_37radix_sort_block_sort_config_selectorIiiEEZNS1_21radix_sort_block_sortIS4_Lb0EPiS8_S8_S8_NS0_19identity_decomposerEEE10hipError_tT1_T2_T3_T4_jRjT5_jjP12ihipStream_tbEUlT_E_NS1_11comp_targetILNS1_3genE9ELNS1_11target_archE1100ELNS1_3gpuE3ELNS1_3repE0EEENS1_44radix_sort_block_sort_config_static_selectorELNS0_4arch9wavefront6targetE1EEEvSB_,"axG",@progbits,_ZN7rocprim17ROCPRIM_400000_NS6detail17trampoline_kernelINS0_13kernel_configILj256ELj4ELj4294967295EEENS1_37radix_sort_block_sort_config_selectorIiiEEZNS1_21radix_sort_block_sortIS4_Lb0EPiS8_S8_S8_NS0_19identity_decomposerEEE10hipError_tT1_T2_T3_T4_jRjT5_jjP12ihipStream_tbEUlT_E_NS1_11comp_targetILNS1_3genE9ELNS1_11target_archE1100ELNS1_3gpuE3ELNS1_3repE0EEENS1_44radix_sort_block_sort_config_static_selectorELNS0_4arch9wavefront6targetE1EEEvSB_,comdat
	.protected	_ZN7rocprim17ROCPRIM_400000_NS6detail17trampoline_kernelINS0_13kernel_configILj256ELj4ELj4294967295EEENS1_37radix_sort_block_sort_config_selectorIiiEEZNS1_21radix_sort_block_sortIS4_Lb0EPiS8_S8_S8_NS0_19identity_decomposerEEE10hipError_tT1_T2_T3_T4_jRjT5_jjP12ihipStream_tbEUlT_E_NS1_11comp_targetILNS1_3genE9ELNS1_11target_archE1100ELNS1_3gpuE3ELNS1_3repE0EEENS1_44radix_sort_block_sort_config_static_selectorELNS0_4arch9wavefront6targetE1EEEvSB_ ; -- Begin function _ZN7rocprim17ROCPRIM_400000_NS6detail17trampoline_kernelINS0_13kernel_configILj256ELj4ELj4294967295EEENS1_37radix_sort_block_sort_config_selectorIiiEEZNS1_21radix_sort_block_sortIS4_Lb0EPiS8_S8_S8_NS0_19identity_decomposerEEE10hipError_tT1_T2_T3_T4_jRjT5_jjP12ihipStream_tbEUlT_E_NS1_11comp_targetILNS1_3genE9ELNS1_11target_archE1100ELNS1_3gpuE3ELNS1_3repE0EEENS1_44radix_sort_block_sort_config_static_selectorELNS0_4arch9wavefront6targetE1EEEvSB_
	.globl	_ZN7rocprim17ROCPRIM_400000_NS6detail17trampoline_kernelINS0_13kernel_configILj256ELj4ELj4294967295EEENS1_37radix_sort_block_sort_config_selectorIiiEEZNS1_21radix_sort_block_sortIS4_Lb0EPiS8_S8_S8_NS0_19identity_decomposerEEE10hipError_tT1_T2_T3_T4_jRjT5_jjP12ihipStream_tbEUlT_E_NS1_11comp_targetILNS1_3genE9ELNS1_11target_archE1100ELNS1_3gpuE3ELNS1_3repE0EEENS1_44radix_sort_block_sort_config_static_selectorELNS0_4arch9wavefront6targetE1EEEvSB_
	.p2align	8
	.type	_ZN7rocprim17ROCPRIM_400000_NS6detail17trampoline_kernelINS0_13kernel_configILj256ELj4ELj4294967295EEENS1_37radix_sort_block_sort_config_selectorIiiEEZNS1_21radix_sort_block_sortIS4_Lb0EPiS8_S8_S8_NS0_19identity_decomposerEEE10hipError_tT1_T2_T3_T4_jRjT5_jjP12ihipStream_tbEUlT_E_NS1_11comp_targetILNS1_3genE9ELNS1_11target_archE1100ELNS1_3gpuE3ELNS1_3repE0EEENS1_44radix_sort_block_sort_config_static_selectorELNS0_4arch9wavefront6targetE1EEEvSB_,@function
_ZN7rocprim17ROCPRIM_400000_NS6detail17trampoline_kernelINS0_13kernel_configILj256ELj4ELj4294967295EEENS1_37radix_sort_block_sort_config_selectorIiiEEZNS1_21radix_sort_block_sortIS4_Lb0EPiS8_S8_S8_NS0_19identity_decomposerEEE10hipError_tT1_T2_T3_T4_jRjT5_jjP12ihipStream_tbEUlT_E_NS1_11comp_targetILNS1_3genE9ELNS1_11target_archE1100ELNS1_3gpuE3ELNS1_3repE0EEENS1_44radix_sort_block_sort_config_static_selectorELNS0_4arch9wavefront6targetE1EEEvSB_: ; @_ZN7rocprim17ROCPRIM_400000_NS6detail17trampoline_kernelINS0_13kernel_configILj256ELj4ELj4294967295EEENS1_37radix_sort_block_sort_config_selectorIiiEEZNS1_21radix_sort_block_sortIS4_Lb0EPiS8_S8_S8_NS0_19identity_decomposerEEE10hipError_tT1_T2_T3_T4_jRjT5_jjP12ihipStream_tbEUlT_E_NS1_11comp_targetILNS1_3genE9ELNS1_11target_archE1100ELNS1_3gpuE3ELNS1_3repE0EEENS1_44radix_sort_block_sort_config_static_selectorELNS0_4arch9wavefront6targetE1EEEvSB_
; %bb.0:
	.section	.rodata,"a",@progbits
	.p2align	6, 0x0
	.amdhsa_kernel _ZN7rocprim17ROCPRIM_400000_NS6detail17trampoline_kernelINS0_13kernel_configILj256ELj4ELj4294967295EEENS1_37radix_sort_block_sort_config_selectorIiiEEZNS1_21radix_sort_block_sortIS4_Lb0EPiS8_S8_S8_NS0_19identity_decomposerEEE10hipError_tT1_T2_T3_T4_jRjT5_jjP12ihipStream_tbEUlT_E_NS1_11comp_targetILNS1_3genE9ELNS1_11target_archE1100ELNS1_3gpuE3ELNS1_3repE0EEENS1_44radix_sort_block_sort_config_static_selectorELNS0_4arch9wavefront6targetE1EEEvSB_
		.amdhsa_group_segment_fixed_size 0
		.amdhsa_private_segment_fixed_size 0
		.amdhsa_kernarg_size 48
		.amdhsa_user_sgpr_count 6
		.amdhsa_user_sgpr_private_segment_buffer 1
		.amdhsa_user_sgpr_dispatch_ptr 0
		.amdhsa_user_sgpr_queue_ptr 0
		.amdhsa_user_sgpr_kernarg_segment_ptr 1
		.amdhsa_user_sgpr_dispatch_id 0
		.amdhsa_user_sgpr_flat_scratch_init 0
		.amdhsa_user_sgpr_kernarg_preload_length 0
		.amdhsa_user_sgpr_kernarg_preload_offset 0
		.amdhsa_user_sgpr_private_segment_size 0
		.amdhsa_uses_dynamic_stack 0
		.amdhsa_system_sgpr_private_segment_wavefront_offset 0
		.amdhsa_system_sgpr_workgroup_id_x 1
		.amdhsa_system_sgpr_workgroup_id_y 0
		.amdhsa_system_sgpr_workgroup_id_z 0
		.amdhsa_system_sgpr_workgroup_info 0
		.amdhsa_system_vgpr_workitem_id 0
		.amdhsa_next_free_vgpr 1
		.amdhsa_next_free_sgpr 0
		.amdhsa_accum_offset 4
		.amdhsa_reserve_vcc 0
		.amdhsa_reserve_flat_scratch 0
		.amdhsa_float_round_mode_32 0
		.amdhsa_float_round_mode_16_64 0
		.amdhsa_float_denorm_mode_32 3
		.amdhsa_float_denorm_mode_16_64 3
		.amdhsa_dx10_clamp 1
		.amdhsa_ieee_mode 1
		.amdhsa_fp16_overflow 0
		.amdhsa_tg_split 0
		.amdhsa_exception_fp_ieee_invalid_op 0
		.amdhsa_exception_fp_denorm_src 0
		.amdhsa_exception_fp_ieee_div_zero 0
		.amdhsa_exception_fp_ieee_overflow 0
		.amdhsa_exception_fp_ieee_underflow 0
		.amdhsa_exception_fp_ieee_inexact 0
		.amdhsa_exception_int_div_zero 0
	.end_amdhsa_kernel
	.section	.text._ZN7rocprim17ROCPRIM_400000_NS6detail17trampoline_kernelINS0_13kernel_configILj256ELj4ELj4294967295EEENS1_37radix_sort_block_sort_config_selectorIiiEEZNS1_21radix_sort_block_sortIS4_Lb0EPiS8_S8_S8_NS0_19identity_decomposerEEE10hipError_tT1_T2_T3_T4_jRjT5_jjP12ihipStream_tbEUlT_E_NS1_11comp_targetILNS1_3genE9ELNS1_11target_archE1100ELNS1_3gpuE3ELNS1_3repE0EEENS1_44radix_sort_block_sort_config_static_selectorELNS0_4arch9wavefront6targetE1EEEvSB_,"axG",@progbits,_ZN7rocprim17ROCPRIM_400000_NS6detail17trampoline_kernelINS0_13kernel_configILj256ELj4ELj4294967295EEENS1_37radix_sort_block_sort_config_selectorIiiEEZNS1_21radix_sort_block_sortIS4_Lb0EPiS8_S8_S8_NS0_19identity_decomposerEEE10hipError_tT1_T2_T3_T4_jRjT5_jjP12ihipStream_tbEUlT_E_NS1_11comp_targetILNS1_3genE9ELNS1_11target_archE1100ELNS1_3gpuE3ELNS1_3repE0EEENS1_44radix_sort_block_sort_config_static_selectorELNS0_4arch9wavefront6targetE1EEEvSB_,comdat
.Lfunc_end290:
	.size	_ZN7rocprim17ROCPRIM_400000_NS6detail17trampoline_kernelINS0_13kernel_configILj256ELj4ELj4294967295EEENS1_37radix_sort_block_sort_config_selectorIiiEEZNS1_21radix_sort_block_sortIS4_Lb0EPiS8_S8_S8_NS0_19identity_decomposerEEE10hipError_tT1_T2_T3_T4_jRjT5_jjP12ihipStream_tbEUlT_E_NS1_11comp_targetILNS1_3genE9ELNS1_11target_archE1100ELNS1_3gpuE3ELNS1_3repE0EEENS1_44radix_sort_block_sort_config_static_selectorELNS0_4arch9wavefront6targetE1EEEvSB_, .Lfunc_end290-_ZN7rocprim17ROCPRIM_400000_NS6detail17trampoline_kernelINS0_13kernel_configILj256ELj4ELj4294967295EEENS1_37radix_sort_block_sort_config_selectorIiiEEZNS1_21radix_sort_block_sortIS4_Lb0EPiS8_S8_S8_NS0_19identity_decomposerEEE10hipError_tT1_T2_T3_T4_jRjT5_jjP12ihipStream_tbEUlT_E_NS1_11comp_targetILNS1_3genE9ELNS1_11target_archE1100ELNS1_3gpuE3ELNS1_3repE0EEENS1_44radix_sort_block_sort_config_static_selectorELNS0_4arch9wavefront6targetE1EEEvSB_
                                        ; -- End function
	.section	.AMDGPU.csdata,"",@progbits
; Kernel info:
; codeLenInByte = 0
; NumSgprs: 4
; NumVgprs: 0
; NumAgprs: 0
; TotalNumVgprs: 0
; ScratchSize: 0
; MemoryBound: 0
; FloatMode: 240
; IeeeMode: 1
; LDSByteSize: 0 bytes/workgroup (compile time only)
; SGPRBlocks: 0
; VGPRBlocks: 0
; NumSGPRsForWavesPerEU: 4
; NumVGPRsForWavesPerEU: 1
; AccumOffset: 4
; Occupancy: 8
; WaveLimiterHint : 0
; COMPUTE_PGM_RSRC2:SCRATCH_EN: 0
; COMPUTE_PGM_RSRC2:USER_SGPR: 6
; COMPUTE_PGM_RSRC2:TRAP_HANDLER: 0
; COMPUTE_PGM_RSRC2:TGID_X_EN: 1
; COMPUTE_PGM_RSRC2:TGID_Y_EN: 0
; COMPUTE_PGM_RSRC2:TGID_Z_EN: 0
; COMPUTE_PGM_RSRC2:TIDIG_COMP_CNT: 0
; COMPUTE_PGM_RSRC3_GFX90A:ACCUM_OFFSET: 0
; COMPUTE_PGM_RSRC3_GFX90A:TG_SPLIT: 0
	.section	.text._ZN7rocprim17ROCPRIM_400000_NS6detail17trampoline_kernelINS0_13kernel_configILj256ELj4ELj4294967295EEENS1_37radix_sort_block_sort_config_selectorIiiEEZNS1_21radix_sort_block_sortIS4_Lb0EPiS8_S8_S8_NS0_19identity_decomposerEEE10hipError_tT1_T2_T3_T4_jRjT5_jjP12ihipStream_tbEUlT_E_NS1_11comp_targetILNS1_3genE8ELNS1_11target_archE1030ELNS1_3gpuE2ELNS1_3repE0EEENS1_44radix_sort_block_sort_config_static_selectorELNS0_4arch9wavefront6targetE1EEEvSB_,"axG",@progbits,_ZN7rocprim17ROCPRIM_400000_NS6detail17trampoline_kernelINS0_13kernel_configILj256ELj4ELj4294967295EEENS1_37radix_sort_block_sort_config_selectorIiiEEZNS1_21radix_sort_block_sortIS4_Lb0EPiS8_S8_S8_NS0_19identity_decomposerEEE10hipError_tT1_T2_T3_T4_jRjT5_jjP12ihipStream_tbEUlT_E_NS1_11comp_targetILNS1_3genE8ELNS1_11target_archE1030ELNS1_3gpuE2ELNS1_3repE0EEENS1_44radix_sort_block_sort_config_static_selectorELNS0_4arch9wavefront6targetE1EEEvSB_,comdat
	.protected	_ZN7rocprim17ROCPRIM_400000_NS6detail17trampoline_kernelINS0_13kernel_configILj256ELj4ELj4294967295EEENS1_37radix_sort_block_sort_config_selectorIiiEEZNS1_21radix_sort_block_sortIS4_Lb0EPiS8_S8_S8_NS0_19identity_decomposerEEE10hipError_tT1_T2_T3_T4_jRjT5_jjP12ihipStream_tbEUlT_E_NS1_11comp_targetILNS1_3genE8ELNS1_11target_archE1030ELNS1_3gpuE2ELNS1_3repE0EEENS1_44radix_sort_block_sort_config_static_selectorELNS0_4arch9wavefront6targetE1EEEvSB_ ; -- Begin function _ZN7rocprim17ROCPRIM_400000_NS6detail17trampoline_kernelINS0_13kernel_configILj256ELj4ELj4294967295EEENS1_37radix_sort_block_sort_config_selectorIiiEEZNS1_21radix_sort_block_sortIS4_Lb0EPiS8_S8_S8_NS0_19identity_decomposerEEE10hipError_tT1_T2_T3_T4_jRjT5_jjP12ihipStream_tbEUlT_E_NS1_11comp_targetILNS1_3genE8ELNS1_11target_archE1030ELNS1_3gpuE2ELNS1_3repE0EEENS1_44radix_sort_block_sort_config_static_selectorELNS0_4arch9wavefront6targetE1EEEvSB_
	.globl	_ZN7rocprim17ROCPRIM_400000_NS6detail17trampoline_kernelINS0_13kernel_configILj256ELj4ELj4294967295EEENS1_37radix_sort_block_sort_config_selectorIiiEEZNS1_21radix_sort_block_sortIS4_Lb0EPiS8_S8_S8_NS0_19identity_decomposerEEE10hipError_tT1_T2_T3_T4_jRjT5_jjP12ihipStream_tbEUlT_E_NS1_11comp_targetILNS1_3genE8ELNS1_11target_archE1030ELNS1_3gpuE2ELNS1_3repE0EEENS1_44radix_sort_block_sort_config_static_selectorELNS0_4arch9wavefront6targetE1EEEvSB_
	.p2align	8
	.type	_ZN7rocprim17ROCPRIM_400000_NS6detail17trampoline_kernelINS0_13kernel_configILj256ELj4ELj4294967295EEENS1_37radix_sort_block_sort_config_selectorIiiEEZNS1_21radix_sort_block_sortIS4_Lb0EPiS8_S8_S8_NS0_19identity_decomposerEEE10hipError_tT1_T2_T3_T4_jRjT5_jjP12ihipStream_tbEUlT_E_NS1_11comp_targetILNS1_3genE8ELNS1_11target_archE1030ELNS1_3gpuE2ELNS1_3repE0EEENS1_44radix_sort_block_sort_config_static_selectorELNS0_4arch9wavefront6targetE1EEEvSB_,@function
_ZN7rocprim17ROCPRIM_400000_NS6detail17trampoline_kernelINS0_13kernel_configILj256ELj4ELj4294967295EEENS1_37radix_sort_block_sort_config_selectorIiiEEZNS1_21radix_sort_block_sortIS4_Lb0EPiS8_S8_S8_NS0_19identity_decomposerEEE10hipError_tT1_T2_T3_T4_jRjT5_jjP12ihipStream_tbEUlT_E_NS1_11comp_targetILNS1_3genE8ELNS1_11target_archE1030ELNS1_3gpuE2ELNS1_3repE0EEENS1_44radix_sort_block_sort_config_static_selectorELNS0_4arch9wavefront6targetE1EEEvSB_: ; @_ZN7rocprim17ROCPRIM_400000_NS6detail17trampoline_kernelINS0_13kernel_configILj256ELj4ELj4294967295EEENS1_37radix_sort_block_sort_config_selectorIiiEEZNS1_21radix_sort_block_sortIS4_Lb0EPiS8_S8_S8_NS0_19identity_decomposerEEE10hipError_tT1_T2_T3_T4_jRjT5_jjP12ihipStream_tbEUlT_E_NS1_11comp_targetILNS1_3genE8ELNS1_11target_archE1030ELNS1_3gpuE2ELNS1_3repE0EEENS1_44radix_sort_block_sort_config_static_selectorELNS0_4arch9wavefront6targetE1EEEvSB_
; %bb.0:
	.section	.rodata,"a",@progbits
	.p2align	6, 0x0
	.amdhsa_kernel _ZN7rocprim17ROCPRIM_400000_NS6detail17trampoline_kernelINS0_13kernel_configILj256ELj4ELj4294967295EEENS1_37radix_sort_block_sort_config_selectorIiiEEZNS1_21radix_sort_block_sortIS4_Lb0EPiS8_S8_S8_NS0_19identity_decomposerEEE10hipError_tT1_T2_T3_T4_jRjT5_jjP12ihipStream_tbEUlT_E_NS1_11comp_targetILNS1_3genE8ELNS1_11target_archE1030ELNS1_3gpuE2ELNS1_3repE0EEENS1_44radix_sort_block_sort_config_static_selectorELNS0_4arch9wavefront6targetE1EEEvSB_
		.amdhsa_group_segment_fixed_size 0
		.amdhsa_private_segment_fixed_size 0
		.amdhsa_kernarg_size 48
		.amdhsa_user_sgpr_count 6
		.amdhsa_user_sgpr_private_segment_buffer 1
		.amdhsa_user_sgpr_dispatch_ptr 0
		.amdhsa_user_sgpr_queue_ptr 0
		.amdhsa_user_sgpr_kernarg_segment_ptr 1
		.amdhsa_user_sgpr_dispatch_id 0
		.amdhsa_user_sgpr_flat_scratch_init 0
		.amdhsa_user_sgpr_kernarg_preload_length 0
		.amdhsa_user_sgpr_kernarg_preload_offset 0
		.amdhsa_user_sgpr_private_segment_size 0
		.amdhsa_uses_dynamic_stack 0
		.amdhsa_system_sgpr_private_segment_wavefront_offset 0
		.amdhsa_system_sgpr_workgroup_id_x 1
		.amdhsa_system_sgpr_workgroup_id_y 0
		.amdhsa_system_sgpr_workgroup_id_z 0
		.amdhsa_system_sgpr_workgroup_info 0
		.amdhsa_system_vgpr_workitem_id 0
		.amdhsa_next_free_vgpr 1
		.amdhsa_next_free_sgpr 0
		.amdhsa_accum_offset 4
		.amdhsa_reserve_vcc 0
		.amdhsa_reserve_flat_scratch 0
		.amdhsa_float_round_mode_32 0
		.amdhsa_float_round_mode_16_64 0
		.amdhsa_float_denorm_mode_32 3
		.amdhsa_float_denorm_mode_16_64 3
		.amdhsa_dx10_clamp 1
		.amdhsa_ieee_mode 1
		.amdhsa_fp16_overflow 0
		.amdhsa_tg_split 0
		.amdhsa_exception_fp_ieee_invalid_op 0
		.amdhsa_exception_fp_denorm_src 0
		.amdhsa_exception_fp_ieee_div_zero 0
		.amdhsa_exception_fp_ieee_overflow 0
		.amdhsa_exception_fp_ieee_underflow 0
		.amdhsa_exception_fp_ieee_inexact 0
		.amdhsa_exception_int_div_zero 0
	.end_amdhsa_kernel
	.section	.text._ZN7rocprim17ROCPRIM_400000_NS6detail17trampoline_kernelINS0_13kernel_configILj256ELj4ELj4294967295EEENS1_37radix_sort_block_sort_config_selectorIiiEEZNS1_21radix_sort_block_sortIS4_Lb0EPiS8_S8_S8_NS0_19identity_decomposerEEE10hipError_tT1_T2_T3_T4_jRjT5_jjP12ihipStream_tbEUlT_E_NS1_11comp_targetILNS1_3genE8ELNS1_11target_archE1030ELNS1_3gpuE2ELNS1_3repE0EEENS1_44radix_sort_block_sort_config_static_selectorELNS0_4arch9wavefront6targetE1EEEvSB_,"axG",@progbits,_ZN7rocprim17ROCPRIM_400000_NS6detail17trampoline_kernelINS0_13kernel_configILj256ELj4ELj4294967295EEENS1_37radix_sort_block_sort_config_selectorIiiEEZNS1_21radix_sort_block_sortIS4_Lb0EPiS8_S8_S8_NS0_19identity_decomposerEEE10hipError_tT1_T2_T3_T4_jRjT5_jjP12ihipStream_tbEUlT_E_NS1_11comp_targetILNS1_3genE8ELNS1_11target_archE1030ELNS1_3gpuE2ELNS1_3repE0EEENS1_44radix_sort_block_sort_config_static_selectorELNS0_4arch9wavefront6targetE1EEEvSB_,comdat
.Lfunc_end291:
	.size	_ZN7rocprim17ROCPRIM_400000_NS6detail17trampoline_kernelINS0_13kernel_configILj256ELj4ELj4294967295EEENS1_37radix_sort_block_sort_config_selectorIiiEEZNS1_21radix_sort_block_sortIS4_Lb0EPiS8_S8_S8_NS0_19identity_decomposerEEE10hipError_tT1_T2_T3_T4_jRjT5_jjP12ihipStream_tbEUlT_E_NS1_11comp_targetILNS1_3genE8ELNS1_11target_archE1030ELNS1_3gpuE2ELNS1_3repE0EEENS1_44radix_sort_block_sort_config_static_selectorELNS0_4arch9wavefront6targetE1EEEvSB_, .Lfunc_end291-_ZN7rocprim17ROCPRIM_400000_NS6detail17trampoline_kernelINS0_13kernel_configILj256ELj4ELj4294967295EEENS1_37radix_sort_block_sort_config_selectorIiiEEZNS1_21radix_sort_block_sortIS4_Lb0EPiS8_S8_S8_NS0_19identity_decomposerEEE10hipError_tT1_T2_T3_T4_jRjT5_jjP12ihipStream_tbEUlT_E_NS1_11comp_targetILNS1_3genE8ELNS1_11target_archE1030ELNS1_3gpuE2ELNS1_3repE0EEENS1_44radix_sort_block_sort_config_static_selectorELNS0_4arch9wavefront6targetE1EEEvSB_
                                        ; -- End function
	.section	.AMDGPU.csdata,"",@progbits
; Kernel info:
; codeLenInByte = 0
; NumSgprs: 4
; NumVgprs: 0
; NumAgprs: 0
; TotalNumVgprs: 0
; ScratchSize: 0
; MemoryBound: 0
; FloatMode: 240
; IeeeMode: 1
; LDSByteSize: 0 bytes/workgroup (compile time only)
; SGPRBlocks: 0
; VGPRBlocks: 0
; NumSGPRsForWavesPerEU: 4
; NumVGPRsForWavesPerEU: 1
; AccumOffset: 4
; Occupancy: 8
; WaveLimiterHint : 0
; COMPUTE_PGM_RSRC2:SCRATCH_EN: 0
; COMPUTE_PGM_RSRC2:USER_SGPR: 6
; COMPUTE_PGM_RSRC2:TRAP_HANDLER: 0
; COMPUTE_PGM_RSRC2:TGID_X_EN: 1
; COMPUTE_PGM_RSRC2:TGID_Y_EN: 0
; COMPUTE_PGM_RSRC2:TGID_Z_EN: 0
; COMPUTE_PGM_RSRC2:TIDIG_COMP_CNT: 0
; COMPUTE_PGM_RSRC3_GFX90A:ACCUM_OFFSET: 0
; COMPUTE_PGM_RSRC3_GFX90A:TG_SPLIT: 0
	.section	.text._ZN7rocprim17ROCPRIM_400000_NS6detail44device_merge_sort_compile_time_verifier_archINS1_11comp_targetILNS1_3genE0ELNS1_11target_archE4294967295ELNS1_3gpuE0ELNS1_3repE0EEES8_NS1_28merge_sort_block_sort_configILj256ELj4ELNS0_20block_sort_algorithmE0EEENS0_14default_configENS1_37merge_sort_block_sort_config_selectorIiiEENS1_38merge_sort_block_merge_config_selectorIiiEEEEvv,"axG",@progbits,_ZN7rocprim17ROCPRIM_400000_NS6detail44device_merge_sort_compile_time_verifier_archINS1_11comp_targetILNS1_3genE0ELNS1_11target_archE4294967295ELNS1_3gpuE0ELNS1_3repE0EEES8_NS1_28merge_sort_block_sort_configILj256ELj4ELNS0_20block_sort_algorithmE0EEENS0_14default_configENS1_37merge_sort_block_sort_config_selectorIiiEENS1_38merge_sort_block_merge_config_selectorIiiEEEEvv,comdat
	.protected	_ZN7rocprim17ROCPRIM_400000_NS6detail44device_merge_sort_compile_time_verifier_archINS1_11comp_targetILNS1_3genE0ELNS1_11target_archE4294967295ELNS1_3gpuE0ELNS1_3repE0EEES8_NS1_28merge_sort_block_sort_configILj256ELj4ELNS0_20block_sort_algorithmE0EEENS0_14default_configENS1_37merge_sort_block_sort_config_selectorIiiEENS1_38merge_sort_block_merge_config_selectorIiiEEEEvv ; -- Begin function _ZN7rocprim17ROCPRIM_400000_NS6detail44device_merge_sort_compile_time_verifier_archINS1_11comp_targetILNS1_3genE0ELNS1_11target_archE4294967295ELNS1_3gpuE0ELNS1_3repE0EEES8_NS1_28merge_sort_block_sort_configILj256ELj4ELNS0_20block_sort_algorithmE0EEENS0_14default_configENS1_37merge_sort_block_sort_config_selectorIiiEENS1_38merge_sort_block_merge_config_selectorIiiEEEEvv
	.globl	_ZN7rocprim17ROCPRIM_400000_NS6detail44device_merge_sort_compile_time_verifier_archINS1_11comp_targetILNS1_3genE0ELNS1_11target_archE4294967295ELNS1_3gpuE0ELNS1_3repE0EEES8_NS1_28merge_sort_block_sort_configILj256ELj4ELNS0_20block_sort_algorithmE0EEENS0_14default_configENS1_37merge_sort_block_sort_config_selectorIiiEENS1_38merge_sort_block_merge_config_selectorIiiEEEEvv
	.p2align	8
	.type	_ZN7rocprim17ROCPRIM_400000_NS6detail44device_merge_sort_compile_time_verifier_archINS1_11comp_targetILNS1_3genE0ELNS1_11target_archE4294967295ELNS1_3gpuE0ELNS1_3repE0EEES8_NS1_28merge_sort_block_sort_configILj256ELj4ELNS0_20block_sort_algorithmE0EEENS0_14default_configENS1_37merge_sort_block_sort_config_selectorIiiEENS1_38merge_sort_block_merge_config_selectorIiiEEEEvv,@function
_ZN7rocprim17ROCPRIM_400000_NS6detail44device_merge_sort_compile_time_verifier_archINS1_11comp_targetILNS1_3genE0ELNS1_11target_archE4294967295ELNS1_3gpuE0ELNS1_3repE0EEES8_NS1_28merge_sort_block_sort_configILj256ELj4ELNS0_20block_sort_algorithmE0EEENS0_14default_configENS1_37merge_sort_block_sort_config_selectorIiiEENS1_38merge_sort_block_merge_config_selectorIiiEEEEvv: ; @_ZN7rocprim17ROCPRIM_400000_NS6detail44device_merge_sort_compile_time_verifier_archINS1_11comp_targetILNS1_3genE0ELNS1_11target_archE4294967295ELNS1_3gpuE0ELNS1_3repE0EEES8_NS1_28merge_sort_block_sort_configILj256ELj4ELNS0_20block_sort_algorithmE0EEENS0_14default_configENS1_37merge_sort_block_sort_config_selectorIiiEENS1_38merge_sort_block_merge_config_selectorIiiEEEEvv
; %bb.0:
	s_endpgm
	.section	.rodata,"a",@progbits
	.p2align	6, 0x0
	.amdhsa_kernel _ZN7rocprim17ROCPRIM_400000_NS6detail44device_merge_sort_compile_time_verifier_archINS1_11comp_targetILNS1_3genE0ELNS1_11target_archE4294967295ELNS1_3gpuE0ELNS1_3repE0EEES8_NS1_28merge_sort_block_sort_configILj256ELj4ELNS0_20block_sort_algorithmE0EEENS0_14default_configENS1_37merge_sort_block_sort_config_selectorIiiEENS1_38merge_sort_block_merge_config_selectorIiiEEEEvv
		.amdhsa_group_segment_fixed_size 0
		.amdhsa_private_segment_fixed_size 0
		.amdhsa_kernarg_size 0
		.amdhsa_user_sgpr_count 4
		.amdhsa_user_sgpr_private_segment_buffer 1
		.amdhsa_user_sgpr_dispatch_ptr 0
		.amdhsa_user_sgpr_queue_ptr 0
		.amdhsa_user_sgpr_kernarg_segment_ptr 0
		.amdhsa_user_sgpr_dispatch_id 0
		.amdhsa_user_sgpr_flat_scratch_init 0
		.amdhsa_user_sgpr_kernarg_preload_length 0
		.amdhsa_user_sgpr_kernarg_preload_offset 0
		.amdhsa_user_sgpr_private_segment_size 0
		.amdhsa_uses_dynamic_stack 0
		.amdhsa_system_sgpr_private_segment_wavefront_offset 0
		.amdhsa_system_sgpr_workgroup_id_x 1
		.amdhsa_system_sgpr_workgroup_id_y 0
		.amdhsa_system_sgpr_workgroup_id_z 0
		.amdhsa_system_sgpr_workgroup_info 0
		.amdhsa_system_vgpr_workitem_id 0
		.amdhsa_next_free_vgpr 1
		.amdhsa_next_free_sgpr 0
		.amdhsa_accum_offset 4
		.amdhsa_reserve_vcc 0
		.amdhsa_reserve_flat_scratch 0
		.amdhsa_float_round_mode_32 0
		.amdhsa_float_round_mode_16_64 0
		.amdhsa_float_denorm_mode_32 3
		.amdhsa_float_denorm_mode_16_64 3
		.amdhsa_dx10_clamp 1
		.amdhsa_ieee_mode 1
		.amdhsa_fp16_overflow 0
		.amdhsa_tg_split 0
		.amdhsa_exception_fp_ieee_invalid_op 0
		.amdhsa_exception_fp_denorm_src 0
		.amdhsa_exception_fp_ieee_div_zero 0
		.amdhsa_exception_fp_ieee_overflow 0
		.amdhsa_exception_fp_ieee_underflow 0
		.amdhsa_exception_fp_ieee_inexact 0
		.amdhsa_exception_int_div_zero 0
	.end_amdhsa_kernel
	.section	.text._ZN7rocprim17ROCPRIM_400000_NS6detail44device_merge_sort_compile_time_verifier_archINS1_11comp_targetILNS1_3genE0ELNS1_11target_archE4294967295ELNS1_3gpuE0ELNS1_3repE0EEES8_NS1_28merge_sort_block_sort_configILj256ELj4ELNS0_20block_sort_algorithmE0EEENS0_14default_configENS1_37merge_sort_block_sort_config_selectorIiiEENS1_38merge_sort_block_merge_config_selectorIiiEEEEvv,"axG",@progbits,_ZN7rocprim17ROCPRIM_400000_NS6detail44device_merge_sort_compile_time_verifier_archINS1_11comp_targetILNS1_3genE0ELNS1_11target_archE4294967295ELNS1_3gpuE0ELNS1_3repE0EEES8_NS1_28merge_sort_block_sort_configILj256ELj4ELNS0_20block_sort_algorithmE0EEENS0_14default_configENS1_37merge_sort_block_sort_config_selectorIiiEENS1_38merge_sort_block_merge_config_selectorIiiEEEEvv,comdat
.Lfunc_end292:
	.size	_ZN7rocprim17ROCPRIM_400000_NS6detail44device_merge_sort_compile_time_verifier_archINS1_11comp_targetILNS1_3genE0ELNS1_11target_archE4294967295ELNS1_3gpuE0ELNS1_3repE0EEES8_NS1_28merge_sort_block_sort_configILj256ELj4ELNS0_20block_sort_algorithmE0EEENS0_14default_configENS1_37merge_sort_block_sort_config_selectorIiiEENS1_38merge_sort_block_merge_config_selectorIiiEEEEvv, .Lfunc_end292-_ZN7rocprim17ROCPRIM_400000_NS6detail44device_merge_sort_compile_time_verifier_archINS1_11comp_targetILNS1_3genE0ELNS1_11target_archE4294967295ELNS1_3gpuE0ELNS1_3repE0EEES8_NS1_28merge_sort_block_sort_configILj256ELj4ELNS0_20block_sort_algorithmE0EEENS0_14default_configENS1_37merge_sort_block_sort_config_selectorIiiEENS1_38merge_sort_block_merge_config_selectorIiiEEEEvv
                                        ; -- End function
	.section	.AMDGPU.csdata,"",@progbits
; Kernel info:
; codeLenInByte = 4
; NumSgprs: 4
; NumVgprs: 0
; NumAgprs: 0
; TotalNumVgprs: 0
; ScratchSize: 0
; MemoryBound: 0
; FloatMode: 240
; IeeeMode: 1
; LDSByteSize: 0 bytes/workgroup (compile time only)
; SGPRBlocks: 0
; VGPRBlocks: 0
; NumSGPRsForWavesPerEU: 4
; NumVGPRsForWavesPerEU: 1
; AccumOffset: 4
; Occupancy: 8
; WaveLimiterHint : 0
; COMPUTE_PGM_RSRC2:SCRATCH_EN: 0
; COMPUTE_PGM_RSRC2:USER_SGPR: 4
; COMPUTE_PGM_RSRC2:TRAP_HANDLER: 0
; COMPUTE_PGM_RSRC2:TGID_X_EN: 1
; COMPUTE_PGM_RSRC2:TGID_Y_EN: 0
; COMPUTE_PGM_RSRC2:TGID_Z_EN: 0
; COMPUTE_PGM_RSRC2:TIDIG_COMP_CNT: 0
; COMPUTE_PGM_RSRC3_GFX90A:ACCUM_OFFSET: 0
; COMPUTE_PGM_RSRC3_GFX90A:TG_SPLIT: 0
	.section	.text._ZN7rocprim17ROCPRIM_400000_NS6detail44device_merge_sort_compile_time_verifier_archINS1_11comp_targetILNS1_3genE5ELNS1_11target_archE942ELNS1_3gpuE9ELNS1_3repE0EEES8_NS1_28merge_sort_block_sort_configILj256ELj4ELNS0_20block_sort_algorithmE0EEENS0_14default_configENS1_37merge_sort_block_sort_config_selectorIiiEENS1_38merge_sort_block_merge_config_selectorIiiEEEEvv,"axG",@progbits,_ZN7rocprim17ROCPRIM_400000_NS6detail44device_merge_sort_compile_time_verifier_archINS1_11comp_targetILNS1_3genE5ELNS1_11target_archE942ELNS1_3gpuE9ELNS1_3repE0EEES8_NS1_28merge_sort_block_sort_configILj256ELj4ELNS0_20block_sort_algorithmE0EEENS0_14default_configENS1_37merge_sort_block_sort_config_selectorIiiEENS1_38merge_sort_block_merge_config_selectorIiiEEEEvv,comdat
	.protected	_ZN7rocprim17ROCPRIM_400000_NS6detail44device_merge_sort_compile_time_verifier_archINS1_11comp_targetILNS1_3genE5ELNS1_11target_archE942ELNS1_3gpuE9ELNS1_3repE0EEES8_NS1_28merge_sort_block_sort_configILj256ELj4ELNS0_20block_sort_algorithmE0EEENS0_14default_configENS1_37merge_sort_block_sort_config_selectorIiiEENS1_38merge_sort_block_merge_config_selectorIiiEEEEvv ; -- Begin function _ZN7rocprim17ROCPRIM_400000_NS6detail44device_merge_sort_compile_time_verifier_archINS1_11comp_targetILNS1_3genE5ELNS1_11target_archE942ELNS1_3gpuE9ELNS1_3repE0EEES8_NS1_28merge_sort_block_sort_configILj256ELj4ELNS0_20block_sort_algorithmE0EEENS0_14default_configENS1_37merge_sort_block_sort_config_selectorIiiEENS1_38merge_sort_block_merge_config_selectorIiiEEEEvv
	.globl	_ZN7rocprim17ROCPRIM_400000_NS6detail44device_merge_sort_compile_time_verifier_archINS1_11comp_targetILNS1_3genE5ELNS1_11target_archE942ELNS1_3gpuE9ELNS1_3repE0EEES8_NS1_28merge_sort_block_sort_configILj256ELj4ELNS0_20block_sort_algorithmE0EEENS0_14default_configENS1_37merge_sort_block_sort_config_selectorIiiEENS1_38merge_sort_block_merge_config_selectorIiiEEEEvv
	.p2align	8
	.type	_ZN7rocprim17ROCPRIM_400000_NS6detail44device_merge_sort_compile_time_verifier_archINS1_11comp_targetILNS1_3genE5ELNS1_11target_archE942ELNS1_3gpuE9ELNS1_3repE0EEES8_NS1_28merge_sort_block_sort_configILj256ELj4ELNS0_20block_sort_algorithmE0EEENS0_14default_configENS1_37merge_sort_block_sort_config_selectorIiiEENS1_38merge_sort_block_merge_config_selectorIiiEEEEvv,@function
_ZN7rocprim17ROCPRIM_400000_NS6detail44device_merge_sort_compile_time_verifier_archINS1_11comp_targetILNS1_3genE5ELNS1_11target_archE942ELNS1_3gpuE9ELNS1_3repE0EEES8_NS1_28merge_sort_block_sort_configILj256ELj4ELNS0_20block_sort_algorithmE0EEENS0_14default_configENS1_37merge_sort_block_sort_config_selectorIiiEENS1_38merge_sort_block_merge_config_selectorIiiEEEEvv: ; @_ZN7rocprim17ROCPRIM_400000_NS6detail44device_merge_sort_compile_time_verifier_archINS1_11comp_targetILNS1_3genE5ELNS1_11target_archE942ELNS1_3gpuE9ELNS1_3repE0EEES8_NS1_28merge_sort_block_sort_configILj256ELj4ELNS0_20block_sort_algorithmE0EEENS0_14default_configENS1_37merge_sort_block_sort_config_selectorIiiEENS1_38merge_sort_block_merge_config_selectorIiiEEEEvv
; %bb.0:
	s_endpgm
	.section	.rodata,"a",@progbits
	.p2align	6, 0x0
	.amdhsa_kernel _ZN7rocprim17ROCPRIM_400000_NS6detail44device_merge_sort_compile_time_verifier_archINS1_11comp_targetILNS1_3genE5ELNS1_11target_archE942ELNS1_3gpuE9ELNS1_3repE0EEES8_NS1_28merge_sort_block_sort_configILj256ELj4ELNS0_20block_sort_algorithmE0EEENS0_14default_configENS1_37merge_sort_block_sort_config_selectorIiiEENS1_38merge_sort_block_merge_config_selectorIiiEEEEvv
		.amdhsa_group_segment_fixed_size 0
		.amdhsa_private_segment_fixed_size 0
		.amdhsa_kernarg_size 0
		.amdhsa_user_sgpr_count 4
		.amdhsa_user_sgpr_private_segment_buffer 1
		.amdhsa_user_sgpr_dispatch_ptr 0
		.amdhsa_user_sgpr_queue_ptr 0
		.amdhsa_user_sgpr_kernarg_segment_ptr 0
		.amdhsa_user_sgpr_dispatch_id 0
		.amdhsa_user_sgpr_flat_scratch_init 0
		.amdhsa_user_sgpr_kernarg_preload_length 0
		.amdhsa_user_sgpr_kernarg_preload_offset 0
		.amdhsa_user_sgpr_private_segment_size 0
		.amdhsa_uses_dynamic_stack 0
		.amdhsa_system_sgpr_private_segment_wavefront_offset 0
		.amdhsa_system_sgpr_workgroup_id_x 1
		.amdhsa_system_sgpr_workgroup_id_y 0
		.amdhsa_system_sgpr_workgroup_id_z 0
		.amdhsa_system_sgpr_workgroup_info 0
		.amdhsa_system_vgpr_workitem_id 0
		.amdhsa_next_free_vgpr 1
		.amdhsa_next_free_sgpr 0
		.amdhsa_accum_offset 4
		.amdhsa_reserve_vcc 0
		.amdhsa_reserve_flat_scratch 0
		.amdhsa_float_round_mode_32 0
		.amdhsa_float_round_mode_16_64 0
		.amdhsa_float_denorm_mode_32 3
		.amdhsa_float_denorm_mode_16_64 3
		.amdhsa_dx10_clamp 1
		.amdhsa_ieee_mode 1
		.amdhsa_fp16_overflow 0
		.amdhsa_tg_split 0
		.amdhsa_exception_fp_ieee_invalid_op 0
		.amdhsa_exception_fp_denorm_src 0
		.amdhsa_exception_fp_ieee_div_zero 0
		.amdhsa_exception_fp_ieee_overflow 0
		.amdhsa_exception_fp_ieee_underflow 0
		.amdhsa_exception_fp_ieee_inexact 0
		.amdhsa_exception_int_div_zero 0
	.end_amdhsa_kernel
	.section	.text._ZN7rocprim17ROCPRIM_400000_NS6detail44device_merge_sort_compile_time_verifier_archINS1_11comp_targetILNS1_3genE5ELNS1_11target_archE942ELNS1_3gpuE9ELNS1_3repE0EEES8_NS1_28merge_sort_block_sort_configILj256ELj4ELNS0_20block_sort_algorithmE0EEENS0_14default_configENS1_37merge_sort_block_sort_config_selectorIiiEENS1_38merge_sort_block_merge_config_selectorIiiEEEEvv,"axG",@progbits,_ZN7rocprim17ROCPRIM_400000_NS6detail44device_merge_sort_compile_time_verifier_archINS1_11comp_targetILNS1_3genE5ELNS1_11target_archE942ELNS1_3gpuE9ELNS1_3repE0EEES8_NS1_28merge_sort_block_sort_configILj256ELj4ELNS0_20block_sort_algorithmE0EEENS0_14default_configENS1_37merge_sort_block_sort_config_selectorIiiEENS1_38merge_sort_block_merge_config_selectorIiiEEEEvv,comdat
.Lfunc_end293:
	.size	_ZN7rocprim17ROCPRIM_400000_NS6detail44device_merge_sort_compile_time_verifier_archINS1_11comp_targetILNS1_3genE5ELNS1_11target_archE942ELNS1_3gpuE9ELNS1_3repE0EEES8_NS1_28merge_sort_block_sort_configILj256ELj4ELNS0_20block_sort_algorithmE0EEENS0_14default_configENS1_37merge_sort_block_sort_config_selectorIiiEENS1_38merge_sort_block_merge_config_selectorIiiEEEEvv, .Lfunc_end293-_ZN7rocprim17ROCPRIM_400000_NS6detail44device_merge_sort_compile_time_verifier_archINS1_11comp_targetILNS1_3genE5ELNS1_11target_archE942ELNS1_3gpuE9ELNS1_3repE0EEES8_NS1_28merge_sort_block_sort_configILj256ELj4ELNS0_20block_sort_algorithmE0EEENS0_14default_configENS1_37merge_sort_block_sort_config_selectorIiiEENS1_38merge_sort_block_merge_config_selectorIiiEEEEvv
                                        ; -- End function
	.section	.AMDGPU.csdata,"",@progbits
; Kernel info:
; codeLenInByte = 4
; NumSgprs: 4
; NumVgprs: 0
; NumAgprs: 0
; TotalNumVgprs: 0
; ScratchSize: 0
; MemoryBound: 0
; FloatMode: 240
; IeeeMode: 1
; LDSByteSize: 0 bytes/workgroup (compile time only)
; SGPRBlocks: 0
; VGPRBlocks: 0
; NumSGPRsForWavesPerEU: 4
; NumVGPRsForWavesPerEU: 1
; AccumOffset: 4
; Occupancy: 8
; WaveLimiterHint : 0
; COMPUTE_PGM_RSRC2:SCRATCH_EN: 0
; COMPUTE_PGM_RSRC2:USER_SGPR: 4
; COMPUTE_PGM_RSRC2:TRAP_HANDLER: 0
; COMPUTE_PGM_RSRC2:TGID_X_EN: 1
; COMPUTE_PGM_RSRC2:TGID_Y_EN: 0
; COMPUTE_PGM_RSRC2:TGID_Z_EN: 0
; COMPUTE_PGM_RSRC2:TIDIG_COMP_CNT: 0
; COMPUTE_PGM_RSRC3_GFX90A:ACCUM_OFFSET: 0
; COMPUTE_PGM_RSRC3_GFX90A:TG_SPLIT: 0
	.section	.text._ZN7rocprim17ROCPRIM_400000_NS6detail44device_merge_sort_compile_time_verifier_archINS1_11comp_targetILNS1_3genE4ELNS1_11target_archE910ELNS1_3gpuE8ELNS1_3repE0EEES8_NS1_28merge_sort_block_sort_configILj256ELj4ELNS0_20block_sort_algorithmE0EEENS0_14default_configENS1_37merge_sort_block_sort_config_selectorIiiEENS1_38merge_sort_block_merge_config_selectorIiiEEEEvv,"axG",@progbits,_ZN7rocprim17ROCPRIM_400000_NS6detail44device_merge_sort_compile_time_verifier_archINS1_11comp_targetILNS1_3genE4ELNS1_11target_archE910ELNS1_3gpuE8ELNS1_3repE0EEES8_NS1_28merge_sort_block_sort_configILj256ELj4ELNS0_20block_sort_algorithmE0EEENS0_14default_configENS1_37merge_sort_block_sort_config_selectorIiiEENS1_38merge_sort_block_merge_config_selectorIiiEEEEvv,comdat
	.protected	_ZN7rocprim17ROCPRIM_400000_NS6detail44device_merge_sort_compile_time_verifier_archINS1_11comp_targetILNS1_3genE4ELNS1_11target_archE910ELNS1_3gpuE8ELNS1_3repE0EEES8_NS1_28merge_sort_block_sort_configILj256ELj4ELNS0_20block_sort_algorithmE0EEENS0_14default_configENS1_37merge_sort_block_sort_config_selectorIiiEENS1_38merge_sort_block_merge_config_selectorIiiEEEEvv ; -- Begin function _ZN7rocprim17ROCPRIM_400000_NS6detail44device_merge_sort_compile_time_verifier_archINS1_11comp_targetILNS1_3genE4ELNS1_11target_archE910ELNS1_3gpuE8ELNS1_3repE0EEES8_NS1_28merge_sort_block_sort_configILj256ELj4ELNS0_20block_sort_algorithmE0EEENS0_14default_configENS1_37merge_sort_block_sort_config_selectorIiiEENS1_38merge_sort_block_merge_config_selectorIiiEEEEvv
	.globl	_ZN7rocprim17ROCPRIM_400000_NS6detail44device_merge_sort_compile_time_verifier_archINS1_11comp_targetILNS1_3genE4ELNS1_11target_archE910ELNS1_3gpuE8ELNS1_3repE0EEES8_NS1_28merge_sort_block_sort_configILj256ELj4ELNS0_20block_sort_algorithmE0EEENS0_14default_configENS1_37merge_sort_block_sort_config_selectorIiiEENS1_38merge_sort_block_merge_config_selectorIiiEEEEvv
	.p2align	8
	.type	_ZN7rocprim17ROCPRIM_400000_NS6detail44device_merge_sort_compile_time_verifier_archINS1_11comp_targetILNS1_3genE4ELNS1_11target_archE910ELNS1_3gpuE8ELNS1_3repE0EEES8_NS1_28merge_sort_block_sort_configILj256ELj4ELNS0_20block_sort_algorithmE0EEENS0_14default_configENS1_37merge_sort_block_sort_config_selectorIiiEENS1_38merge_sort_block_merge_config_selectorIiiEEEEvv,@function
_ZN7rocprim17ROCPRIM_400000_NS6detail44device_merge_sort_compile_time_verifier_archINS1_11comp_targetILNS1_3genE4ELNS1_11target_archE910ELNS1_3gpuE8ELNS1_3repE0EEES8_NS1_28merge_sort_block_sort_configILj256ELj4ELNS0_20block_sort_algorithmE0EEENS0_14default_configENS1_37merge_sort_block_sort_config_selectorIiiEENS1_38merge_sort_block_merge_config_selectorIiiEEEEvv: ; @_ZN7rocprim17ROCPRIM_400000_NS6detail44device_merge_sort_compile_time_verifier_archINS1_11comp_targetILNS1_3genE4ELNS1_11target_archE910ELNS1_3gpuE8ELNS1_3repE0EEES8_NS1_28merge_sort_block_sort_configILj256ELj4ELNS0_20block_sort_algorithmE0EEENS0_14default_configENS1_37merge_sort_block_sort_config_selectorIiiEENS1_38merge_sort_block_merge_config_selectorIiiEEEEvv
; %bb.0:
	s_endpgm
	.section	.rodata,"a",@progbits
	.p2align	6, 0x0
	.amdhsa_kernel _ZN7rocprim17ROCPRIM_400000_NS6detail44device_merge_sort_compile_time_verifier_archINS1_11comp_targetILNS1_3genE4ELNS1_11target_archE910ELNS1_3gpuE8ELNS1_3repE0EEES8_NS1_28merge_sort_block_sort_configILj256ELj4ELNS0_20block_sort_algorithmE0EEENS0_14default_configENS1_37merge_sort_block_sort_config_selectorIiiEENS1_38merge_sort_block_merge_config_selectorIiiEEEEvv
		.amdhsa_group_segment_fixed_size 0
		.amdhsa_private_segment_fixed_size 0
		.amdhsa_kernarg_size 0
		.amdhsa_user_sgpr_count 4
		.amdhsa_user_sgpr_private_segment_buffer 1
		.amdhsa_user_sgpr_dispatch_ptr 0
		.amdhsa_user_sgpr_queue_ptr 0
		.amdhsa_user_sgpr_kernarg_segment_ptr 0
		.amdhsa_user_sgpr_dispatch_id 0
		.amdhsa_user_sgpr_flat_scratch_init 0
		.amdhsa_user_sgpr_kernarg_preload_length 0
		.amdhsa_user_sgpr_kernarg_preload_offset 0
		.amdhsa_user_sgpr_private_segment_size 0
		.amdhsa_uses_dynamic_stack 0
		.amdhsa_system_sgpr_private_segment_wavefront_offset 0
		.amdhsa_system_sgpr_workgroup_id_x 1
		.amdhsa_system_sgpr_workgroup_id_y 0
		.amdhsa_system_sgpr_workgroup_id_z 0
		.amdhsa_system_sgpr_workgroup_info 0
		.amdhsa_system_vgpr_workitem_id 0
		.amdhsa_next_free_vgpr 1
		.amdhsa_next_free_sgpr 0
		.amdhsa_accum_offset 4
		.amdhsa_reserve_vcc 0
		.amdhsa_reserve_flat_scratch 0
		.amdhsa_float_round_mode_32 0
		.amdhsa_float_round_mode_16_64 0
		.amdhsa_float_denorm_mode_32 3
		.amdhsa_float_denorm_mode_16_64 3
		.amdhsa_dx10_clamp 1
		.amdhsa_ieee_mode 1
		.amdhsa_fp16_overflow 0
		.amdhsa_tg_split 0
		.amdhsa_exception_fp_ieee_invalid_op 0
		.amdhsa_exception_fp_denorm_src 0
		.amdhsa_exception_fp_ieee_div_zero 0
		.amdhsa_exception_fp_ieee_overflow 0
		.amdhsa_exception_fp_ieee_underflow 0
		.amdhsa_exception_fp_ieee_inexact 0
		.amdhsa_exception_int_div_zero 0
	.end_amdhsa_kernel
	.section	.text._ZN7rocprim17ROCPRIM_400000_NS6detail44device_merge_sort_compile_time_verifier_archINS1_11comp_targetILNS1_3genE4ELNS1_11target_archE910ELNS1_3gpuE8ELNS1_3repE0EEES8_NS1_28merge_sort_block_sort_configILj256ELj4ELNS0_20block_sort_algorithmE0EEENS0_14default_configENS1_37merge_sort_block_sort_config_selectorIiiEENS1_38merge_sort_block_merge_config_selectorIiiEEEEvv,"axG",@progbits,_ZN7rocprim17ROCPRIM_400000_NS6detail44device_merge_sort_compile_time_verifier_archINS1_11comp_targetILNS1_3genE4ELNS1_11target_archE910ELNS1_3gpuE8ELNS1_3repE0EEES8_NS1_28merge_sort_block_sort_configILj256ELj4ELNS0_20block_sort_algorithmE0EEENS0_14default_configENS1_37merge_sort_block_sort_config_selectorIiiEENS1_38merge_sort_block_merge_config_selectorIiiEEEEvv,comdat
.Lfunc_end294:
	.size	_ZN7rocprim17ROCPRIM_400000_NS6detail44device_merge_sort_compile_time_verifier_archINS1_11comp_targetILNS1_3genE4ELNS1_11target_archE910ELNS1_3gpuE8ELNS1_3repE0EEES8_NS1_28merge_sort_block_sort_configILj256ELj4ELNS0_20block_sort_algorithmE0EEENS0_14default_configENS1_37merge_sort_block_sort_config_selectorIiiEENS1_38merge_sort_block_merge_config_selectorIiiEEEEvv, .Lfunc_end294-_ZN7rocprim17ROCPRIM_400000_NS6detail44device_merge_sort_compile_time_verifier_archINS1_11comp_targetILNS1_3genE4ELNS1_11target_archE910ELNS1_3gpuE8ELNS1_3repE0EEES8_NS1_28merge_sort_block_sort_configILj256ELj4ELNS0_20block_sort_algorithmE0EEENS0_14default_configENS1_37merge_sort_block_sort_config_selectorIiiEENS1_38merge_sort_block_merge_config_selectorIiiEEEEvv
                                        ; -- End function
	.section	.AMDGPU.csdata,"",@progbits
; Kernel info:
; codeLenInByte = 4
; NumSgprs: 4
; NumVgprs: 0
; NumAgprs: 0
; TotalNumVgprs: 0
; ScratchSize: 0
; MemoryBound: 0
; FloatMode: 240
; IeeeMode: 1
; LDSByteSize: 0 bytes/workgroup (compile time only)
; SGPRBlocks: 0
; VGPRBlocks: 0
; NumSGPRsForWavesPerEU: 4
; NumVGPRsForWavesPerEU: 1
; AccumOffset: 4
; Occupancy: 8
; WaveLimiterHint : 0
; COMPUTE_PGM_RSRC2:SCRATCH_EN: 0
; COMPUTE_PGM_RSRC2:USER_SGPR: 4
; COMPUTE_PGM_RSRC2:TRAP_HANDLER: 0
; COMPUTE_PGM_RSRC2:TGID_X_EN: 1
; COMPUTE_PGM_RSRC2:TGID_Y_EN: 0
; COMPUTE_PGM_RSRC2:TGID_Z_EN: 0
; COMPUTE_PGM_RSRC2:TIDIG_COMP_CNT: 0
; COMPUTE_PGM_RSRC3_GFX90A:ACCUM_OFFSET: 0
; COMPUTE_PGM_RSRC3_GFX90A:TG_SPLIT: 0
	.section	.text._ZN7rocprim17ROCPRIM_400000_NS6detail44device_merge_sort_compile_time_verifier_archINS1_11comp_targetILNS1_3genE3ELNS1_11target_archE908ELNS1_3gpuE7ELNS1_3repE0EEES8_NS1_28merge_sort_block_sort_configILj256ELj4ELNS0_20block_sort_algorithmE0EEENS0_14default_configENS1_37merge_sort_block_sort_config_selectorIiiEENS1_38merge_sort_block_merge_config_selectorIiiEEEEvv,"axG",@progbits,_ZN7rocprim17ROCPRIM_400000_NS6detail44device_merge_sort_compile_time_verifier_archINS1_11comp_targetILNS1_3genE3ELNS1_11target_archE908ELNS1_3gpuE7ELNS1_3repE0EEES8_NS1_28merge_sort_block_sort_configILj256ELj4ELNS0_20block_sort_algorithmE0EEENS0_14default_configENS1_37merge_sort_block_sort_config_selectorIiiEENS1_38merge_sort_block_merge_config_selectorIiiEEEEvv,comdat
	.protected	_ZN7rocprim17ROCPRIM_400000_NS6detail44device_merge_sort_compile_time_verifier_archINS1_11comp_targetILNS1_3genE3ELNS1_11target_archE908ELNS1_3gpuE7ELNS1_3repE0EEES8_NS1_28merge_sort_block_sort_configILj256ELj4ELNS0_20block_sort_algorithmE0EEENS0_14default_configENS1_37merge_sort_block_sort_config_selectorIiiEENS1_38merge_sort_block_merge_config_selectorIiiEEEEvv ; -- Begin function _ZN7rocprim17ROCPRIM_400000_NS6detail44device_merge_sort_compile_time_verifier_archINS1_11comp_targetILNS1_3genE3ELNS1_11target_archE908ELNS1_3gpuE7ELNS1_3repE0EEES8_NS1_28merge_sort_block_sort_configILj256ELj4ELNS0_20block_sort_algorithmE0EEENS0_14default_configENS1_37merge_sort_block_sort_config_selectorIiiEENS1_38merge_sort_block_merge_config_selectorIiiEEEEvv
	.globl	_ZN7rocprim17ROCPRIM_400000_NS6detail44device_merge_sort_compile_time_verifier_archINS1_11comp_targetILNS1_3genE3ELNS1_11target_archE908ELNS1_3gpuE7ELNS1_3repE0EEES8_NS1_28merge_sort_block_sort_configILj256ELj4ELNS0_20block_sort_algorithmE0EEENS0_14default_configENS1_37merge_sort_block_sort_config_selectorIiiEENS1_38merge_sort_block_merge_config_selectorIiiEEEEvv
	.p2align	8
	.type	_ZN7rocprim17ROCPRIM_400000_NS6detail44device_merge_sort_compile_time_verifier_archINS1_11comp_targetILNS1_3genE3ELNS1_11target_archE908ELNS1_3gpuE7ELNS1_3repE0EEES8_NS1_28merge_sort_block_sort_configILj256ELj4ELNS0_20block_sort_algorithmE0EEENS0_14default_configENS1_37merge_sort_block_sort_config_selectorIiiEENS1_38merge_sort_block_merge_config_selectorIiiEEEEvv,@function
_ZN7rocprim17ROCPRIM_400000_NS6detail44device_merge_sort_compile_time_verifier_archINS1_11comp_targetILNS1_3genE3ELNS1_11target_archE908ELNS1_3gpuE7ELNS1_3repE0EEES8_NS1_28merge_sort_block_sort_configILj256ELj4ELNS0_20block_sort_algorithmE0EEENS0_14default_configENS1_37merge_sort_block_sort_config_selectorIiiEENS1_38merge_sort_block_merge_config_selectorIiiEEEEvv: ; @_ZN7rocprim17ROCPRIM_400000_NS6detail44device_merge_sort_compile_time_verifier_archINS1_11comp_targetILNS1_3genE3ELNS1_11target_archE908ELNS1_3gpuE7ELNS1_3repE0EEES8_NS1_28merge_sort_block_sort_configILj256ELj4ELNS0_20block_sort_algorithmE0EEENS0_14default_configENS1_37merge_sort_block_sort_config_selectorIiiEENS1_38merge_sort_block_merge_config_selectorIiiEEEEvv
; %bb.0:
	s_endpgm
	.section	.rodata,"a",@progbits
	.p2align	6, 0x0
	.amdhsa_kernel _ZN7rocprim17ROCPRIM_400000_NS6detail44device_merge_sort_compile_time_verifier_archINS1_11comp_targetILNS1_3genE3ELNS1_11target_archE908ELNS1_3gpuE7ELNS1_3repE0EEES8_NS1_28merge_sort_block_sort_configILj256ELj4ELNS0_20block_sort_algorithmE0EEENS0_14default_configENS1_37merge_sort_block_sort_config_selectorIiiEENS1_38merge_sort_block_merge_config_selectorIiiEEEEvv
		.amdhsa_group_segment_fixed_size 0
		.amdhsa_private_segment_fixed_size 0
		.amdhsa_kernarg_size 0
		.amdhsa_user_sgpr_count 4
		.amdhsa_user_sgpr_private_segment_buffer 1
		.amdhsa_user_sgpr_dispatch_ptr 0
		.amdhsa_user_sgpr_queue_ptr 0
		.amdhsa_user_sgpr_kernarg_segment_ptr 0
		.amdhsa_user_sgpr_dispatch_id 0
		.amdhsa_user_sgpr_flat_scratch_init 0
		.amdhsa_user_sgpr_kernarg_preload_length 0
		.amdhsa_user_sgpr_kernarg_preload_offset 0
		.amdhsa_user_sgpr_private_segment_size 0
		.amdhsa_uses_dynamic_stack 0
		.amdhsa_system_sgpr_private_segment_wavefront_offset 0
		.amdhsa_system_sgpr_workgroup_id_x 1
		.amdhsa_system_sgpr_workgroup_id_y 0
		.amdhsa_system_sgpr_workgroup_id_z 0
		.amdhsa_system_sgpr_workgroup_info 0
		.amdhsa_system_vgpr_workitem_id 0
		.amdhsa_next_free_vgpr 1
		.amdhsa_next_free_sgpr 0
		.amdhsa_accum_offset 4
		.amdhsa_reserve_vcc 0
		.amdhsa_reserve_flat_scratch 0
		.amdhsa_float_round_mode_32 0
		.amdhsa_float_round_mode_16_64 0
		.amdhsa_float_denorm_mode_32 3
		.amdhsa_float_denorm_mode_16_64 3
		.amdhsa_dx10_clamp 1
		.amdhsa_ieee_mode 1
		.amdhsa_fp16_overflow 0
		.amdhsa_tg_split 0
		.amdhsa_exception_fp_ieee_invalid_op 0
		.amdhsa_exception_fp_denorm_src 0
		.amdhsa_exception_fp_ieee_div_zero 0
		.amdhsa_exception_fp_ieee_overflow 0
		.amdhsa_exception_fp_ieee_underflow 0
		.amdhsa_exception_fp_ieee_inexact 0
		.amdhsa_exception_int_div_zero 0
	.end_amdhsa_kernel
	.section	.text._ZN7rocprim17ROCPRIM_400000_NS6detail44device_merge_sort_compile_time_verifier_archINS1_11comp_targetILNS1_3genE3ELNS1_11target_archE908ELNS1_3gpuE7ELNS1_3repE0EEES8_NS1_28merge_sort_block_sort_configILj256ELj4ELNS0_20block_sort_algorithmE0EEENS0_14default_configENS1_37merge_sort_block_sort_config_selectorIiiEENS1_38merge_sort_block_merge_config_selectorIiiEEEEvv,"axG",@progbits,_ZN7rocprim17ROCPRIM_400000_NS6detail44device_merge_sort_compile_time_verifier_archINS1_11comp_targetILNS1_3genE3ELNS1_11target_archE908ELNS1_3gpuE7ELNS1_3repE0EEES8_NS1_28merge_sort_block_sort_configILj256ELj4ELNS0_20block_sort_algorithmE0EEENS0_14default_configENS1_37merge_sort_block_sort_config_selectorIiiEENS1_38merge_sort_block_merge_config_selectorIiiEEEEvv,comdat
.Lfunc_end295:
	.size	_ZN7rocprim17ROCPRIM_400000_NS6detail44device_merge_sort_compile_time_verifier_archINS1_11comp_targetILNS1_3genE3ELNS1_11target_archE908ELNS1_3gpuE7ELNS1_3repE0EEES8_NS1_28merge_sort_block_sort_configILj256ELj4ELNS0_20block_sort_algorithmE0EEENS0_14default_configENS1_37merge_sort_block_sort_config_selectorIiiEENS1_38merge_sort_block_merge_config_selectorIiiEEEEvv, .Lfunc_end295-_ZN7rocprim17ROCPRIM_400000_NS6detail44device_merge_sort_compile_time_verifier_archINS1_11comp_targetILNS1_3genE3ELNS1_11target_archE908ELNS1_3gpuE7ELNS1_3repE0EEES8_NS1_28merge_sort_block_sort_configILj256ELj4ELNS0_20block_sort_algorithmE0EEENS0_14default_configENS1_37merge_sort_block_sort_config_selectorIiiEENS1_38merge_sort_block_merge_config_selectorIiiEEEEvv
                                        ; -- End function
	.section	.AMDGPU.csdata,"",@progbits
; Kernel info:
; codeLenInByte = 4
; NumSgprs: 4
; NumVgprs: 0
; NumAgprs: 0
; TotalNumVgprs: 0
; ScratchSize: 0
; MemoryBound: 0
; FloatMode: 240
; IeeeMode: 1
; LDSByteSize: 0 bytes/workgroup (compile time only)
; SGPRBlocks: 0
; VGPRBlocks: 0
; NumSGPRsForWavesPerEU: 4
; NumVGPRsForWavesPerEU: 1
; AccumOffset: 4
; Occupancy: 8
; WaveLimiterHint : 0
; COMPUTE_PGM_RSRC2:SCRATCH_EN: 0
; COMPUTE_PGM_RSRC2:USER_SGPR: 4
; COMPUTE_PGM_RSRC2:TRAP_HANDLER: 0
; COMPUTE_PGM_RSRC2:TGID_X_EN: 1
; COMPUTE_PGM_RSRC2:TGID_Y_EN: 0
; COMPUTE_PGM_RSRC2:TGID_Z_EN: 0
; COMPUTE_PGM_RSRC2:TIDIG_COMP_CNT: 0
; COMPUTE_PGM_RSRC3_GFX90A:ACCUM_OFFSET: 0
; COMPUTE_PGM_RSRC3_GFX90A:TG_SPLIT: 0
	.section	.text._ZN7rocprim17ROCPRIM_400000_NS6detail44device_merge_sort_compile_time_verifier_archINS1_11comp_targetILNS1_3genE2ELNS1_11target_archE906ELNS1_3gpuE6ELNS1_3repE0EEES8_NS1_28merge_sort_block_sort_configILj256ELj4ELNS0_20block_sort_algorithmE0EEENS0_14default_configENS1_37merge_sort_block_sort_config_selectorIiiEENS1_38merge_sort_block_merge_config_selectorIiiEEEEvv,"axG",@progbits,_ZN7rocprim17ROCPRIM_400000_NS6detail44device_merge_sort_compile_time_verifier_archINS1_11comp_targetILNS1_3genE2ELNS1_11target_archE906ELNS1_3gpuE6ELNS1_3repE0EEES8_NS1_28merge_sort_block_sort_configILj256ELj4ELNS0_20block_sort_algorithmE0EEENS0_14default_configENS1_37merge_sort_block_sort_config_selectorIiiEENS1_38merge_sort_block_merge_config_selectorIiiEEEEvv,comdat
	.protected	_ZN7rocprim17ROCPRIM_400000_NS6detail44device_merge_sort_compile_time_verifier_archINS1_11comp_targetILNS1_3genE2ELNS1_11target_archE906ELNS1_3gpuE6ELNS1_3repE0EEES8_NS1_28merge_sort_block_sort_configILj256ELj4ELNS0_20block_sort_algorithmE0EEENS0_14default_configENS1_37merge_sort_block_sort_config_selectorIiiEENS1_38merge_sort_block_merge_config_selectorIiiEEEEvv ; -- Begin function _ZN7rocprim17ROCPRIM_400000_NS6detail44device_merge_sort_compile_time_verifier_archINS1_11comp_targetILNS1_3genE2ELNS1_11target_archE906ELNS1_3gpuE6ELNS1_3repE0EEES8_NS1_28merge_sort_block_sort_configILj256ELj4ELNS0_20block_sort_algorithmE0EEENS0_14default_configENS1_37merge_sort_block_sort_config_selectorIiiEENS1_38merge_sort_block_merge_config_selectorIiiEEEEvv
	.globl	_ZN7rocprim17ROCPRIM_400000_NS6detail44device_merge_sort_compile_time_verifier_archINS1_11comp_targetILNS1_3genE2ELNS1_11target_archE906ELNS1_3gpuE6ELNS1_3repE0EEES8_NS1_28merge_sort_block_sort_configILj256ELj4ELNS0_20block_sort_algorithmE0EEENS0_14default_configENS1_37merge_sort_block_sort_config_selectorIiiEENS1_38merge_sort_block_merge_config_selectorIiiEEEEvv
	.p2align	8
	.type	_ZN7rocprim17ROCPRIM_400000_NS6detail44device_merge_sort_compile_time_verifier_archINS1_11comp_targetILNS1_3genE2ELNS1_11target_archE906ELNS1_3gpuE6ELNS1_3repE0EEES8_NS1_28merge_sort_block_sort_configILj256ELj4ELNS0_20block_sort_algorithmE0EEENS0_14default_configENS1_37merge_sort_block_sort_config_selectorIiiEENS1_38merge_sort_block_merge_config_selectorIiiEEEEvv,@function
_ZN7rocprim17ROCPRIM_400000_NS6detail44device_merge_sort_compile_time_verifier_archINS1_11comp_targetILNS1_3genE2ELNS1_11target_archE906ELNS1_3gpuE6ELNS1_3repE0EEES8_NS1_28merge_sort_block_sort_configILj256ELj4ELNS0_20block_sort_algorithmE0EEENS0_14default_configENS1_37merge_sort_block_sort_config_selectorIiiEENS1_38merge_sort_block_merge_config_selectorIiiEEEEvv: ; @_ZN7rocprim17ROCPRIM_400000_NS6detail44device_merge_sort_compile_time_verifier_archINS1_11comp_targetILNS1_3genE2ELNS1_11target_archE906ELNS1_3gpuE6ELNS1_3repE0EEES8_NS1_28merge_sort_block_sort_configILj256ELj4ELNS0_20block_sort_algorithmE0EEENS0_14default_configENS1_37merge_sort_block_sort_config_selectorIiiEENS1_38merge_sort_block_merge_config_selectorIiiEEEEvv
; %bb.0:
	s_endpgm
	.section	.rodata,"a",@progbits
	.p2align	6, 0x0
	.amdhsa_kernel _ZN7rocprim17ROCPRIM_400000_NS6detail44device_merge_sort_compile_time_verifier_archINS1_11comp_targetILNS1_3genE2ELNS1_11target_archE906ELNS1_3gpuE6ELNS1_3repE0EEES8_NS1_28merge_sort_block_sort_configILj256ELj4ELNS0_20block_sort_algorithmE0EEENS0_14default_configENS1_37merge_sort_block_sort_config_selectorIiiEENS1_38merge_sort_block_merge_config_selectorIiiEEEEvv
		.amdhsa_group_segment_fixed_size 0
		.amdhsa_private_segment_fixed_size 0
		.amdhsa_kernarg_size 0
		.amdhsa_user_sgpr_count 4
		.amdhsa_user_sgpr_private_segment_buffer 1
		.amdhsa_user_sgpr_dispatch_ptr 0
		.amdhsa_user_sgpr_queue_ptr 0
		.amdhsa_user_sgpr_kernarg_segment_ptr 0
		.amdhsa_user_sgpr_dispatch_id 0
		.amdhsa_user_sgpr_flat_scratch_init 0
		.amdhsa_user_sgpr_kernarg_preload_length 0
		.amdhsa_user_sgpr_kernarg_preload_offset 0
		.amdhsa_user_sgpr_private_segment_size 0
		.amdhsa_uses_dynamic_stack 0
		.amdhsa_system_sgpr_private_segment_wavefront_offset 0
		.amdhsa_system_sgpr_workgroup_id_x 1
		.amdhsa_system_sgpr_workgroup_id_y 0
		.amdhsa_system_sgpr_workgroup_id_z 0
		.amdhsa_system_sgpr_workgroup_info 0
		.amdhsa_system_vgpr_workitem_id 0
		.amdhsa_next_free_vgpr 1
		.amdhsa_next_free_sgpr 0
		.amdhsa_accum_offset 4
		.amdhsa_reserve_vcc 0
		.amdhsa_reserve_flat_scratch 0
		.amdhsa_float_round_mode_32 0
		.amdhsa_float_round_mode_16_64 0
		.amdhsa_float_denorm_mode_32 3
		.amdhsa_float_denorm_mode_16_64 3
		.amdhsa_dx10_clamp 1
		.amdhsa_ieee_mode 1
		.amdhsa_fp16_overflow 0
		.amdhsa_tg_split 0
		.amdhsa_exception_fp_ieee_invalid_op 0
		.amdhsa_exception_fp_denorm_src 0
		.amdhsa_exception_fp_ieee_div_zero 0
		.amdhsa_exception_fp_ieee_overflow 0
		.amdhsa_exception_fp_ieee_underflow 0
		.amdhsa_exception_fp_ieee_inexact 0
		.amdhsa_exception_int_div_zero 0
	.end_amdhsa_kernel
	.section	.text._ZN7rocprim17ROCPRIM_400000_NS6detail44device_merge_sort_compile_time_verifier_archINS1_11comp_targetILNS1_3genE2ELNS1_11target_archE906ELNS1_3gpuE6ELNS1_3repE0EEES8_NS1_28merge_sort_block_sort_configILj256ELj4ELNS0_20block_sort_algorithmE0EEENS0_14default_configENS1_37merge_sort_block_sort_config_selectorIiiEENS1_38merge_sort_block_merge_config_selectorIiiEEEEvv,"axG",@progbits,_ZN7rocprim17ROCPRIM_400000_NS6detail44device_merge_sort_compile_time_verifier_archINS1_11comp_targetILNS1_3genE2ELNS1_11target_archE906ELNS1_3gpuE6ELNS1_3repE0EEES8_NS1_28merge_sort_block_sort_configILj256ELj4ELNS0_20block_sort_algorithmE0EEENS0_14default_configENS1_37merge_sort_block_sort_config_selectorIiiEENS1_38merge_sort_block_merge_config_selectorIiiEEEEvv,comdat
.Lfunc_end296:
	.size	_ZN7rocprim17ROCPRIM_400000_NS6detail44device_merge_sort_compile_time_verifier_archINS1_11comp_targetILNS1_3genE2ELNS1_11target_archE906ELNS1_3gpuE6ELNS1_3repE0EEES8_NS1_28merge_sort_block_sort_configILj256ELj4ELNS0_20block_sort_algorithmE0EEENS0_14default_configENS1_37merge_sort_block_sort_config_selectorIiiEENS1_38merge_sort_block_merge_config_selectorIiiEEEEvv, .Lfunc_end296-_ZN7rocprim17ROCPRIM_400000_NS6detail44device_merge_sort_compile_time_verifier_archINS1_11comp_targetILNS1_3genE2ELNS1_11target_archE906ELNS1_3gpuE6ELNS1_3repE0EEES8_NS1_28merge_sort_block_sort_configILj256ELj4ELNS0_20block_sort_algorithmE0EEENS0_14default_configENS1_37merge_sort_block_sort_config_selectorIiiEENS1_38merge_sort_block_merge_config_selectorIiiEEEEvv
                                        ; -- End function
	.section	.AMDGPU.csdata,"",@progbits
; Kernel info:
; codeLenInByte = 4
; NumSgprs: 4
; NumVgprs: 0
; NumAgprs: 0
; TotalNumVgprs: 0
; ScratchSize: 0
; MemoryBound: 0
; FloatMode: 240
; IeeeMode: 1
; LDSByteSize: 0 bytes/workgroup (compile time only)
; SGPRBlocks: 0
; VGPRBlocks: 0
; NumSGPRsForWavesPerEU: 4
; NumVGPRsForWavesPerEU: 1
; AccumOffset: 4
; Occupancy: 8
; WaveLimiterHint : 0
; COMPUTE_PGM_RSRC2:SCRATCH_EN: 0
; COMPUTE_PGM_RSRC2:USER_SGPR: 4
; COMPUTE_PGM_RSRC2:TRAP_HANDLER: 0
; COMPUTE_PGM_RSRC2:TGID_X_EN: 1
; COMPUTE_PGM_RSRC2:TGID_Y_EN: 0
; COMPUTE_PGM_RSRC2:TGID_Z_EN: 0
; COMPUTE_PGM_RSRC2:TIDIG_COMP_CNT: 0
; COMPUTE_PGM_RSRC3_GFX90A:ACCUM_OFFSET: 0
; COMPUTE_PGM_RSRC3_GFX90A:TG_SPLIT: 0
	.section	.text._ZN7rocprim17ROCPRIM_400000_NS6detail44device_merge_sort_compile_time_verifier_archINS1_11comp_targetILNS1_3genE10ELNS1_11target_archE1201ELNS1_3gpuE5ELNS1_3repE0EEES8_NS1_28merge_sort_block_sort_configILj256ELj4ELNS0_20block_sort_algorithmE0EEENS0_14default_configENS1_37merge_sort_block_sort_config_selectorIiiEENS1_38merge_sort_block_merge_config_selectorIiiEEEEvv,"axG",@progbits,_ZN7rocprim17ROCPRIM_400000_NS6detail44device_merge_sort_compile_time_verifier_archINS1_11comp_targetILNS1_3genE10ELNS1_11target_archE1201ELNS1_3gpuE5ELNS1_3repE0EEES8_NS1_28merge_sort_block_sort_configILj256ELj4ELNS0_20block_sort_algorithmE0EEENS0_14default_configENS1_37merge_sort_block_sort_config_selectorIiiEENS1_38merge_sort_block_merge_config_selectorIiiEEEEvv,comdat
	.protected	_ZN7rocprim17ROCPRIM_400000_NS6detail44device_merge_sort_compile_time_verifier_archINS1_11comp_targetILNS1_3genE10ELNS1_11target_archE1201ELNS1_3gpuE5ELNS1_3repE0EEES8_NS1_28merge_sort_block_sort_configILj256ELj4ELNS0_20block_sort_algorithmE0EEENS0_14default_configENS1_37merge_sort_block_sort_config_selectorIiiEENS1_38merge_sort_block_merge_config_selectorIiiEEEEvv ; -- Begin function _ZN7rocprim17ROCPRIM_400000_NS6detail44device_merge_sort_compile_time_verifier_archINS1_11comp_targetILNS1_3genE10ELNS1_11target_archE1201ELNS1_3gpuE5ELNS1_3repE0EEES8_NS1_28merge_sort_block_sort_configILj256ELj4ELNS0_20block_sort_algorithmE0EEENS0_14default_configENS1_37merge_sort_block_sort_config_selectorIiiEENS1_38merge_sort_block_merge_config_selectorIiiEEEEvv
	.globl	_ZN7rocprim17ROCPRIM_400000_NS6detail44device_merge_sort_compile_time_verifier_archINS1_11comp_targetILNS1_3genE10ELNS1_11target_archE1201ELNS1_3gpuE5ELNS1_3repE0EEES8_NS1_28merge_sort_block_sort_configILj256ELj4ELNS0_20block_sort_algorithmE0EEENS0_14default_configENS1_37merge_sort_block_sort_config_selectorIiiEENS1_38merge_sort_block_merge_config_selectorIiiEEEEvv
	.p2align	8
	.type	_ZN7rocprim17ROCPRIM_400000_NS6detail44device_merge_sort_compile_time_verifier_archINS1_11comp_targetILNS1_3genE10ELNS1_11target_archE1201ELNS1_3gpuE5ELNS1_3repE0EEES8_NS1_28merge_sort_block_sort_configILj256ELj4ELNS0_20block_sort_algorithmE0EEENS0_14default_configENS1_37merge_sort_block_sort_config_selectorIiiEENS1_38merge_sort_block_merge_config_selectorIiiEEEEvv,@function
_ZN7rocprim17ROCPRIM_400000_NS6detail44device_merge_sort_compile_time_verifier_archINS1_11comp_targetILNS1_3genE10ELNS1_11target_archE1201ELNS1_3gpuE5ELNS1_3repE0EEES8_NS1_28merge_sort_block_sort_configILj256ELj4ELNS0_20block_sort_algorithmE0EEENS0_14default_configENS1_37merge_sort_block_sort_config_selectorIiiEENS1_38merge_sort_block_merge_config_selectorIiiEEEEvv: ; @_ZN7rocprim17ROCPRIM_400000_NS6detail44device_merge_sort_compile_time_verifier_archINS1_11comp_targetILNS1_3genE10ELNS1_11target_archE1201ELNS1_3gpuE5ELNS1_3repE0EEES8_NS1_28merge_sort_block_sort_configILj256ELj4ELNS0_20block_sort_algorithmE0EEENS0_14default_configENS1_37merge_sort_block_sort_config_selectorIiiEENS1_38merge_sort_block_merge_config_selectorIiiEEEEvv
; %bb.0:
	s_endpgm
	.section	.rodata,"a",@progbits
	.p2align	6, 0x0
	.amdhsa_kernel _ZN7rocprim17ROCPRIM_400000_NS6detail44device_merge_sort_compile_time_verifier_archINS1_11comp_targetILNS1_3genE10ELNS1_11target_archE1201ELNS1_3gpuE5ELNS1_3repE0EEES8_NS1_28merge_sort_block_sort_configILj256ELj4ELNS0_20block_sort_algorithmE0EEENS0_14default_configENS1_37merge_sort_block_sort_config_selectorIiiEENS1_38merge_sort_block_merge_config_selectorIiiEEEEvv
		.amdhsa_group_segment_fixed_size 0
		.amdhsa_private_segment_fixed_size 0
		.amdhsa_kernarg_size 0
		.amdhsa_user_sgpr_count 4
		.amdhsa_user_sgpr_private_segment_buffer 1
		.amdhsa_user_sgpr_dispatch_ptr 0
		.amdhsa_user_sgpr_queue_ptr 0
		.amdhsa_user_sgpr_kernarg_segment_ptr 0
		.amdhsa_user_sgpr_dispatch_id 0
		.amdhsa_user_sgpr_flat_scratch_init 0
		.amdhsa_user_sgpr_kernarg_preload_length 0
		.amdhsa_user_sgpr_kernarg_preload_offset 0
		.amdhsa_user_sgpr_private_segment_size 0
		.amdhsa_uses_dynamic_stack 0
		.amdhsa_system_sgpr_private_segment_wavefront_offset 0
		.amdhsa_system_sgpr_workgroup_id_x 1
		.amdhsa_system_sgpr_workgroup_id_y 0
		.amdhsa_system_sgpr_workgroup_id_z 0
		.amdhsa_system_sgpr_workgroup_info 0
		.amdhsa_system_vgpr_workitem_id 0
		.amdhsa_next_free_vgpr 1
		.amdhsa_next_free_sgpr 0
		.amdhsa_accum_offset 4
		.amdhsa_reserve_vcc 0
		.amdhsa_reserve_flat_scratch 0
		.amdhsa_float_round_mode_32 0
		.amdhsa_float_round_mode_16_64 0
		.amdhsa_float_denorm_mode_32 3
		.amdhsa_float_denorm_mode_16_64 3
		.amdhsa_dx10_clamp 1
		.amdhsa_ieee_mode 1
		.amdhsa_fp16_overflow 0
		.amdhsa_tg_split 0
		.amdhsa_exception_fp_ieee_invalid_op 0
		.amdhsa_exception_fp_denorm_src 0
		.amdhsa_exception_fp_ieee_div_zero 0
		.amdhsa_exception_fp_ieee_overflow 0
		.amdhsa_exception_fp_ieee_underflow 0
		.amdhsa_exception_fp_ieee_inexact 0
		.amdhsa_exception_int_div_zero 0
	.end_amdhsa_kernel
	.section	.text._ZN7rocprim17ROCPRIM_400000_NS6detail44device_merge_sort_compile_time_verifier_archINS1_11comp_targetILNS1_3genE10ELNS1_11target_archE1201ELNS1_3gpuE5ELNS1_3repE0EEES8_NS1_28merge_sort_block_sort_configILj256ELj4ELNS0_20block_sort_algorithmE0EEENS0_14default_configENS1_37merge_sort_block_sort_config_selectorIiiEENS1_38merge_sort_block_merge_config_selectorIiiEEEEvv,"axG",@progbits,_ZN7rocprim17ROCPRIM_400000_NS6detail44device_merge_sort_compile_time_verifier_archINS1_11comp_targetILNS1_3genE10ELNS1_11target_archE1201ELNS1_3gpuE5ELNS1_3repE0EEES8_NS1_28merge_sort_block_sort_configILj256ELj4ELNS0_20block_sort_algorithmE0EEENS0_14default_configENS1_37merge_sort_block_sort_config_selectorIiiEENS1_38merge_sort_block_merge_config_selectorIiiEEEEvv,comdat
.Lfunc_end297:
	.size	_ZN7rocprim17ROCPRIM_400000_NS6detail44device_merge_sort_compile_time_verifier_archINS1_11comp_targetILNS1_3genE10ELNS1_11target_archE1201ELNS1_3gpuE5ELNS1_3repE0EEES8_NS1_28merge_sort_block_sort_configILj256ELj4ELNS0_20block_sort_algorithmE0EEENS0_14default_configENS1_37merge_sort_block_sort_config_selectorIiiEENS1_38merge_sort_block_merge_config_selectorIiiEEEEvv, .Lfunc_end297-_ZN7rocprim17ROCPRIM_400000_NS6detail44device_merge_sort_compile_time_verifier_archINS1_11comp_targetILNS1_3genE10ELNS1_11target_archE1201ELNS1_3gpuE5ELNS1_3repE0EEES8_NS1_28merge_sort_block_sort_configILj256ELj4ELNS0_20block_sort_algorithmE0EEENS0_14default_configENS1_37merge_sort_block_sort_config_selectorIiiEENS1_38merge_sort_block_merge_config_selectorIiiEEEEvv
                                        ; -- End function
	.section	.AMDGPU.csdata,"",@progbits
; Kernel info:
; codeLenInByte = 4
; NumSgprs: 4
; NumVgprs: 0
; NumAgprs: 0
; TotalNumVgprs: 0
; ScratchSize: 0
; MemoryBound: 0
; FloatMode: 240
; IeeeMode: 1
; LDSByteSize: 0 bytes/workgroup (compile time only)
; SGPRBlocks: 0
; VGPRBlocks: 0
; NumSGPRsForWavesPerEU: 4
; NumVGPRsForWavesPerEU: 1
; AccumOffset: 4
; Occupancy: 8
; WaveLimiterHint : 0
; COMPUTE_PGM_RSRC2:SCRATCH_EN: 0
; COMPUTE_PGM_RSRC2:USER_SGPR: 4
; COMPUTE_PGM_RSRC2:TRAP_HANDLER: 0
; COMPUTE_PGM_RSRC2:TGID_X_EN: 1
; COMPUTE_PGM_RSRC2:TGID_Y_EN: 0
; COMPUTE_PGM_RSRC2:TGID_Z_EN: 0
; COMPUTE_PGM_RSRC2:TIDIG_COMP_CNT: 0
; COMPUTE_PGM_RSRC3_GFX90A:ACCUM_OFFSET: 0
; COMPUTE_PGM_RSRC3_GFX90A:TG_SPLIT: 0
	.section	.text._ZN7rocprim17ROCPRIM_400000_NS6detail44device_merge_sort_compile_time_verifier_archINS1_11comp_targetILNS1_3genE10ELNS1_11target_archE1200ELNS1_3gpuE4ELNS1_3repE0EEENS3_ILS4_10ELS5_1201ELS6_5ELS7_0EEENS1_28merge_sort_block_sort_configILj256ELj4ELNS0_20block_sort_algorithmE0EEENS0_14default_configENS1_37merge_sort_block_sort_config_selectorIiiEENS1_38merge_sort_block_merge_config_selectorIiiEEEEvv,"axG",@progbits,_ZN7rocprim17ROCPRIM_400000_NS6detail44device_merge_sort_compile_time_verifier_archINS1_11comp_targetILNS1_3genE10ELNS1_11target_archE1200ELNS1_3gpuE4ELNS1_3repE0EEENS3_ILS4_10ELS5_1201ELS6_5ELS7_0EEENS1_28merge_sort_block_sort_configILj256ELj4ELNS0_20block_sort_algorithmE0EEENS0_14default_configENS1_37merge_sort_block_sort_config_selectorIiiEENS1_38merge_sort_block_merge_config_selectorIiiEEEEvv,comdat
	.protected	_ZN7rocprim17ROCPRIM_400000_NS6detail44device_merge_sort_compile_time_verifier_archINS1_11comp_targetILNS1_3genE10ELNS1_11target_archE1200ELNS1_3gpuE4ELNS1_3repE0EEENS3_ILS4_10ELS5_1201ELS6_5ELS7_0EEENS1_28merge_sort_block_sort_configILj256ELj4ELNS0_20block_sort_algorithmE0EEENS0_14default_configENS1_37merge_sort_block_sort_config_selectorIiiEENS1_38merge_sort_block_merge_config_selectorIiiEEEEvv ; -- Begin function _ZN7rocprim17ROCPRIM_400000_NS6detail44device_merge_sort_compile_time_verifier_archINS1_11comp_targetILNS1_3genE10ELNS1_11target_archE1200ELNS1_3gpuE4ELNS1_3repE0EEENS3_ILS4_10ELS5_1201ELS6_5ELS7_0EEENS1_28merge_sort_block_sort_configILj256ELj4ELNS0_20block_sort_algorithmE0EEENS0_14default_configENS1_37merge_sort_block_sort_config_selectorIiiEENS1_38merge_sort_block_merge_config_selectorIiiEEEEvv
	.globl	_ZN7rocprim17ROCPRIM_400000_NS6detail44device_merge_sort_compile_time_verifier_archINS1_11comp_targetILNS1_3genE10ELNS1_11target_archE1200ELNS1_3gpuE4ELNS1_3repE0EEENS3_ILS4_10ELS5_1201ELS6_5ELS7_0EEENS1_28merge_sort_block_sort_configILj256ELj4ELNS0_20block_sort_algorithmE0EEENS0_14default_configENS1_37merge_sort_block_sort_config_selectorIiiEENS1_38merge_sort_block_merge_config_selectorIiiEEEEvv
	.p2align	8
	.type	_ZN7rocprim17ROCPRIM_400000_NS6detail44device_merge_sort_compile_time_verifier_archINS1_11comp_targetILNS1_3genE10ELNS1_11target_archE1200ELNS1_3gpuE4ELNS1_3repE0EEENS3_ILS4_10ELS5_1201ELS6_5ELS7_0EEENS1_28merge_sort_block_sort_configILj256ELj4ELNS0_20block_sort_algorithmE0EEENS0_14default_configENS1_37merge_sort_block_sort_config_selectorIiiEENS1_38merge_sort_block_merge_config_selectorIiiEEEEvv,@function
_ZN7rocprim17ROCPRIM_400000_NS6detail44device_merge_sort_compile_time_verifier_archINS1_11comp_targetILNS1_3genE10ELNS1_11target_archE1200ELNS1_3gpuE4ELNS1_3repE0EEENS3_ILS4_10ELS5_1201ELS6_5ELS7_0EEENS1_28merge_sort_block_sort_configILj256ELj4ELNS0_20block_sort_algorithmE0EEENS0_14default_configENS1_37merge_sort_block_sort_config_selectorIiiEENS1_38merge_sort_block_merge_config_selectorIiiEEEEvv: ; @_ZN7rocprim17ROCPRIM_400000_NS6detail44device_merge_sort_compile_time_verifier_archINS1_11comp_targetILNS1_3genE10ELNS1_11target_archE1200ELNS1_3gpuE4ELNS1_3repE0EEENS3_ILS4_10ELS5_1201ELS6_5ELS7_0EEENS1_28merge_sort_block_sort_configILj256ELj4ELNS0_20block_sort_algorithmE0EEENS0_14default_configENS1_37merge_sort_block_sort_config_selectorIiiEENS1_38merge_sort_block_merge_config_selectorIiiEEEEvv
; %bb.0:
	s_endpgm
	.section	.rodata,"a",@progbits
	.p2align	6, 0x0
	.amdhsa_kernel _ZN7rocprim17ROCPRIM_400000_NS6detail44device_merge_sort_compile_time_verifier_archINS1_11comp_targetILNS1_3genE10ELNS1_11target_archE1200ELNS1_3gpuE4ELNS1_3repE0EEENS3_ILS4_10ELS5_1201ELS6_5ELS7_0EEENS1_28merge_sort_block_sort_configILj256ELj4ELNS0_20block_sort_algorithmE0EEENS0_14default_configENS1_37merge_sort_block_sort_config_selectorIiiEENS1_38merge_sort_block_merge_config_selectorIiiEEEEvv
		.amdhsa_group_segment_fixed_size 0
		.amdhsa_private_segment_fixed_size 0
		.amdhsa_kernarg_size 0
		.amdhsa_user_sgpr_count 4
		.amdhsa_user_sgpr_private_segment_buffer 1
		.amdhsa_user_sgpr_dispatch_ptr 0
		.amdhsa_user_sgpr_queue_ptr 0
		.amdhsa_user_sgpr_kernarg_segment_ptr 0
		.amdhsa_user_sgpr_dispatch_id 0
		.amdhsa_user_sgpr_flat_scratch_init 0
		.amdhsa_user_sgpr_kernarg_preload_length 0
		.amdhsa_user_sgpr_kernarg_preload_offset 0
		.amdhsa_user_sgpr_private_segment_size 0
		.amdhsa_uses_dynamic_stack 0
		.amdhsa_system_sgpr_private_segment_wavefront_offset 0
		.amdhsa_system_sgpr_workgroup_id_x 1
		.amdhsa_system_sgpr_workgroup_id_y 0
		.amdhsa_system_sgpr_workgroup_id_z 0
		.amdhsa_system_sgpr_workgroup_info 0
		.amdhsa_system_vgpr_workitem_id 0
		.amdhsa_next_free_vgpr 1
		.amdhsa_next_free_sgpr 0
		.amdhsa_accum_offset 4
		.amdhsa_reserve_vcc 0
		.amdhsa_reserve_flat_scratch 0
		.amdhsa_float_round_mode_32 0
		.amdhsa_float_round_mode_16_64 0
		.amdhsa_float_denorm_mode_32 3
		.amdhsa_float_denorm_mode_16_64 3
		.amdhsa_dx10_clamp 1
		.amdhsa_ieee_mode 1
		.amdhsa_fp16_overflow 0
		.amdhsa_tg_split 0
		.amdhsa_exception_fp_ieee_invalid_op 0
		.amdhsa_exception_fp_denorm_src 0
		.amdhsa_exception_fp_ieee_div_zero 0
		.amdhsa_exception_fp_ieee_overflow 0
		.amdhsa_exception_fp_ieee_underflow 0
		.amdhsa_exception_fp_ieee_inexact 0
		.amdhsa_exception_int_div_zero 0
	.end_amdhsa_kernel
	.section	.text._ZN7rocprim17ROCPRIM_400000_NS6detail44device_merge_sort_compile_time_verifier_archINS1_11comp_targetILNS1_3genE10ELNS1_11target_archE1200ELNS1_3gpuE4ELNS1_3repE0EEENS3_ILS4_10ELS5_1201ELS6_5ELS7_0EEENS1_28merge_sort_block_sort_configILj256ELj4ELNS0_20block_sort_algorithmE0EEENS0_14default_configENS1_37merge_sort_block_sort_config_selectorIiiEENS1_38merge_sort_block_merge_config_selectorIiiEEEEvv,"axG",@progbits,_ZN7rocprim17ROCPRIM_400000_NS6detail44device_merge_sort_compile_time_verifier_archINS1_11comp_targetILNS1_3genE10ELNS1_11target_archE1200ELNS1_3gpuE4ELNS1_3repE0EEENS3_ILS4_10ELS5_1201ELS6_5ELS7_0EEENS1_28merge_sort_block_sort_configILj256ELj4ELNS0_20block_sort_algorithmE0EEENS0_14default_configENS1_37merge_sort_block_sort_config_selectorIiiEENS1_38merge_sort_block_merge_config_selectorIiiEEEEvv,comdat
.Lfunc_end298:
	.size	_ZN7rocprim17ROCPRIM_400000_NS6detail44device_merge_sort_compile_time_verifier_archINS1_11comp_targetILNS1_3genE10ELNS1_11target_archE1200ELNS1_3gpuE4ELNS1_3repE0EEENS3_ILS4_10ELS5_1201ELS6_5ELS7_0EEENS1_28merge_sort_block_sort_configILj256ELj4ELNS0_20block_sort_algorithmE0EEENS0_14default_configENS1_37merge_sort_block_sort_config_selectorIiiEENS1_38merge_sort_block_merge_config_selectorIiiEEEEvv, .Lfunc_end298-_ZN7rocprim17ROCPRIM_400000_NS6detail44device_merge_sort_compile_time_verifier_archINS1_11comp_targetILNS1_3genE10ELNS1_11target_archE1200ELNS1_3gpuE4ELNS1_3repE0EEENS3_ILS4_10ELS5_1201ELS6_5ELS7_0EEENS1_28merge_sort_block_sort_configILj256ELj4ELNS0_20block_sort_algorithmE0EEENS0_14default_configENS1_37merge_sort_block_sort_config_selectorIiiEENS1_38merge_sort_block_merge_config_selectorIiiEEEEvv
                                        ; -- End function
	.section	.AMDGPU.csdata,"",@progbits
; Kernel info:
; codeLenInByte = 4
; NumSgprs: 4
; NumVgprs: 0
; NumAgprs: 0
; TotalNumVgprs: 0
; ScratchSize: 0
; MemoryBound: 0
; FloatMode: 240
; IeeeMode: 1
; LDSByteSize: 0 bytes/workgroup (compile time only)
; SGPRBlocks: 0
; VGPRBlocks: 0
; NumSGPRsForWavesPerEU: 4
; NumVGPRsForWavesPerEU: 1
; AccumOffset: 4
; Occupancy: 8
; WaveLimiterHint : 0
; COMPUTE_PGM_RSRC2:SCRATCH_EN: 0
; COMPUTE_PGM_RSRC2:USER_SGPR: 4
; COMPUTE_PGM_RSRC2:TRAP_HANDLER: 0
; COMPUTE_PGM_RSRC2:TGID_X_EN: 1
; COMPUTE_PGM_RSRC2:TGID_Y_EN: 0
; COMPUTE_PGM_RSRC2:TGID_Z_EN: 0
; COMPUTE_PGM_RSRC2:TIDIG_COMP_CNT: 0
; COMPUTE_PGM_RSRC3_GFX90A:ACCUM_OFFSET: 0
; COMPUTE_PGM_RSRC3_GFX90A:TG_SPLIT: 0
	.section	.text._ZN7rocprim17ROCPRIM_400000_NS6detail44device_merge_sort_compile_time_verifier_archINS1_11comp_targetILNS1_3genE9ELNS1_11target_archE1100ELNS1_3gpuE3ELNS1_3repE0EEES8_NS1_28merge_sort_block_sort_configILj256ELj4ELNS0_20block_sort_algorithmE0EEENS0_14default_configENS1_37merge_sort_block_sort_config_selectorIiiEENS1_38merge_sort_block_merge_config_selectorIiiEEEEvv,"axG",@progbits,_ZN7rocprim17ROCPRIM_400000_NS6detail44device_merge_sort_compile_time_verifier_archINS1_11comp_targetILNS1_3genE9ELNS1_11target_archE1100ELNS1_3gpuE3ELNS1_3repE0EEES8_NS1_28merge_sort_block_sort_configILj256ELj4ELNS0_20block_sort_algorithmE0EEENS0_14default_configENS1_37merge_sort_block_sort_config_selectorIiiEENS1_38merge_sort_block_merge_config_selectorIiiEEEEvv,comdat
	.protected	_ZN7rocprim17ROCPRIM_400000_NS6detail44device_merge_sort_compile_time_verifier_archINS1_11comp_targetILNS1_3genE9ELNS1_11target_archE1100ELNS1_3gpuE3ELNS1_3repE0EEES8_NS1_28merge_sort_block_sort_configILj256ELj4ELNS0_20block_sort_algorithmE0EEENS0_14default_configENS1_37merge_sort_block_sort_config_selectorIiiEENS1_38merge_sort_block_merge_config_selectorIiiEEEEvv ; -- Begin function _ZN7rocprim17ROCPRIM_400000_NS6detail44device_merge_sort_compile_time_verifier_archINS1_11comp_targetILNS1_3genE9ELNS1_11target_archE1100ELNS1_3gpuE3ELNS1_3repE0EEES8_NS1_28merge_sort_block_sort_configILj256ELj4ELNS0_20block_sort_algorithmE0EEENS0_14default_configENS1_37merge_sort_block_sort_config_selectorIiiEENS1_38merge_sort_block_merge_config_selectorIiiEEEEvv
	.globl	_ZN7rocprim17ROCPRIM_400000_NS6detail44device_merge_sort_compile_time_verifier_archINS1_11comp_targetILNS1_3genE9ELNS1_11target_archE1100ELNS1_3gpuE3ELNS1_3repE0EEES8_NS1_28merge_sort_block_sort_configILj256ELj4ELNS0_20block_sort_algorithmE0EEENS0_14default_configENS1_37merge_sort_block_sort_config_selectorIiiEENS1_38merge_sort_block_merge_config_selectorIiiEEEEvv
	.p2align	8
	.type	_ZN7rocprim17ROCPRIM_400000_NS6detail44device_merge_sort_compile_time_verifier_archINS1_11comp_targetILNS1_3genE9ELNS1_11target_archE1100ELNS1_3gpuE3ELNS1_3repE0EEES8_NS1_28merge_sort_block_sort_configILj256ELj4ELNS0_20block_sort_algorithmE0EEENS0_14default_configENS1_37merge_sort_block_sort_config_selectorIiiEENS1_38merge_sort_block_merge_config_selectorIiiEEEEvv,@function
_ZN7rocprim17ROCPRIM_400000_NS6detail44device_merge_sort_compile_time_verifier_archINS1_11comp_targetILNS1_3genE9ELNS1_11target_archE1100ELNS1_3gpuE3ELNS1_3repE0EEES8_NS1_28merge_sort_block_sort_configILj256ELj4ELNS0_20block_sort_algorithmE0EEENS0_14default_configENS1_37merge_sort_block_sort_config_selectorIiiEENS1_38merge_sort_block_merge_config_selectorIiiEEEEvv: ; @_ZN7rocprim17ROCPRIM_400000_NS6detail44device_merge_sort_compile_time_verifier_archINS1_11comp_targetILNS1_3genE9ELNS1_11target_archE1100ELNS1_3gpuE3ELNS1_3repE0EEES8_NS1_28merge_sort_block_sort_configILj256ELj4ELNS0_20block_sort_algorithmE0EEENS0_14default_configENS1_37merge_sort_block_sort_config_selectorIiiEENS1_38merge_sort_block_merge_config_selectorIiiEEEEvv
; %bb.0:
	s_endpgm
	.section	.rodata,"a",@progbits
	.p2align	6, 0x0
	.amdhsa_kernel _ZN7rocprim17ROCPRIM_400000_NS6detail44device_merge_sort_compile_time_verifier_archINS1_11comp_targetILNS1_3genE9ELNS1_11target_archE1100ELNS1_3gpuE3ELNS1_3repE0EEES8_NS1_28merge_sort_block_sort_configILj256ELj4ELNS0_20block_sort_algorithmE0EEENS0_14default_configENS1_37merge_sort_block_sort_config_selectorIiiEENS1_38merge_sort_block_merge_config_selectorIiiEEEEvv
		.amdhsa_group_segment_fixed_size 0
		.amdhsa_private_segment_fixed_size 0
		.amdhsa_kernarg_size 0
		.amdhsa_user_sgpr_count 4
		.amdhsa_user_sgpr_private_segment_buffer 1
		.amdhsa_user_sgpr_dispatch_ptr 0
		.amdhsa_user_sgpr_queue_ptr 0
		.amdhsa_user_sgpr_kernarg_segment_ptr 0
		.amdhsa_user_sgpr_dispatch_id 0
		.amdhsa_user_sgpr_flat_scratch_init 0
		.amdhsa_user_sgpr_kernarg_preload_length 0
		.amdhsa_user_sgpr_kernarg_preload_offset 0
		.amdhsa_user_sgpr_private_segment_size 0
		.amdhsa_uses_dynamic_stack 0
		.amdhsa_system_sgpr_private_segment_wavefront_offset 0
		.amdhsa_system_sgpr_workgroup_id_x 1
		.amdhsa_system_sgpr_workgroup_id_y 0
		.amdhsa_system_sgpr_workgroup_id_z 0
		.amdhsa_system_sgpr_workgroup_info 0
		.amdhsa_system_vgpr_workitem_id 0
		.amdhsa_next_free_vgpr 1
		.amdhsa_next_free_sgpr 0
		.amdhsa_accum_offset 4
		.amdhsa_reserve_vcc 0
		.amdhsa_reserve_flat_scratch 0
		.amdhsa_float_round_mode_32 0
		.amdhsa_float_round_mode_16_64 0
		.amdhsa_float_denorm_mode_32 3
		.amdhsa_float_denorm_mode_16_64 3
		.amdhsa_dx10_clamp 1
		.amdhsa_ieee_mode 1
		.amdhsa_fp16_overflow 0
		.amdhsa_tg_split 0
		.amdhsa_exception_fp_ieee_invalid_op 0
		.amdhsa_exception_fp_denorm_src 0
		.amdhsa_exception_fp_ieee_div_zero 0
		.amdhsa_exception_fp_ieee_overflow 0
		.amdhsa_exception_fp_ieee_underflow 0
		.amdhsa_exception_fp_ieee_inexact 0
		.amdhsa_exception_int_div_zero 0
	.end_amdhsa_kernel
	.section	.text._ZN7rocprim17ROCPRIM_400000_NS6detail44device_merge_sort_compile_time_verifier_archINS1_11comp_targetILNS1_3genE9ELNS1_11target_archE1100ELNS1_3gpuE3ELNS1_3repE0EEES8_NS1_28merge_sort_block_sort_configILj256ELj4ELNS0_20block_sort_algorithmE0EEENS0_14default_configENS1_37merge_sort_block_sort_config_selectorIiiEENS1_38merge_sort_block_merge_config_selectorIiiEEEEvv,"axG",@progbits,_ZN7rocprim17ROCPRIM_400000_NS6detail44device_merge_sort_compile_time_verifier_archINS1_11comp_targetILNS1_3genE9ELNS1_11target_archE1100ELNS1_3gpuE3ELNS1_3repE0EEES8_NS1_28merge_sort_block_sort_configILj256ELj4ELNS0_20block_sort_algorithmE0EEENS0_14default_configENS1_37merge_sort_block_sort_config_selectorIiiEENS1_38merge_sort_block_merge_config_selectorIiiEEEEvv,comdat
.Lfunc_end299:
	.size	_ZN7rocprim17ROCPRIM_400000_NS6detail44device_merge_sort_compile_time_verifier_archINS1_11comp_targetILNS1_3genE9ELNS1_11target_archE1100ELNS1_3gpuE3ELNS1_3repE0EEES8_NS1_28merge_sort_block_sort_configILj256ELj4ELNS0_20block_sort_algorithmE0EEENS0_14default_configENS1_37merge_sort_block_sort_config_selectorIiiEENS1_38merge_sort_block_merge_config_selectorIiiEEEEvv, .Lfunc_end299-_ZN7rocprim17ROCPRIM_400000_NS6detail44device_merge_sort_compile_time_verifier_archINS1_11comp_targetILNS1_3genE9ELNS1_11target_archE1100ELNS1_3gpuE3ELNS1_3repE0EEES8_NS1_28merge_sort_block_sort_configILj256ELj4ELNS0_20block_sort_algorithmE0EEENS0_14default_configENS1_37merge_sort_block_sort_config_selectorIiiEENS1_38merge_sort_block_merge_config_selectorIiiEEEEvv
                                        ; -- End function
	.section	.AMDGPU.csdata,"",@progbits
; Kernel info:
; codeLenInByte = 4
; NumSgprs: 4
; NumVgprs: 0
; NumAgprs: 0
; TotalNumVgprs: 0
; ScratchSize: 0
; MemoryBound: 0
; FloatMode: 240
; IeeeMode: 1
; LDSByteSize: 0 bytes/workgroup (compile time only)
; SGPRBlocks: 0
; VGPRBlocks: 0
; NumSGPRsForWavesPerEU: 4
; NumVGPRsForWavesPerEU: 1
; AccumOffset: 4
; Occupancy: 8
; WaveLimiterHint : 0
; COMPUTE_PGM_RSRC2:SCRATCH_EN: 0
; COMPUTE_PGM_RSRC2:USER_SGPR: 4
; COMPUTE_PGM_RSRC2:TRAP_HANDLER: 0
; COMPUTE_PGM_RSRC2:TGID_X_EN: 1
; COMPUTE_PGM_RSRC2:TGID_Y_EN: 0
; COMPUTE_PGM_RSRC2:TGID_Z_EN: 0
; COMPUTE_PGM_RSRC2:TIDIG_COMP_CNT: 0
; COMPUTE_PGM_RSRC3_GFX90A:ACCUM_OFFSET: 0
; COMPUTE_PGM_RSRC3_GFX90A:TG_SPLIT: 0
	.section	.text._ZN7rocprim17ROCPRIM_400000_NS6detail44device_merge_sort_compile_time_verifier_archINS1_11comp_targetILNS1_3genE8ELNS1_11target_archE1030ELNS1_3gpuE2ELNS1_3repE0EEES8_NS1_28merge_sort_block_sort_configILj256ELj4ELNS0_20block_sort_algorithmE0EEENS0_14default_configENS1_37merge_sort_block_sort_config_selectorIiiEENS1_38merge_sort_block_merge_config_selectorIiiEEEEvv,"axG",@progbits,_ZN7rocprim17ROCPRIM_400000_NS6detail44device_merge_sort_compile_time_verifier_archINS1_11comp_targetILNS1_3genE8ELNS1_11target_archE1030ELNS1_3gpuE2ELNS1_3repE0EEES8_NS1_28merge_sort_block_sort_configILj256ELj4ELNS0_20block_sort_algorithmE0EEENS0_14default_configENS1_37merge_sort_block_sort_config_selectorIiiEENS1_38merge_sort_block_merge_config_selectorIiiEEEEvv,comdat
	.protected	_ZN7rocprim17ROCPRIM_400000_NS6detail44device_merge_sort_compile_time_verifier_archINS1_11comp_targetILNS1_3genE8ELNS1_11target_archE1030ELNS1_3gpuE2ELNS1_3repE0EEES8_NS1_28merge_sort_block_sort_configILj256ELj4ELNS0_20block_sort_algorithmE0EEENS0_14default_configENS1_37merge_sort_block_sort_config_selectorIiiEENS1_38merge_sort_block_merge_config_selectorIiiEEEEvv ; -- Begin function _ZN7rocprim17ROCPRIM_400000_NS6detail44device_merge_sort_compile_time_verifier_archINS1_11comp_targetILNS1_3genE8ELNS1_11target_archE1030ELNS1_3gpuE2ELNS1_3repE0EEES8_NS1_28merge_sort_block_sort_configILj256ELj4ELNS0_20block_sort_algorithmE0EEENS0_14default_configENS1_37merge_sort_block_sort_config_selectorIiiEENS1_38merge_sort_block_merge_config_selectorIiiEEEEvv
	.globl	_ZN7rocprim17ROCPRIM_400000_NS6detail44device_merge_sort_compile_time_verifier_archINS1_11comp_targetILNS1_3genE8ELNS1_11target_archE1030ELNS1_3gpuE2ELNS1_3repE0EEES8_NS1_28merge_sort_block_sort_configILj256ELj4ELNS0_20block_sort_algorithmE0EEENS0_14default_configENS1_37merge_sort_block_sort_config_selectorIiiEENS1_38merge_sort_block_merge_config_selectorIiiEEEEvv
	.p2align	8
	.type	_ZN7rocprim17ROCPRIM_400000_NS6detail44device_merge_sort_compile_time_verifier_archINS1_11comp_targetILNS1_3genE8ELNS1_11target_archE1030ELNS1_3gpuE2ELNS1_3repE0EEES8_NS1_28merge_sort_block_sort_configILj256ELj4ELNS0_20block_sort_algorithmE0EEENS0_14default_configENS1_37merge_sort_block_sort_config_selectorIiiEENS1_38merge_sort_block_merge_config_selectorIiiEEEEvv,@function
_ZN7rocprim17ROCPRIM_400000_NS6detail44device_merge_sort_compile_time_verifier_archINS1_11comp_targetILNS1_3genE8ELNS1_11target_archE1030ELNS1_3gpuE2ELNS1_3repE0EEES8_NS1_28merge_sort_block_sort_configILj256ELj4ELNS0_20block_sort_algorithmE0EEENS0_14default_configENS1_37merge_sort_block_sort_config_selectorIiiEENS1_38merge_sort_block_merge_config_selectorIiiEEEEvv: ; @_ZN7rocprim17ROCPRIM_400000_NS6detail44device_merge_sort_compile_time_verifier_archINS1_11comp_targetILNS1_3genE8ELNS1_11target_archE1030ELNS1_3gpuE2ELNS1_3repE0EEES8_NS1_28merge_sort_block_sort_configILj256ELj4ELNS0_20block_sort_algorithmE0EEENS0_14default_configENS1_37merge_sort_block_sort_config_selectorIiiEENS1_38merge_sort_block_merge_config_selectorIiiEEEEvv
; %bb.0:
	s_endpgm
	.section	.rodata,"a",@progbits
	.p2align	6, 0x0
	.amdhsa_kernel _ZN7rocprim17ROCPRIM_400000_NS6detail44device_merge_sort_compile_time_verifier_archINS1_11comp_targetILNS1_3genE8ELNS1_11target_archE1030ELNS1_3gpuE2ELNS1_3repE0EEES8_NS1_28merge_sort_block_sort_configILj256ELj4ELNS0_20block_sort_algorithmE0EEENS0_14default_configENS1_37merge_sort_block_sort_config_selectorIiiEENS1_38merge_sort_block_merge_config_selectorIiiEEEEvv
		.amdhsa_group_segment_fixed_size 0
		.amdhsa_private_segment_fixed_size 0
		.amdhsa_kernarg_size 0
		.amdhsa_user_sgpr_count 4
		.amdhsa_user_sgpr_private_segment_buffer 1
		.amdhsa_user_sgpr_dispatch_ptr 0
		.amdhsa_user_sgpr_queue_ptr 0
		.amdhsa_user_sgpr_kernarg_segment_ptr 0
		.amdhsa_user_sgpr_dispatch_id 0
		.amdhsa_user_sgpr_flat_scratch_init 0
		.amdhsa_user_sgpr_kernarg_preload_length 0
		.amdhsa_user_sgpr_kernarg_preload_offset 0
		.amdhsa_user_sgpr_private_segment_size 0
		.amdhsa_uses_dynamic_stack 0
		.amdhsa_system_sgpr_private_segment_wavefront_offset 0
		.amdhsa_system_sgpr_workgroup_id_x 1
		.amdhsa_system_sgpr_workgroup_id_y 0
		.amdhsa_system_sgpr_workgroup_id_z 0
		.amdhsa_system_sgpr_workgroup_info 0
		.amdhsa_system_vgpr_workitem_id 0
		.amdhsa_next_free_vgpr 1
		.amdhsa_next_free_sgpr 0
		.amdhsa_accum_offset 4
		.amdhsa_reserve_vcc 0
		.amdhsa_reserve_flat_scratch 0
		.amdhsa_float_round_mode_32 0
		.amdhsa_float_round_mode_16_64 0
		.amdhsa_float_denorm_mode_32 3
		.amdhsa_float_denorm_mode_16_64 3
		.amdhsa_dx10_clamp 1
		.amdhsa_ieee_mode 1
		.amdhsa_fp16_overflow 0
		.amdhsa_tg_split 0
		.amdhsa_exception_fp_ieee_invalid_op 0
		.amdhsa_exception_fp_denorm_src 0
		.amdhsa_exception_fp_ieee_div_zero 0
		.amdhsa_exception_fp_ieee_overflow 0
		.amdhsa_exception_fp_ieee_underflow 0
		.amdhsa_exception_fp_ieee_inexact 0
		.amdhsa_exception_int_div_zero 0
	.end_amdhsa_kernel
	.section	.text._ZN7rocprim17ROCPRIM_400000_NS6detail44device_merge_sort_compile_time_verifier_archINS1_11comp_targetILNS1_3genE8ELNS1_11target_archE1030ELNS1_3gpuE2ELNS1_3repE0EEES8_NS1_28merge_sort_block_sort_configILj256ELj4ELNS0_20block_sort_algorithmE0EEENS0_14default_configENS1_37merge_sort_block_sort_config_selectorIiiEENS1_38merge_sort_block_merge_config_selectorIiiEEEEvv,"axG",@progbits,_ZN7rocprim17ROCPRIM_400000_NS6detail44device_merge_sort_compile_time_verifier_archINS1_11comp_targetILNS1_3genE8ELNS1_11target_archE1030ELNS1_3gpuE2ELNS1_3repE0EEES8_NS1_28merge_sort_block_sort_configILj256ELj4ELNS0_20block_sort_algorithmE0EEENS0_14default_configENS1_37merge_sort_block_sort_config_selectorIiiEENS1_38merge_sort_block_merge_config_selectorIiiEEEEvv,comdat
.Lfunc_end300:
	.size	_ZN7rocprim17ROCPRIM_400000_NS6detail44device_merge_sort_compile_time_verifier_archINS1_11comp_targetILNS1_3genE8ELNS1_11target_archE1030ELNS1_3gpuE2ELNS1_3repE0EEES8_NS1_28merge_sort_block_sort_configILj256ELj4ELNS0_20block_sort_algorithmE0EEENS0_14default_configENS1_37merge_sort_block_sort_config_selectorIiiEENS1_38merge_sort_block_merge_config_selectorIiiEEEEvv, .Lfunc_end300-_ZN7rocprim17ROCPRIM_400000_NS6detail44device_merge_sort_compile_time_verifier_archINS1_11comp_targetILNS1_3genE8ELNS1_11target_archE1030ELNS1_3gpuE2ELNS1_3repE0EEES8_NS1_28merge_sort_block_sort_configILj256ELj4ELNS0_20block_sort_algorithmE0EEENS0_14default_configENS1_37merge_sort_block_sort_config_selectorIiiEENS1_38merge_sort_block_merge_config_selectorIiiEEEEvv
                                        ; -- End function
	.section	.AMDGPU.csdata,"",@progbits
; Kernel info:
; codeLenInByte = 4
; NumSgprs: 4
; NumVgprs: 0
; NumAgprs: 0
; TotalNumVgprs: 0
; ScratchSize: 0
; MemoryBound: 0
; FloatMode: 240
; IeeeMode: 1
; LDSByteSize: 0 bytes/workgroup (compile time only)
; SGPRBlocks: 0
; VGPRBlocks: 0
; NumSGPRsForWavesPerEU: 4
; NumVGPRsForWavesPerEU: 1
; AccumOffset: 4
; Occupancy: 8
; WaveLimiterHint : 0
; COMPUTE_PGM_RSRC2:SCRATCH_EN: 0
; COMPUTE_PGM_RSRC2:USER_SGPR: 4
; COMPUTE_PGM_RSRC2:TRAP_HANDLER: 0
; COMPUTE_PGM_RSRC2:TGID_X_EN: 1
; COMPUTE_PGM_RSRC2:TGID_Y_EN: 0
; COMPUTE_PGM_RSRC2:TGID_Z_EN: 0
; COMPUTE_PGM_RSRC2:TIDIG_COMP_CNT: 0
; COMPUTE_PGM_RSRC3_GFX90A:ACCUM_OFFSET: 0
; COMPUTE_PGM_RSRC3_GFX90A:TG_SPLIT: 0
	.section	.text._ZN7rocprim17ROCPRIM_400000_NS6detail17trampoline_kernelINS0_14default_configENS1_38merge_sort_block_merge_config_selectorIiiEEZZNS1_27merge_sort_block_merge_implIS3_PiS7_jNS1_19radix_merge_compareILb0ELb0EiNS0_19identity_decomposerEEEEE10hipError_tT0_T1_T2_jT3_P12ihipStream_tbPNSt15iterator_traitsISC_E10value_typeEPNSI_ISD_E10value_typeEPSE_NS1_7vsmem_tEENKUlT_SC_SD_SE_E_clIS7_S7_S7_S7_EESB_SR_SC_SD_SE_EUlSR_E_NS1_11comp_targetILNS1_3genE0ELNS1_11target_archE4294967295ELNS1_3gpuE0ELNS1_3repE0EEENS1_48merge_mergepath_partition_config_static_selectorELNS0_4arch9wavefront6targetE1EEEvSD_,"axG",@progbits,_ZN7rocprim17ROCPRIM_400000_NS6detail17trampoline_kernelINS0_14default_configENS1_38merge_sort_block_merge_config_selectorIiiEEZZNS1_27merge_sort_block_merge_implIS3_PiS7_jNS1_19radix_merge_compareILb0ELb0EiNS0_19identity_decomposerEEEEE10hipError_tT0_T1_T2_jT3_P12ihipStream_tbPNSt15iterator_traitsISC_E10value_typeEPNSI_ISD_E10value_typeEPSE_NS1_7vsmem_tEENKUlT_SC_SD_SE_E_clIS7_S7_S7_S7_EESB_SR_SC_SD_SE_EUlSR_E_NS1_11comp_targetILNS1_3genE0ELNS1_11target_archE4294967295ELNS1_3gpuE0ELNS1_3repE0EEENS1_48merge_mergepath_partition_config_static_selectorELNS0_4arch9wavefront6targetE1EEEvSD_,comdat
	.protected	_ZN7rocprim17ROCPRIM_400000_NS6detail17trampoline_kernelINS0_14default_configENS1_38merge_sort_block_merge_config_selectorIiiEEZZNS1_27merge_sort_block_merge_implIS3_PiS7_jNS1_19radix_merge_compareILb0ELb0EiNS0_19identity_decomposerEEEEE10hipError_tT0_T1_T2_jT3_P12ihipStream_tbPNSt15iterator_traitsISC_E10value_typeEPNSI_ISD_E10value_typeEPSE_NS1_7vsmem_tEENKUlT_SC_SD_SE_E_clIS7_S7_S7_S7_EESB_SR_SC_SD_SE_EUlSR_E_NS1_11comp_targetILNS1_3genE0ELNS1_11target_archE4294967295ELNS1_3gpuE0ELNS1_3repE0EEENS1_48merge_mergepath_partition_config_static_selectorELNS0_4arch9wavefront6targetE1EEEvSD_ ; -- Begin function _ZN7rocprim17ROCPRIM_400000_NS6detail17trampoline_kernelINS0_14default_configENS1_38merge_sort_block_merge_config_selectorIiiEEZZNS1_27merge_sort_block_merge_implIS3_PiS7_jNS1_19radix_merge_compareILb0ELb0EiNS0_19identity_decomposerEEEEE10hipError_tT0_T1_T2_jT3_P12ihipStream_tbPNSt15iterator_traitsISC_E10value_typeEPNSI_ISD_E10value_typeEPSE_NS1_7vsmem_tEENKUlT_SC_SD_SE_E_clIS7_S7_S7_S7_EESB_SR_SC_SD_SE_EUlSR_E_NS1_11comp_targetILNS1_3genE0ELNS1_11target_archE4294967295ELNS1_3gpuE0ELNS1_3repE0EEENS1_48merge_mergepath_partition_config_static_selectorELNS0_4arch9wavefront6targetE1EEEvSD_
	.globl	_ZN7rocprim17ROCPRIM_400000_NS6detail17trampoline_kernelINS0_14default_configENS1_38merge_sort_block_merge_config_selectorIiiEEZZNS1_27merge_sort_block_merge_implIS3_PiS7_jNS1_19radix_merge_compareILb0ELb0EiNS0_19identity_decomposerEEEEE10hipError_tT0_T1_T2_jT3_P12ihipStream_tbPNSt15iterator_traitsISC_E10value_typeEPNSI_ISD_E10value_typeEPSE_NS1_7vsmem_tEENKUlT_SC_SD_SE_E_clIS7_S7_S7_S7_EESB_SR_SC_SD_SE_EUlSR_E_NS1_11comp_targetILNS1_3genE0ELNS1_11target_archE4294967295ELNS1_3gpuE0ELNS1_3repE0EEENS1_48merge_mergepath_partition_config_static_selectorELNS0_4arch9wavefront6targetE1EEEvSD_
	.p2align	8
	.type	_ZN7rocprim17ROCPRIM_400000_NS6detail17trampoline_kernelINS0_14default_configENS1_38merge_sort_block_merge_config_selectorIiiEEZZNS1_27merge_sort_block_merge_implIS3_PiS7_jNS1_19radix_merge_compareILb0ELb0EiNS0_19identity_decomposerEEEEE10hipError_tT0_T1_T2_jT3_P12ihipStream_tbPNSt15iterator_traitsISC_E10value_typeEPNSI_ISD_E10value_typeEPSE_NS1_7vsmem_tEENKUlT_SC_SD_SE_E_clIS7_S7_S7_S7_EESB_SR_SC_SD_SE_EUlSR_E_NS1_11comp_targetILNS1_3genE0ELNS1_11target_archE4294967295ELNS1_3gpuE0ELNS1_3repE0EEENS1_48merge_mergepath_partition_config_static_selectorELNS0_4arch9wavefront6targetE1EEEvSD_,@function
_ZN7rocprim17ROCPRIM_400000_NS6detail17trampoline_kernelINS0_14default_configENS1_38merge_sort_block_merge_config_selectorIiiEEZZNS1_27merge_sort_block_merge_implIS3_PiS7_jNS1_19radix_merge_compareILb0ELb0EiNS0_19identity_decomposerEEEEE10hipError_tT0_T1_T2_jT3_P12ihipStream_tbPNSt15iterator_traitsISC_E10value_typeEPNSI_ISD_E10value_typeEPSE_NS1_7vsmem_tEENKUlT_SC_SD_SE_E_clIS7_S7_S7_S7_EESB_SR_SC_SD_SE_EUlSR_E_NS1_11comp_targetILNS1_3genE0ELNS1_11target_archE4294967295ELNS1_3gpuE0ELNS1_3repE0EEENS1_48merge_mergepath_partition_config_static_selectorELNS0_4arch9wavefront6targetE1EEEvSD_: ; @_ZN7rocprim17ROCPRIM_400000_NS6detail17trampoline_kernelINS0_14default_configENS1_38merge_sort_block_merge_config_selectorIiiEEZZNS1_27merge_sort_block_merge_implIS3_PiS7_jNS1_19radix_merge_compareILb0ELb0EiNS0_19identity_decomposerEEEEE10hipError_tT0_T1_T2_jT3_P12ihipStream_tbPNSt15iterator_traitsISC_E10value_typeEPNSI_ISD_E10value_typeEPSE_NS1_7vsmem_tEENKUlT_SC_SD_SE_E_clIS7_S7_S7_S7_EESB_SR_SC_SD_SE_EUlSR_E_NS1_11comp_targetILNS1_3genE0ELNS1_11target_archE4294967295ELNS1_3gpuE0ELNS1_3repE0EEENS1_48merge_mergepath_partition_config_static_selectorELNS0_4arch9wavefront6targetE1EEEvSD_
; %bb.0:
	.section	.rodata,"a",@progbits
	.p2align	6, 0x0
	.amdhsa_kernel _ZN7rocprim17ROCPRIM_400000_NS6detail17trampoline_kernelINS0_14default_configENS1_38merge_sort_block_merge_config_selectorIiiEEZZNS1_27merge_sort_block_merge_implIS3_PiS7_jNS1_19radix_merge_compareILb0ELb0EiNS0_19identity_decomposerEEEEE10hipError_tT0_T1_T2_jT3_P12ihipStream_tbPNSt15iterator_traitsISC_E10value_typeEPNSI_ISD_E10value_typeEPSE_NS1_7vsmem_tEENKUlT_SC_SD_SE_E_clIS7_S7_S7_S7_EESB_SR_SC_SD_SE_EUlSR_E_NS1_11comp_targetILNS1_3genE0ELNS1_11target_archE4294967295ELNS1_3gpuE0ELNS1_3repE0EEENS1_48merge_mergepath_partition_config_static_selectorELNS0_4arch9wavefront6targetE1EEEvSD_
		.amdhsa_group_segment_fixed_size 0
		.amdhsa_private_segment_fixed_size 0
		.amdhsa_kernarg_size 40
		.amdhsa_user_sgpr_count 6
		.amdhsa_user_sgpr_private_segment_buffer 1
		.amdhsa_user_sgpr_dispatch_ptr 0
		.amdhsa_user_sgpr_queue_ptr 0
		.amdhsa_user_sgpr_kernarg_segment_ptr 1
		.amdhsa_user_sgpr_dispatch_id 0
		.amdhsa_user_sgpr_flat_scratch_init 0
		.amdhsa_user_sgpr_kernarg_preload_length 0
		.amdhsa_user_sgpr_kernarg_preload_offset 0
		.amdhsa_user_sgpr_private_segment_size 0
		.amdhsa_uses_dynamic_stack 0
		.amdhsa_system_sgpr_private_segment_wavefront_offset 0
		.amdhsa_system_sgpr_workgroup_id_x 1
		.amdhsa_system_sgpr_workgroup_id_y 0
		.amdhsa_system_sgpr_workgroup_id_z 0
		.amdhsa_system_sgpr_workgroup_info 0
		.amdhsa_system_vgpr_workitem_id 0
		.amdhsa_next_free_vgpr 1
		.amdhsa_next_free_sgpr 0
		.amdhsa_accum_offset 4
		.amdhsa_reserve_vcc 0
		.amdhsa_reserve_flat_scratch 0
		.amdhsa_float_round_mode_32 0
		.amdhsa_float_round_mode_16_64 0
		.amdhsa_float_denorm_mode_32 3
		.amdhsa_float_denorm_mode_16_64 3
		.amdhsa_dx10_clamp 1
		.amdhsa_ieee_mode 1
		.amdhsa_fp16_overflow 0
		.amdhsa_tg_split 0
		.amdhsa_exception_fp_ieee_invalid_op 0
		.amdhsa_exception_fp_denorm_src 0
		.amdhsa_exception_fp_ieee_div_zero 0
		.amdhsa_exception_fp_ieee_overflow 0
		.amdhsa_exception_fp_ieee_underflow 0
		.amdhsa_exception_fp_ieee_inexact 0
		.amdhsa_exception_int_div_zero 0
	.end_amdhsa_kernel
	.section	.text._ZN7rocprim17ROCPRIM_400000_NS6detail17trampoline_kernelINS0_14default_configENS1_38merge_sort_block_merge_config_selectorIiiEEZZNS1_27merge_sort_block_merge_implIS3_PiS7_jNS1_19radix_merge_compareILb0ELb0EiNS0_19identity_decomposerEEEEE10hipError_tT0_T1_T2_jT3_P12ihipStream_tbPNSt15iterator_traitsISC_E10value_typeEPNSI_ISD_E10value_typeEPSE_NS1_7vsmem_tEENKUlT_SC_SD_SE_E_clIS7_S7_S7_S7_EESB_SR_SC_SD_SE_EUlSR_E_NS1_11comp_targetILNS1_3genE0ELNS1_11target_archE4294967295ELNS1_3gpuE0ELNS1_3repE0EEENS1_48merge_mergepath_partition_config_static_selectorELNS0_4arch9wavefront6targetE1EEEvSD_,"axG",@progbits,_ZN7rocprim17ROCPRIM_400000_NS6detail17trampoline_kernelINS0_14default_configENS1_38merge_sort_block_merge_config_selectorIiiEEZZNS1_27merge_sort_block_merge_implIS3_PiS7_jNS1_19radix_merge_compareILb0ELb0EiNS0_19identity_decomposerEEEEE10hipError_tT0_T1_T2_jT3_P12ihipStream_tbPNSt15iterator_traitsISC_E10value_typeEPNSI_ISD_E10value_typeEPSE_NS1_7vsmem_tEENKUlT_SC_SD_SE_E_clIS7_S7_S7_S7_EESB_SR_SC_SD_SE_EUlSR_E_NS1_11comp_targetILNS1_3genE0ELNS1_11target_archE4294967295ELNS1_3gpuE0ELNS1_3repE0EEENS1_48merge_mergepath_partition_config_static_selectorELNS0_4arch9wavefront6targetE1EEEvSD_,comdat
.Lfunc_end301:
	.size	_ZN7rocprim17ROCPRIM_400000_NS6detail17trampoline_kernelINS0_14default_configENS1_38merge_sort_block_merge_config_selectorIiiEEZZNS1_27merge_sort_block_merge_implIS3_PiS7_jNS1_19radix_merge_compareILb0ELb0EiNS0_19identity_decomposerEEEEE10hipError_tT0_T1_T2_jT3_P12ihipStream_tbPNSt15iterator_traitsISC_E10value_typeEPNSI_ISD_E10value_typeEPSE_NS1_7vsmem_tEENKUlT_SC_SD_SE_E_clIS7_S7_S7_S7_EESB_SR_SC_SD_SE_EUlSR_E_NS1_11comp_targetILNS1_3genE0ELNS1_11target_archE4294967295ELNS1_3gpuE0ELNS1_3repE0EEENS1_48merge_mergepath_partition_config_static_selectorELNS0_4arch9wavefront6targetE1EEEvSD_, .Lfunc_end301-_ZN7rocprim17ROCPRIM_400000_NS6detail17trampoline_kernelINS0_14default_configENS1_38merge_sort_block_merge_config_selectorIiiEEZZNS1_27merge_sort_block_merge_implIS3_PiS7_jNS1_19radix_merge_compareILb0ELb0EiNS0_19identity_decomposerEEEEE10hipError_tT0_T1_T2_jT3_P12ihipStream_tbPNSt15iterator_traitsISC_E10value_typeEPNSI_ISD_E10value_typeEPSE_NS1_7vsmem_tEENKUlT_SC_SD_SE_E_clIS7_S7_S7_S7_EESB_SR_SC_SD_SE_EUlSR_E_NS1_11comp_targetILNS1_3genE0ELNS1_11target_archE4294967295ELNS1_3gpuE0ELNS1_3repE0EEENS1_48merge_mergepath_partition_config_static_selectorELNS0_4arch9wavefront6targetE1EEEvSD_
                                        ; -- End function
	.section	.AMDGPU.csdata,"",@progbits
; Kernel info:
; codeLenInByte = 0
; NumSgprs: 4
; NumVgprs: 0
; NumAgprs: 0
; TotalNumVgprs: 0
; ScratchSize: 0
; MemoryBound: 0
; FloatMode: 240
; IeeeMode: 1
; LDSByteSize: 0 bytes/workgroup (compile time only)
; SGPRBlocks: 0
; VGPRBlocks: 0
; NumSGPRsForWavesPerEU: 4
; NumVGPRsForWavesPerEU: 1
; AccumOffset: 4
; Occupancy: 8
; WaveLimiterHint : 0
; COMPUTE_PGM_RSRC2:SCRATCH_EN: 0
; COMPUTE_PGM_RSRC2:USER_SGPR: 6
; COMPUTE_PGM_RSRC2:TRAP_HANDLER: 0
; COMPUTE_PGM_RSRC2:TGID_X_EN: 1
; COMPUTE_PGM_RSRC2:TGID_Y_EN: 0
; COMPUTE_PGM_RSRC2:TGID_Z_EN: 0
; COMPUTE_PGM_RSRC2:TIDIG_COMP_CNT: 0
; COMPUTE_PGM_RSRC3_GFX90A:ACCUM_OFFSET: 0
; COMPUTE_PGM_RSRC3_GFX90A:TG_SPLIT: 0
	.section	.text._ZN7rocprim17ROCPRIM_400000_NS6detail17trampoline_kernelINS0_14default_configENS1_38merge_sort_block_merge_config_selectorIiiEEZZNS1_27merge_sort_block_merge_implIS3_PiS7_jNS1_19radix_merge_compareILb0ELb0EiNS0_19identity_decomposerEEEEE10hipError_tT0_T1_T2_jT3_P12ihipStream_tbPNSt15iterator_traitsISC_E10value_typeEPNSI_ISD_E10value_typeEPSE_NS1_7vsmem_tEENKUlT_SC_SD_SE_E_clIS7_S7_S7_S7_EESB_SR_SC_SD_SE_EUlSR_E_NS1_11comp_targetILNS1_3genE10ELNS1_11target_archE1201ELNS1_3gpuE5ELNS1_3repE0EEENS1_48merge_mergepath_partition_config_static_selectorELNS0_4arch9wavefront6targetE1EEEvSD_,"axG",@progbits,_ZN7rocprim17ROCPRIM_400000_NS6detail17trampoline_kernelINS0_14default_configENS1_38merge_sort_block_merge_config_selectorIiiEEZZNS1_27merge_sort_block_merge_implIS3_PiS7_jNS1_19radix_merge_compareILb0ELb0EiNS0_19identity_decomposerEEEEE10hipError_tT0_T1_T2_jT3_P12ihipStream_tbPNSt15iterator_traitsISC_E10value_typeEPNSI_ISD_E10value_typeEPSE_NS1_7vsmem_tEENKUlT_SC_SD_SE_E_clIS7_S7_S7_S7_EESB_SR_SC_SD_SE_EUlSR_E_NS1_11comp_targetILNS1_3genE10ELNS1_11target_archE1201ELNS1_3gpuE5ELNS1_3repE0EEENS1_48merge_mergepath_partition_config_static_selectorELNS0_4arch9wavefront6targetE1EEEvSD_,comdat
	.protected	_ZN7rocprim17ROCPRIM_400000_NS6detail17trampoline_kernelINS0_14default_configENS1_38merge_sort_block_merge_config_selectorIiiEEZZNS1_27merge_sort_block_merge_implIS3_PiS7_jNS1_19radix_merge_compareILb0ELb0EiNS0_19identity_decomposerEEEEE10hipError_tT0_T1_T2_jT3_P12ihipStream_tbPNSt15iterator_traitsISC_E10value_typeEPNSI_ISD_E10value_typeEPSE_NS1_7vsmem_tEENKUlT_SC_SD_SE_E_clIS7_S7_S7_S7_EESB_SR_SC_SD_SE_EUlSR_E_NS1_11comp_targetILNS1_3genE10ELNS1_11target_archE1201ELNS1_3gpuE5ELNS1_3repE0EEENS1_48merge_mergepath_partition_config_static_selectorELNS0_4arch9wavefront6targetE1EEEvSD_ ; -- Begin function _ZN7rocprim17ROCPRIM_400000_NS6detail17trampoline_kernelINS0_14default_configENS1_38merge_sort_block_merge_config_selectorIiiEEZZNS1_27merge_sort_block_merge_implIS3_PiS7_jNS1_19radix_merge_compareILb0ELb0EiNS0_19identity_decomposerEEEEE10hipError_tT0_T1_T2_jT3_P12ihipStream_tbPNSt15iterator_traitsISC_E10value_typeEPNSI_ISD_E10value_typeEPSE_NS1_7vsmem_tEENKUlT_SC_SD_SE_E_clIS7_S7_S7_S7_EESB_SR_SC_SD_SE_EUlSR_E_NS1_11comp_targetILNS1_3genE10ELNS1_11target_archE1201ELNS1_3gpuE5ELNS1_3repE0EEENS1_48merge_mergepath_partition_config_static_selectorELNS0_4arch9wavefront6targetE1EEEvSD_
	.globl	_ZN7rocprim17ROCPRIM_400000_NS6detail17trampoline_kernelINS0_14default_configENS1_38merge_sort_block_merge_config_selectorIiiEEZZNS1_27merge_sort_block_merge_implIS3_PiS7_jNS1_19radix_merge_compareILb0ELb0EiNS0_19identity_decomposerEEEEE10hipError_tT0_T1_T2_jT3_P12ihipStream_tbPNSt15iterator_traitsISC_E10value_typeEPNSI_ISD_E10value_typeEPSE_NS1_7vsmem_tEENKUlT_SC_SD_SE_E_clIS7_S7_S7_S7_EESB_SR_SC_SD_SE_EUlSR_E_NS1_11comp_targetILNS1_3genE10ELNS1_11target_archE1201ELNS1_3gpuE5ELNS1_3repE0EEENS1_48merge_mergepath_partition_config_static_selectorELNS0_4arch9wavefront6targetE1EEEvSD_
	.p2align	8
	.type	_ZN7rocprim17ROCPRIM_400000_NS6detail17trampoline_kernelINS0_14default_configENS1_38merge_sort_block_merge_config_selectorIiiEEZZNS1_27merge_sort_block_merge_implIS3_PiS7_jNS1_19radix_merge_compareILb0ELb0EiNS0_19identity_decomposerEEEEE10hipError_tT0_T1_T2_jT3_P12ihipStream_tbPNSt15iterator_traitsISC_E10value_typeEPNSI_ISD_E10value_typeEPSE_NS1_7vsmem_tEENKUlT_SC_SD_SE_E_clIS7_S7_S7_S7_EESB_SR_SC_SD_SE_EUlSR_E_NS1_11comp_targetILNS1_3genE10ELNS1_11target_archE1201ELNS1_3gpuE5ELNS1_3repE0EEENS1_48merge_mergepath_partition_config_static_selectorELNS0_4arch9wavefront6targetE1EEEvSD_,@function
_ZN7rocprim17ROCPRIM_400000_NS6detail17trampoline_kernelINS0_14default_configENS1_38merge_sort_block_merge_config_selectorIiiEEZZNS1_27merge_sort_block_merge_implIS3_PiS7_jNS1_19radix_merge_compareILb0ELb0EiNS0_19identity_decomposerEEEEE10hipError_tT0_T1_T2_jT3_P12ihipStream_tbPNSt15iterator_traitsISC_E10value_typeEPNSI_ISD_E10value_typeEPSE_NS1_7vsmem_tEENKUlT_SC_SD_SE_E_clIS7_S7_S7_S7_EESB_SR_SC_SD_SE_EUlSR_E_NS1_11comp_targetILNS1_3genE10ELNS1_11target_archE1201ELNS1_3gpuE5ELNS1_3repE0EEENS1_48merge_mergepath_partition_config_static_selectorELNS0_4arch9wavefront6targetE1EEEvSD_: ; @_ZN7rocprim17ROCPRIM_400000_NS6detail17trampoline_kernelINS0_14default_configENS1_38merge_sort_block_merge_config_selectorIiiEEZZNS1_27merge_sort_block_merge_implIS3_PiS7_jNS1_19radix_merge_compareILb0ELb0EiNS0_19identity_decomposerEEEEE10hipError_tT0_T1_T2_jT3_P12ihipStream_tbPNSt15iterator_traitsISC_E10value_typeEPNSI_ISD_E10value_typeEPSE_NS1_7vsmem_tEENKUlT_SC_SD_SE_E_clIS7_S7_S7_S7_EESB_SR_SC_SD_SE_EUlSR_E_NS1_11comp_targetILNS1_3genE10ELNS1_11target_archE1201ELNS1_3gpuE5ELNS1_3repE0EEENS1_48merge_mergepath_partition_config_static_selectorELNS0_4arch9wavefront6targetE1EEEvSD_
; %bb.0:
	.section	.rodata,"a",@progbits
	.p2align	6, 0x0
	.amdhsa_kernel _ZN7rocprim17ROCPRIM_400000_NS6detail17trampoline_kernelINS0_14default_configENS1_38merge_sort_block_merge_config_selectorIiiEEZZNS1_27merge_sort_block_merge_implIS3_PiS7_jNS1_19radix_merge_compareILb0ELb0EiNS0_19identity_decomposerEEEEE10hipError_tT0_T1_T2_jT3_P12ihipStream_tbPNSt15iterator_traitsISC_E10value_typeEPNSI_ISD_E10value_typeEPSE_NS1_7vsmem_tEENKUlT_SC_SD_SE_E_clIS7_S7_S7_S7_EESB_SR_SC_SD_SE_EUlSR_E_NS1_11comp_targetILNS1_3genE10ELNS1_11target_archE1201ELNS1_3gpuE5ELNS1_3repE0EEENS1_48merge_mergepath_partition_config_static_selectorELNS0_4arch9wavefront6targetE1EEEvSD_
		.amdhsa_group_segment_fixed_size 0
		.amdhsa_private_segment_fixed_size 0
		.amdhsa_kernarg_size 40
		.amdhsa_user_sgpr_count 6
		.amdhsa_user_sgpr_private_segment_buffer 1
		.amdhsa_user_sgpr_dispatch_ptr 0
		.amdhsa_user_sgpr_queue_ptr 0
		.amdhsa_user_sgpr_kernarg_segment_ptr 1
		.amdhsa_user_sgpr_dispatch_id 0
		.amdhsa_user_sgpr_flat_scratch_init 0
		.amdhsa_user_sgpr_kernarg_preload_length 0
		.amdhsa_user_sgpr_kernarg_preload_offset 0
		.amdhsa_user_sgpr_private_segment_size 0
		.amdhsa_uses_dynamic_stack 0
		.amdhsa_system_sgpr_private_segment_wavefront_offset 0
		.amdhsa_system_sgpr_workgroup_id_x 1
		.amdhsa_system_sgpr_workgroup_id_y 0
		.amdhsa_system_sgpr_workgroup_id_z 0
		.amdhsa_system_sgpr_workgroup_info 0
		.amdhsa_system_vgpr_workitem_id 0
		.amdhsa_next_free_vgpr 1
		.amdhsa_next_free_sgpr 0
		.amdhsa_accum_offset 4
		.amdhsa_reserve_vcc 0
		.amdhsa_reserve_flat_scratch 0
		.amdhsa_float_round_mode_32 0
		.amdhsa_float_round_mode_16_64 0
		.amdhsa_float_denorm_mode_32 3
		.amdhsa_float_denorm_mode_16_64 3
		.amdhsa_dx10_clamp 1
		.amdhsa_ieee_mode 1
		.amdhsa_fp16_overflow 0
		.amdhsa_tg_split 0
		.amdhsa_exception_fp_ieee_invalid_op 0
		.amdhsa_exception_fp_denorm_src 0
		.amdhsa_exception_fp_ieee_div_zero 0
		.amdhsa_exception_fp_ieee_overflow 0
		.amdhsa_exception_fp_ieee_underflow 0
		.amdhsa_exception_fp_ieee_inexact 0
		.amdhsa_exception_int_div_zero 0
	.end_amdhsa_kernel
	.section	.text._ZN7rocprim17ROCPRIM_400000_NS6detail17trampoline_kernelINS0_14default_configENS1_38merge_sort_block_merge_config_selectorIiiEEZZNS1_27merge_sort_block_merge_implIS3_PiS7_jNS1_19radix_merge_compareILb0ELb0EiNS0_19identity_decomposerEEEEE10hipError_tT0_T1_T2_jT3_P12ihipStream_tbPNSt15iterator_traitsISC_E10value_typeEPNSI_ISD_E10value_typeEPSE_NS1_7vsmem_tEENKUlT_SC_SD_SE_E_clIS7_S7_S7_S7_EESB_SR_SC_SD_SE_EUlSR_E_NS1_11comp_targetILNS1_3genE10ELNS1_11target_archE1201ELNS1_3gpuE5ELNS1_3repE0EEENS1_48merge_mergepath_partition_config_static_selectorELNS0_4arch9wavefront6targetE1EEEvSD_,"axG",@progbits,_ZN7rocprim17ROCPRIM_400000_NS6detail17trampoline_kernelINS0_14default_configENS1_38merge_sort_block_merge_config_selectorIiiEEZZNS1_27merge_sort_block_merge_implIS3_PiS7_jNS1_19radix_merge_compareILb0ELb0EiNS0_19identity_decomposerEEEEE10hipError_tT0_T1_T2_jT3_P12ihipStream_tbPNSt15iterator_traitsISC_E10value_typeEPNSI_ISD_E10value_typeEPSE_NS1_7vsmem_tEENKUlT_SC_SD_SE_E_clIS7_S7_S7_S7_EESB_SR_SC_SD_SE_EUlSR_E_NS1_11comp_targetILNS1_3genE10ELNS1_11target_archE1201ELNS1_3gpuE5ELNS1_3repE0EEENS1_48merge_mergepath_partition_config_static_selectorELNS0_4arch9wavefront6targetE1EEEvSD_,comdat
.Lfunc_end302:
	.size	_ZN7rocprim17ROCPRIM_400000_NS6detail17trampoline_kernelINS0_14default_configENS1_38merge_sort_block_merge_config_selectorIiiEEZZNS1_27merge_sort_block_merge_implIS3_PiS7_jNS1_19radix_merge_compareILb0ELb0EiNS0_19identity_decomposerEEEEE10hipError_tT0_T1_T2_jT3_P12ihipStream_tbPNSt15iterator_traitsISC_E10value_typeEPNSI_ISD_E10value_typeEPSE_NS1_7vsmem_tEENKUlT_SC_SD_SE_E_clIS7_S7_S7_S7_EESB_SR_SC_SD_SE_EUlSR_E_NS1_11comp_targetILNS1_3genE10ELNS1_11target_archE1201ELNS1_3gpuE5ELNS1_3repE0EEENS1_48merge_mergepath_partition_config_static_selectorELNS0_4arch9wavefront6targetE1EEEvSD_, .Lfunc_end302-_ZN7rocprim17ROCPRIM_400000_NS6detail17trampoline_kernelINS0_14default_configENS1_38merge_sort_block_merge_config_selectorIiiEEZZNS1_27merge_sort_block_merge_implIS3_PiS7_jNS1_19radix_merge_compareILb0ELb0EiNS0_19identity_decomposerEEEEE10hipError_tT0_T1_T2_jT3_P12ihipStream_tbPNSt15iterator_traitsISC_E10value_typeEPNSI_ISD_E10value_typeEPSE_NS1_7vsmem_tEENKUlT_SC_SD_SE_E_clIS7_S7_S7_S7_EESB_SR_SC_SD_SE_EUlSR_E_NS1_11comp_targetILNS1_3genE10ELNS1_11target_archE1201ELNS1_3gpuE5ELNS1_3repE0EEENS1_48merge_mergepath_partition_config_static_selectorELNS0_4arch9wavefront6targetE1EEEvSD_
                                        ; -- End function
	.section	.AMDGPU.csdata,"",@progbits
; Kernel info:
; codeLenInByte = 0
; NumSgprs: 4
; NumVgprs: 0
; NumAgprs: 0
; TotalNumVgprs: 0
; ScratchSize: 0
; MemoryBound: 0
; FloatMode: 240
; IeeeMode: 1
; LDSByteSize: 0 bytes/workgroup (compile time only)
; SGPRBlocks: 0
; VGPRBlocks: 0
; NumSGPRsForWavesPerEU: 4
; NumVGPRsForWavesPerEU: 1
; AccumOffset: 4
; Occupancy: 8
; WaveLimiterHint : 0
; COMPUTE_PGM_RSRC2:SCRATCH_EN: 0
; COMPUTE_PGM_RSRC2:USER_SGPR: 6
; COMPUTE_PGM_RSRC2:TRAP_HANDLER: 0
; COMPUTE_PGM_RSRC2:TGID_X_EN: 1
; COMPUTE_PGM_RSRC2:TGID_Y_EN: 0
; COMPUTE_PGM_RSRC2:TGID_Z_EN: 0
; COMPUTE_PGM_RSRC2:TIDIG_COMP_CNT: 0
; COMPUTE_PGM_RSRC3_GFX90A:ACCUM_OFFSET: 0
; COMPUTE_PGM_RSRC3_GFX90A:TG_SPLIT: 0
	.section	.text._ZN7rocprim17ROCPRIM_400000_NS6detail17trampoline_kernelINS0_14default_configENS1_38merge_sort_block_merge_config_selectorIiiEEZZNS1_27merge_sort_block_merge_implIS3_PiS7_jNS1_19radix_merge_compareILb0ELb0EiNS0_19identity_decomposerEEEEE10hipError_tT0_T1_T2_jT3_P12ihipStream_tbPNSt15iterator_traitsISC_E10value_typeEPNSI_ISD_E10value_typeEPSE_NS1_7vsmem_tEENKUlT_SC_SD_SE_E_clIS7_S7_S7_S7_EESB_SR_SC_SD_SE_EUlSR_E_NS1_11comp_targetILNS1_3genE5ELNS1_11target_archE942ELNS1_3gpuE9ELNS1_3repE0EEENS1_48merge_mergepath_partition_config_static_selectorELNS0_4arch9wavefront6targetE1EEEvSD_,"axG",@progbits,_ZN7rocprim17ROCPRIM_400000_NS6detail17trampoline_kernelINS0_14default_configENS1_38merge_sort_block_merge_config_selectorIiiEEZZNS1_27merge_sort_block_merge_implIS3_PiS7_jNS1_19radix_merge_compareILb0ELb0EiNS0_19identity_decomposerEEEEE10hipError_tT0_T1_T2_jT3_P12ihipStream_tbPNSt15iterator_traitsISC_E10value_typeEPNSI_ISD_E10value_typeEPSE_NS1_7vsmem_tEENKUlT_SC_SD_SE_E_clIS7_S7_S7_S7_EESB_SR_SC_SD_SE_EUlSR_E_NS1_11comp_targetILNS1_3genE5ELNS1_11target_archE942ELNS1_3gpuE9ELNS1_3repE0EEENS1_48merge_mergepath_partition_config_static_selectorELNS0_4arch9wavefront6targetE1EEEvSD_,comdat
	.protected	_ZN7rocprim17ROCPRIM_400000_NS6detail17trampoline_kernelINS0_14default_configENS1_38merge_sort_block_merge_config_selectorIiiEEZZNS1_27merge_sort_block_merge_implIS3_PiS7_jNS1_19radix_merge_compareILb0ELb0EiNS0_19identity_decomposerEEEEE10hipError_tT0_T1_T2_jT3_P12ihipStream_tbPNSt15iterator_traitsISC_E10value_typeEPNSI_ISD_E10value_typeEPSE_NS1_7vsmem_tEENKUlT_SC_SD_SE_E_clIS7_S7_S7_S7_EESB_SR_SC_SD_SE_EUlSR_E_NS1_11comp_targetILNS1_3genE5ELNS1_11target_archE942ELNS1_3gpuE9ELNS1_3repE0EEENS1_48merge_mergepath_partition_config_static_selectorELNS0_4arch9wavefront6targetE1EEEvSD_ ; -- Begin function _ZN7rocprim17ROCPRIM_400000_NS6detail17trampoline_kernelINS0_14default_configENS1_38merge_sort_block_merge_config_selectorIiiEEZZNS1_27merge_sort_block_merge_implIS3_PiS7_jNS1_19radix_merge_compareILb0ELb0EiNS0_19identity_decomposerEEEEE10hipError_tT0_T1_T2_jT3_P12ihipStream_tbPNSt15iterator_traitsISC_E10value_typeEPNSI_ISD_E10value_typeEPSE_NS1_7vsmem_tEENKUlT_SC_SD_SE_E_clIS7_S7_S7_S7_EESB_SR_SC_SD_SE_EUlSR_E_NS1_11comp_targetILNS1_3genE5ELNS1_11target_archE942ELNS1_3gpuE9ELNS1_3repE0EEENS1_48merge_mergepath_partition_config_static_selectorELNS0_4arch9wavefront6targetE1EEEvSD_
	.globl	_ZN7rocprim17ROCPRIM_400000_NS6detail17trampoline_kernelINS0_14default_configENS1_38merge_sort_block_merge_config_selectorIiiEEZZNS1_27merge_sort_block_merge_implIS3_PiS7_jNS1_19radix_merge_compareILb0ELb0EiNS0_19identity_decomposerEEEEE10hipError_tT0_T1_T2_jT3_P12ihipStream_tbPNSt15iterator_traitsISC_E10value_typeEPNSI_ISD_E10value_typeEPSE_NS1_7vsmem_tEENKUlT_SC_SD_SE_E_clIS7_S7_S7_S7_EESB_SR_SC_SD_SE_EUlSR_E_NS1_11comp_targetILNS1_3genE5ELNS1_11target_archE942ELNS1_3gpuE9ELNS1_3repE0EEENS1_48merge_mergepath_partition_config_static_selectorELNS0_4arch9wavefront6targetE1EEEvSD_
	.p2align	8
	.type	_ZN7rocprim17ROCPRIM_400000_NS6detail17trampoline_kernelINS0_14default_configENS1_38merge_sort_block_merge_config_selectorIiiEEZZNS1_27merge_sort_block_merge_implIS3_PiS7_jNS1_19radix_merge_compareILb0ELb0EiNS0_19identity_decomposerEEEEE10hipError_tT0_T1_T2_jT3_P12ihipStream_tbPNSt15iterator_traitsISC_E10value_typeEPNSI_ISD_E10value_typeEPSE_NS1_7vsmem_tEENKUlT_SC_SD_SE_E_clIS7_S7_S7_S7_EESB_SR_SC_SD_SE_EUlSR_E_NS1_11comp_targetILNS1_3genE5ELNS1_11target_archE942ELNS1_3gpuE9ELNS1_3repE0EEENS1_48merge_mergepath_partition_config_static_selectorELNS0_4arch9wavefront6targetE1EEEvSD_,@function
_ZN7rocprim17ROCPRIM_400000_NS6detail17trampoline_kernelINS0_14default_configENS1_38merge_sort_block_merge_config_selectorIiiEEZZNS1_27merge_sort_block_merge_implIS3_PiS7_jNS1_19radix_merge_compareILb0ELb0EiNS0_19identity_decomposerEEEEE10hipError_tT0_T1_T2_jT3_P12ihipStream_tbPNSt15iterator_traitsISC_E10value_typeEPNSI_ISD_E10value_typeEPSE_NS1_7vsmem_tEENKUlT_SC_SD_SE_E_clIS7_S7_S7_S7_EESB_SR_SC_SD_SE_EUlSR_E_NS1_11comp_targetILNS1_3genE5ELNS1_11target_archE942ELNS1_3gpuE9ELNS1_3repE0EEENS1_48merge_mergepath_partition_config_static_selectorELNS0_4arch9wavefront6targetE1EEEvSD_: ; @_ZN7rocprim17ROCPRIM_400000_NS6detail17trampoline_kernelINS0_14default_configENS1_38merge_sort_block_merge_config_selectorIiiEEZZNS1_27merge_sort_block_merge_implIS3_PiS7_jNS1_19radix_merge_compareILb0ELb0EiNS0_19identity_decomposerEEEEE10hipError_tT0_T1_T2_jT3_P12ihipStream_tbPNSt15iterator_traitsISC_E10value_typeEPNSI_ISD_E10value_typeEPSE_NS1_7vsmem_tEENKUlT_SC_SD_SE_E_clIS7_S7_S7_S7_EESB_SR_SC_SD_SE_EUlSR_E_NS1_11comp_targetILNS1_3genE5ELNS1_11target_archE942ELNS1_3gpuE9ELNS1_3repE0EEENS1_48merge_mergepath_partition_config_static_selectorELNS0_4arch9wavefront6targetE1EEEvSD_
; %bb.0:
	.section	.rodata,"a",@progbits
	.p2align	6, 0x0
	.amdhsa_kernel _ZN7rocprim17ROCPRIM_400000_NS6detail17trampoline_kernelINS0_14default_configENS1_38merge_sort_block_merge_config_selectorIiiEEZZNS1_27merge_sort_block_merge_implIS3_PiS7_jNS1_19radix_merge_compareILb0ELb0EiNS0_19identity_decomposerEEEEE10hipError_tT0_T1_T2_jT3_P12ihipStream_tbPNSt15iterator_traitsISC_E10value_typeEPNSI_ISD_E10value_typeEPSE_NS1_7vsmem_tEENKUlT_SC_SD_SE_E_clIS7_S7_S7_S7_EESB_SR_SC_SD_SE_EUlSR_E_NS1_11comp_targetILNS1_3genE5ELNS1_11target_archE942ELNS1_3gpuE9ELNS1_3repE0EEENS1_48merge_mergepath_partition_config_static_selectorELNS0_4arch9wavefront6targetE1EEEvSD_
		.amdhsa_group_segment_fixed_size 0
		.amdhsa_private_segment_fixed_size 0
		.amdhsa_kernarg_size 40
		.amdhsa_user_sgpr_count 6
		.amdhsa_user_sgpr_private_segment_buffer 1
		.amdhsa_user_sgpr_dispatch_ptr 0
		.amdhsa_user_sgpr_queue_ptr 0
		.amdhsa_user_sgpr_kernarg_segment_ptr 1
		.amdhsa_user_sgpr_dispatch_id 0
		.amdhsa_user_sgpr_flat_scratch_init 0
		.amdhsa_user_sgpr_kernarg_preload_length 0
		.amdhsa_user_sgpr_kernarg_preload_offset 0
		.amdhsa_user_sgpr_private_segment_size 0
		.amdhsa_uses_dynamic_stack 0
		.amdhsa_system_sgpr_private_segment_wavefront_offset 0
		.amdhsa_system_sgpr_workgroup_id_x 1
		.amdhsa_system_sgpr_workgroup_id_y 0
		.amdhsa_system_sgpr_workgroup_id_z 0
		.amdhsa_system_sgpr_workgroup_info 0
		.amdhsa_system_vgpr_workitem_id 0
		.amdhsa_next_free_vgpr 1
		.amdhsa_next_free_sgpr 0
		.amdhsa_accum_offset 4
		.amdhsa_reserve_vcc 0
		.amdhsa_reserve_flat_scratch 0
		.amdhsa_float_round_mode_32 0
		.amdhsa_float_round_mode_16_64 0
		.amdhsa_float_denorm_mode_32 3
		.amdhsa_float_denorm_mode_16_64 3
		.amdhsa_dx10_clamp 1
		.amdhsa_ieee_mode 1
		.amdhsa_fp16_overflow 0
		.amdhsa_tg_split 0
		.amdhsa_exception_fp_ieee_invalid_op 0
		.amdhsa_exception_fp_denorm_src 0
		.amdhsa_exception_fp_ieee_div_zero 0
		.amdhsa_exception_fp_ieee_overflow 0
		.amdhsa_exception_fp_ieee_underflow 0
		.amdhsa_exception_fp_ieee_inexact 0
		.amdhsa_exception_int_div_zero 0
	.end_amdhsa_kernel
	.section	.text._ZN7rocprim17ROCPRIM_400000_NS6detail17trampoline_kernelINS0_14default_configENS1_38merge_sort_block_merge_config_selectorIiiEEZZNS1_27merge_sort_block_merge_implIS3_PiS7_jNS1_19radix_merge_compareILb0ELb0EiNS0_19identity_decomposerEEEEE10hipError_tT0_T1_T2_jT3_P12ihipStream_tbPNSt15iterator_traitsISC_E10value_typeEPNSI_ISD_E10value_typeEPSE_NS1_7vsmem_tEENKUlT_SC_SD_SE_E_clIS7_S7_S7_S7_EESB_SR_SC_SD_SE_EUlSR_E_NS1_11comp_targetILNS1_3genE5ELNS1_11target_archE942ELNS1_3gpuE9ELNS1_3repE0EEENS1_48merge_mergepath_partition_config_static_selectorELNS0_4arch9wavefront6targetE1EEEvSD_,"axG",@progbits,_ZN7rocprim17ROCPRIM_400000_NS6detail17trampoline_kernelINS0_14default_configENS1_38merge_sort_block_merge_config_selectorIiiEEZZNS1_27merge_sort_block_merge_implIS3_PiS7_jNS1_19radix_merge_compareILb0ELb0EiNS0_19identity_decomposerEEEEE10hipError_tT0_T1_T2_jT3_P12ihipStream_tbPNSt15iterator_traitsISC_E10value_typeEPNSI_ISD_E10value_typeEPSE_NS1_7vsmem_tEENKUlT_SC_SD_SE_E_clIS7_S7_S7_S7_EESB_SR_SC_SD_SE_EUlSR_E_NS1_11comp_targetILNS1_3genE5ELNS1_11target_archE942ELNS1_3gpuE9ELNS1_3repE0EEENS1_48merge_mergepath_partition_config_static_selectorELNS0_4arch9wavefront6targetE1EEEvSD_,comdat
.Lfunc_end303:
	.size	_ZN7rocprim17ROCPRIM_400000_NS6detail17trampoline_kernelINS0_14default_configENS1_38merge_sort_block_merge_config_selectorIiiEEZZNS1_27merge_sort_block_merge_implIS3_PiS7_jNS1_19radix_merge_compareILb0ELb0EiNS0_19identity_decomposerEEEEE10hipError_tT0_T1_T2_jT3_P12ihipStream_tbPNSt15iterator_traitsISC_E10value_typeEPNSI_ISD_E10value_typeEPSE_NS1_7vsmem_tEENKUlT_SC_SD_SE_E_clIS7_S7_S7_S7_EESB_SR_SC_SD_SE_EUlSR_E_NS1_11comp_targetILNS1_3genE5ELNS1_11target_archE942ELNS1_3gpuE9ELNS1_3repE0EEENS1_48merge_mergepath_partition_config_static_selectorELNS0_4arch9wavefront6targetE1EEEvSD_, .Lfunc_end303-_ZN7rocprim17ROCPRIM_400000_NS6detail17trampoline_kernelINS0_14default_configENS1_38merge_sort_block_merge_config_selectorIiiEEZZNS1_27merge_sort_block_merge_implIS3_PiS7_jNS1_19radix_merge_compareILb0ELb0EiNS0_19identity_decomposerEEEEE10hipError_tT0_T1_T2_jT3_P12ihipStream_tbPNSt15iterator_traitsISC_E10value_typeEPNSI_ISD_E10value_typeEPSE_NS1_7vsmem_tEENKUlT_SC_SD_SE_E_clIS7_S7_S7_S7_EESB_SR_SC_SD_SE_EUlSR_E_NS1_11comp_targetILNS1_3genE5ELNS1_11target_archE942ELNS1_3gpuE9ELNS1_3repE0EEENS1_48merge_mergepath_partition_config_static_selectorELNS0_4arch9wavefront6targetE1EEEvSD_
                                        ; -- End function
	.section	.AMDGPU.csdata,"",@progbits
; Kernel info:
; codeLenInByte = 0
; NumSgprs: 4
; NumVgprs: 0
; NumAgprs: 0
; TotalNumVgprs: 0
; ScratchSize: 0
; MemoryBound: 0
; FloatMode: 240
; IeeeMode: 1
; LDSByteSize: 0 bytes/workgroup (compile time only)
; SGPRBlocks: 0
; VGPRBlocks: 0
; NumSGPRsForWavesPerEU: 4
; NumVGPRsForWavesPerEU: 1
; AccumOffset: 4
; Occupancy: 8
; WaveLimiterHint : 0
; COMPUTE_PGM_RSRC2:SCRATCH_EN: 0
; COMPUTE_PGM_RSRC2:USER_SGPR: 6
; COMPUTE_PGM_RSRC2:TRAP_HANDLER: 0
; COMPUTE_PGM_RSRC2:TGID_X_EN: 1
; COMPUTE_PGM_RSRC2:TGID_Y_EN: 0
; COMPUTE_PGM_RSRC2:TGID_Z_EN: 0
; COMPUTE_PGM_RSRC2:TIDIG_COMP_CNT: 0
; COMPUTE_PGM_RSRC3_GFX90A:ACCUM_OFFSET: 0
; COMPUTE_PGM_RSRC3_GFX90A:TG_SPLIT: 0
	.section	.text._ZN7rocprim17ROCPRIM_400000_NS6detail17trampoline_kernelINS0_14default_configENS1_38merge_sort_block_merge_config_selectorIiiEEZZNS1_27merge_sort_block_merge_implIS3_PiS7_jNS1_19radix_merge_compareILb0ELb0EiNS0_19identity_decomposerEEEEE10hipError_tT0_T1_T2_jT3_P12ihipStream_tbPNSt15iterator_traitsISC_E10value_typeEPNSI_ISD_E10value_typeEPSE_NS1_7vsmem_tEENKUlT_SC_SD_SE_E_clIS7_S7_S7_S7_EESB_SR_SC_SD_SE_EUlSR_E_NS1_11comp_targetILNS1_3genE4ELNS1_11target_archE910ELNS1_3gpuE8ELNS1_3repE0EEENS1_48merge_mergepath_partition_config_static_selectorELNS0_4arch9wavefront6targetE1EEEvSD_,"axG",@progbits,_ZN7rocprim17ROCPRIM_400000_NS6detail17trampoline_kernelINS0_14default_configENS1_38merge_sort_block_merge_config_selectorIiiEEZZNS1_27merge_sort_block_merge_implIS3_PiS7_jNS1_19radix_merge_compareILb0ELb0EiNS0_19identity_decomposerEEEEE10hipError_tT0_T1_T2_jT3_P12ihipStream_tbPNSt15iterator_traitsISC_E10value_typeEPNSI_ISD_E10value_typeEPSE_NS1_7vsmem_tEENKUlT_SC_SD_SE_E_clIS7_S7_S7_S7_EESB_SR_SC_SD_SE_EUlSR_E_NS1_11comp_targetILNS1_3genE4ELNS1_11target_archE910ELNS1_3gpuE8ELNS1_3repE0EEENS1_48merge_mergepath_partition_config_static_selectorELNS0_4arch9wavefront6targetE1EEEvSD_,comdat
	.protected	_ZN7rocprim17ROCPRIM_400000_NS6detail17trampoline_kernelINS0_14default_configENS1_38merge_sort_block_merge_config_selectorIiiEEZZNS1_27merge_sort_block_merge_implIS3_PiS7_jNS1_19radix_merge_compareILb0ELb0EiNS0_19identity_decomposerEEEEE10hipError_tT0_T1_T2_jT3_P12ihipStream_tbPNSt15iterator_traitsISC_E10value_typeEPNSI_ISD_E10value_typeEPSE_NS1_7vsmem_tEENKUlT_SC_SD_SE_E_clIS7_S7_S7_S7_EESB_SR_SC_SD_SE_EUlSR_E_NS1_11comp_targetILNS1_3genE4ELNS1_11target_archE910ELNS1_3gpuE8ELNS1_3repE0EEENS1_48merge_mergepath_partition_config_static_selectorELNS0_4arch9wavefront6targetE1EEEvSD_ ; -- Begin function _ZN7rocprim17ROCPRIM_400000_NS6detail17trampoline_kernelINS0_14default_configENS1_38merge_sort_block_merge_config_selectorIiiEEZZNS1_27merge_sort_block_merge_implIS3_PiS7_jNS1_19radix_merge_compareILb0ELb0EiNS0_19identity_decomposerEEEEE10hipError_tT0_T1_T2_jT3_P12ihipStream_tbPNSt15iterator_traitsISC_E10value_typeEPNSI_ISD_E10value_typeEPSE_NS1_7vsmem_tEENKUlT_SC_SD_SE_E_clIS7_S7_S7_S7_EESB_SR_SC_SD_SE_EUlSR_E_NS1_11comp_targetILNS1_3genE4ELNS1_11target_archE910ELNS1_3gpuE8ELNS1_3repE0EEENS1_48merge_mergepath_partition_config_static_selectorELNS0_4arch9wavefront6targetE1EEEvSD_
	.globl	_ZN7rocprim17ROCPRIM_400000_NS6detail17trampoline_kernelINS0_14default_configENS1_38merge_sort_block_merge_config_selectorIiiEEZZNS1_27merge_sort_block_merge_implIS3_PiS7_jNS1_19radix_merge_compareILb0ELb0EiNS0_19identity_decomposerEEEEE10hipError_tT0_T1_T2_jT3_P12ihipStream_tbPNSt15iterator_traitsISC_E10value_typeEPNSI_ISD_E10value_typeEPSE_NS1_7vsmem_tEENKUlT_SC_SD_SE_E_clIS7_S7_S7_S7_EESB_SR_SC_SD_SE_EUlSR_E_NS1_11comp_targetILNS1_3genE4ELNS1_11target_archE910ELNS1_3gpuE8ELNS1_3repE0EEENS1_48merge_mergepath_partition_config_static_selectorELNS0_4arch9wavefront6targetE1EEEvSD_
	.p2align	8
	.type	_ZN7rocprim17ROCPRIM_400000_NS6detail17trampoline_kernelINS0_14default_configENS1_38merge_sort_block_merge_config_selectorIiiEEZZNS1_27merge_sort_block_merge_implIS3_PiS7_jNS1_19radix_merge_compareILb0ELb0EiNS0_19identity_decomposerEEEEE10hipError_tT0_T1_T2_jT3_P12ihipStream_tbPNSt15iterator_traitsISC_E10value_typeEPNSI_ISD_E10value_typeEPSE_NS1_7vsmem_tEENKUlT_SC_SD_SE_E_clIS7_S7_S7_S7_EESB_SR_SC_SD_SE_EUlSR_E_NS1_11comp_targetILNS1_3genE4ELNS1_11target_archE910ELNS1_3gpuE8ELNS1_3repE0EEENS1_48merge_mergepath_partition_config_static_selectorELNS0_4arch9wavefront6targetE1EEEvSD_,@function
_ZN7rocprim17ROCPRIM_400000_NS6detail17trampoline_kernelINS0_14default_configENS1_38merge_sort_block_merge_config_selectorIiiEEZZNS1_27merge_sort_block_merge_implIS3_PiS7_jNS1_19radix_merge_compareILb0ELb0EiNS0_19identity_decomposerEEEEE10hipError_tT0_T1_T2_jT3_P12ihipStream_tbPNSt15iterator_traitsISC_E10value_typeEPNSI_ISD_E10value_typeEPSE_NS1_7vsmem_tEENKUlT_SC_SD_SE_E_clIS7_S7_S7_S7_EESB_SR_SC_SD_SE_EUlSR_E_NS1_11comp_targetILNS1_3genE4ELNS1_11target_archE910ELNS1_3gpuE8ELNS1_3repE0EEENS1_48merge_mergepath_partition_config_static_selectorELNS0_4arch9wavefront6targetE1EEEvSD_: ; @_ZN7rocprim17ROCPRIM_400000_NS6detail17trampoline_kernelINS0_14default_configENS1_38merge_sort_block_merge_config_selectorIiiEEZZNS1_27merge_sort_block_merge_implIS3_PiS7_jNS1_19radix_merge_compareILb0ELb0EiNS0_19identity_decomposerEEEEE10hipError_tT0_T1_T2_jT3_P12ihipStream_tbPNSt15iterator_traitsISC_E10value_typeEPNSI_ISD_E10value_typeEPSE_NS1_7vsmem_tEENKUlT_SC_SD_SE_E_clIS7_S7_S7_S7_EESB_SR_SC_SD_SE_EUlSR_E_NS1_11comp_targetILNS1_3genE4ELNS1_11target_archE910ELNS1_3gpuE8ELNS1_3repE0EEENS1_48merge_mergepath_partition_config_static_selectorELNS0_4arch9wavefront6targetE1EEEvSD_
; %bb.0:
	s_load_dword s0, s[4:5], 0x0
	v_lshl_or_b32 v0, s6, 7, v0
	s_waitcnt lgkmcnt(0)
	v_cmp_gt_u32_e32 vcc, s0, v0
	s_and_saveexec_b64 s[0:1], vcc
	s_cbranch_execz .LBB304_6
; %bb.1:
	s_load_dwordx2 s[2:3], s[4:5], 0x4
	s_load_dwordx2 s[0:1], s[4:5], 0x20
	s_waitcnt lgkmcnt(0)
	s_lshr_b32 s6, s2, 9
	s_and_b32 s6, s6, 0x7ffffe
	s_add_i32 s7, s6, -1
	s_sub_i32 s6, 0, s6
	v_and_b32_e32 v1, s6, v0
	v_lshlrev_b32_e32 v1, 10, v1
	v_min_u32_e32 v2, s3, v1
	v_add_u32_e32 v1, s2, v1
	v_min_u32_e32 v4, s3, v1
	v_add_u32_e32 v1, s2, v4
	v_and_b32_e32 v3, s7, v0
	v_min_u32_e32 v1, s3, v1
	v_sub_u32_e32 v5, v1, v2
	v_lshlrev_b32_e32 v3, 10, v3
	v_min_u32_e32 v6, v5, v3
	v_sub_u32_e32 v3, v4, v2
	v_sub_u32_e32 v1, v1, v4
	v_sub_u32_e64 v1, v6, v1 clamp
	v_min_u32_e32 v7, v6, v3
	v_cmp_lt_u32_e32 vcc, v1, v7
	s_and_saveexec_b64 s[2:3], vcc
	s_cbranch_execz .LBB304_5
; %bb.2:
	s_load_dwordx2 s[4:5], s[4:5], 0x10
	v_mov_b32_e32 v5, 0
	v_mov_b32_e32 v3, v5
	v_lshlrev_b64 v[8:9], 2, v[2:3]
	v_lshlrev_b64 v[10:11], 2, v[4:5]
	s_waitcnt lgkmcnt(0)
	v_mov_b32_e32 v12, s5
	v_add_co_u32_e32 v3, vcc, s4, v8
	v_addc_co_u32_e32 v8, vcc, v12, v9, vcc
	v_add_co_u32_e32 v9, vcc, s4, v10
	v_addc_co_u32_e32 v10, vcc, v12, v11, vcc
	s_mov_b64 s[4:5], 0
.LBB304_3:                              ; =>This Inner Loop Header: Depth=1
	v_add_u32_e32 v4, v7, v1
	v_lshrrev_b32_e32 v4, 1, v4
	v_lshlrev_b64 v[14:15], 2, v[4:5]
	v_mov_b32_e32 v13, v5
	v_xad_u32 v12, v4, -1, v6
	v_add_co_u32_e32 v14, vcc, v3, v14
	v_addc_co_u32_e32 v15, vcc, v8, v15, vcc
	v_lshlrev_b64 v[12:13], 2, v[12:13]
	v_add_co_u32_e32 v12, vcc, v9, v12
	v_addc_co_u32_e32 v13, vcc, v10, v13, vcc
	global_load_dword v11, v[14:15], off
	global_load_dword v16, v[12:13], off
	v_add_u32_e32 v12, 1, v4
	s_waitcnt vmcnt(0)
	v_cmp_gt_i32_e32 vcc, v11, v16
	v_cndmask_b32_e32 v7, v7, v4, vcc
	v_cndmask_b32_e32 v1, v12, v1, vcc
	v_cmp_ge_u32_e32 vcc, v1, v7
	s_or_b64 s[4:5], vcc, s[4:5]
	s_andn2_b64 exec, exec, s[4:5]
	s_cbranch_execnz .LBB304_3
; %bb.4:
	s_or_b64 exec, exec, s[4:5]
.LBB304_5:
	s_or_b64 exec, exec, s[2:3]
	v_add_u32_e32 v2, v1, v2
	v_mov_b32_e32 v1, 0
	v_lshlrev_b64 v[0:1], 2, v[0:1]
	v_mov_b32_e32 v3, s1
	v_add_co_u32_e32 v0, vcc, s0, v0
	v_addc_co_u32_e32 v1, vcc, v3, v1, vcc
	global_store_dword v[0:1], v2, off
.LBB304_6:
	s_endpgm
	.section	.rodata,"a",@progbits
	.p2align	6, 0x0
	.amdhsa_kernel _ZN7rocprim17ROCPRIM_400000_NS6detail17trampoline_kernelINS0_14default_configENS1_38merge_sort_block_merge_config_selectorIiiEEZZNS1_27merge_sort_block_merge_implIS3_PiS7_jNS1_19radix_merge_compareILb0ELb0EiNS0_19identity_decomposerEEEEE10hipError_tT0_T1_T2_jT3_P12ihipStream_tbPNSt15iterator_traitsISC_E10value_typeEPNSI_ISD_E10value_typeEPSE_NS1_7vsmem_tEENKUlT_SC_SD_SE_E_clIS7_S7_S7_S7_EESB_SR_SC_SD_SE_EUlSR_E_NS1_11comp_targetILNS1_3genE4ELNS1_11target_archE910ELNS1_3gpuE8ELNS1_3repE0EEENS1_48merge_mergepath_partition_config_static_selectorELNS0_4arch9wavefront6targetE1EEEvSD_
		.amdhsa_group_segment_fixed_size 0
		.amdhsa_private_segment_fixed_size 0
		.amdhsa_kernarg_size 40
		.amdhsa_user_sgpr_count 6
		.amdhsa_user_sgpr_private_segment_buffer 1
		.amdhsa_user_sgpr_dispatch_ptr 0
		.amdhsa_user_sgpr_queue_ptr 0
		.amdhsa_user_sgpr_kernarg_segment_ptr 1
		.amdhsa_user_sgpr_dispatch_id 0
		.amdhsa_user_sgpr_flat_scratch_init 0
		.amdhsa_user_sgpr_kernarg_preload_length 0
		.amdhsa_user_sgpr_kernarg_preload_offset 0
		.amdhsa_user_sgpr_private_segment_size 0
		.amdhsa_uses_dynamic_stack 0
		.amdhsa_system_sgpr_private_segment_wavefront_offset 0
		.amdhsa_system_sgpr_workgroup_id_x 1
		.amdhsa_system_sgpr_workgroup_id_y 0
		.amdhsa_system_sgpr_workgroup_id_z 0
		.amdhsa_system_sgpr_workgroup_info 0
		.amdhsa_system_vgpr_workitem_id 0
		.amdhsa_next_free_vgpr 17
		.amdhsa_next_free_sgpr 8
		.amdhsa_accum_offset 20
		.amdhsa_reserve_vcc 1
		.amdhsa_reserve_flat_scratch 0
		.amdhsa_float_round_mode_32 0
		.amdhsa_float_round_mode_16_64 0
		.amdhsa_float_denorm_mode_32 3
		.amdhsa_float_denorm_mode_16_64 3
		.amdhsa_dx10_clamp 1
		.amdhsa_ieee_mode 1
		.amdhsa_fp16_overflow 0
		.amdhsa_tg_split 0
		.amdhsa_exception_fp_ieee_invalid_op 0
		.amdhsa_exception_fp_denorm_src 0
		.amdhsa_exception_fp_ieee_div_zero 0
		.amdhsa_exception_fp_ieee_overflow 0
		.amdhsa_exception_fp_ieee_underflow 0
		.amdhsa_exception_fp_ieee_inexact 0
		.amdhsa_exception_int_div_zero 0
	.end_amdhsa_kernel
	.section	.text._ZN7rocprim17ROCPRIM_400000_NS6detail17trampoline_kernelINS0_14default_configENS1_38merge_sort_block_merge_config_selectorIiiEEZZNS1_27merge_sort_block_merge_implIS3_PiS7_jNS1_19radix_merge_compareILb0ELb0EiNS0_19identity_decomposerEEEEE10hipError_tT0_T1_T2_jT3_P12ihipStream_tbPNSt15iterator_traitsISC_E10value_typeEPNSI_ISD_E10value_typeEPSE_NS1_7vsmem_tEENKUlT_SC_SD_SE_E_clIS7_S7_S7_S7_EESB_SR_SC_SD_SE_EUlSR_E_NS1_11comp_targetILNS1_3genE4ELNS1_11target_archE910ELNS1_3gpuE8ELNS1_3repE0EEENS1_48merge_mergepath_partition_config_static_selectorELNS0_4arch9wavefront6targetE1EEEvSD_,"axG",@progbits,_ZN7rocprim17ROCPRIM_400000_NS6detail17trampoline_kernelINS0_14default_configENS1_38merge_sort_block_merge_config_selectorIiiEEZZNS1_27merge_sort_block_merge_implIS3_PiS7_jNS1_19radix_merge_compareILb0ELb0EiNS0_19identity_decomposerEEEEE10hipError_tT0_T1_T2_jT3_P12ihipStream_tbPNSt15iterator_traitsISC_E10value_typeEPNSI_ISD_E10value_typeEPSE_NS1_7vsmem_tEENKUlT_SC_SD_SE_E_clIS7_S7_S7_S7_EESB_SR_SC_SD_SE_EUlSR_E_NS1_11comp_targetILNS1_3genE4ELNS1_11target_archE910ELNS1_3gpuE8ELNS1_3repE0EEENS1_48merge_mergepath_partition_config_static_selectorELNS0_4arch9wavefront6targetE1EEEvSD_,comdat
.Lfunc_end304:
	.size	_ZN7rocprim17ROCPRIM_400000_NS6detail17trampoline_kernelINS0_14default_configENS1_38merge_sort_block_merge_config_selectorIiiEEZZNS1_27merge_sort_block_merge_implIS3_PiS7_jNS1_19radix_merge_compareILb0ELb0EiNS0_19identity_decomposerEEEEE10hipError_tT0_T1_T2_jT3_P12ihipStream_tbPNSt15iterator_traitsISC_E10value_typeEPNSI_ISD_E10value_typeEPSE_NS1_7vsmem_tEENKUlT_SC_SD_SE_E_clIS7_S7_S7_S7_EESB_SR_SC_SD_SE_EUlSR_E_NS1_11comp_targetILNS1_3genE4ELNS1_11target_archE910ELNS1_3gpuE8ELNS1_3repE0EEENS1_48merge_mergepath_partition_config_static_selectorELNS0_4arch9wavefront6targetE1EEEvSD_, .Lfunc_end304-_ZN7rocprim17ROCPRIM_400000_NS6detail17trampoline_kernelINS0_14default_configENS1_38merge_sort_block_merge_config_selectorIiiEEZZNS1_27merge_sort_block_merge_implIS3_PiS7_jNS1_19radix_merge_compareILb0ELb0EiNS0_19identity_decomposerEEEEE10hipError_tT0_T1_T2_jT3_P12ihipStream_tbPNSt15iterator_traitsISC_E10value_typeEPNSI_ISD_E10value_typeEPSE_NS1_7vsmem_tEENKUlT_SC_SD_SE_E_clIS7_S7_S7_S7_EESB_SR_SC_SD_SE_EUlSR_E_NS1_11comp_targetILNS1_3genE4ELNS1_11target_archE910ELNS1_3gpuE8ELNS1_3repE0EEENS1_48merge_mergepath_partition_config_static_selectorELNS0_4arch9wavefront6targetE1EEEvSD_
                                        ; -- End function
	.section	.AMDGPU.csdata,"",@progbits
; Kernel info:
; codeLenInByte = 360
; NumSgprs: 12
; NumVgprs: 17
; NumAgprs: 0
; TotalNumVgprs: 17
; ScratchSize: 0
; MemoryBound: 0
; FloatMode: 240
; IeeeMode: 1
; LDSByteSize: 0 bytes/workgroup (compile time only)
; SGPRBlocks: 1
; VGPRBlocks: 2
; NumSGPRsForWavesPerEU: 12
; NumVGPRsForWavesPerEU: 17
; AccumOffset: 20
; Occupancy: 8
; WaveLimiterHint : 0
; COMPUTE_PGM_RSRC2:SCRATCH_EN: 0
; COMPUTE_PGM_RSRC2:USER_SGPR: 6
; COMPUTE_PGM_RSRC2:TRAP_HANDLER: 0
; COMPUTE_PGM_RSRC2:TGID_X_EN: 1
; COMPUTE_PGM_RSRC2:TGID_Y_EN: 0
; COMPUTE_PGM_RSRC2:TGID_Z_EN: 0
; COMPUTE_PGM_RSRC2:TIDIG_COMP_CNT: 0
; COMPUTE_PGM_RSRC3_GFX90A:ACCUM_OFFSET: 4
; COMPUTE_PGM_RSRC3_GFX90A:TG_SPLIT: 0
	.section	.text._ZN7rocprim17ROCPRIM_400000_NS6detail17trampoline_kernelINS0_14default_configENS1_38merge_sort_block_merge_config_selectorIiiEEZZNS1_27merge_sort_block_merge_implIS3_PiS7_jNS1_19radix_merge_compareILb0ELb0EiNS0_19identity_decomposerEEEEE10hipError_tT0_T1_T2_jT3_P12ihipStream_tbPNSt15iterator_traitsISC_E10value_typeEPNSI_ISD_E10value_typeEPSE_NS1_7vsmem_tEENKUlT_SC_SD_SE_E_clIS7_S7_S7_S7_EESB_SR_SC_SD_SE_EUlSR_E_NS1_11comp_targetILNS1_3genE3ELNS1_11target_archE908ELNS1_3gpuE7ELNS1_3repE0EEENS1_48merge_mergepath_partition_config_static_selectorELNS0_4arch9wavefront6targetE1EEEvSD_,"axG",@progbits,_ZN7rocprim17ROCPRIM_400000_NS6detail17trampoline_kernelINS0_14default_configENS1_38merge_sort_block_merge_config_selectorIiiEEZZNS1_27merge_sort_block_merge_implIS3_PiS7_jNS1_19radix_merge_compareILb0ELb0EiNS0_19identity_decomposerEEEEE10hipError_tT0_T1_T2_jT3_P12ihipStream_tbPNSt15iterator_traitsISC_E10value_typeEPNSI_ISD_E10value_typeEPSE_NS1_7vsmem_tEENKUlT_SC_SD_SE_E_clIS7_S7_S7_S7_EESB_SR_SC_SD_SE_EUlSR_E_NS1_11comp_targetILNS1_3genE3ELNS1_11target_archE908ELNS1_3gpuE7ELNS1_3repE0EEENS1_48merge_mergepath_partition_config_static_selectorELNS0_4arch9wavefront6targetE1EEEvSD_,comdat
	.protected	_ZN7rocprim17ROCPRIM_400000_NS6detail17trampoline_kernelINS0_14default_configENS1_38merge_sort_block_merge_config_selectorIiiEEZZNS1_27merge_sort_block_merge_implIS3_PiS7_jNS1_19radix_merge_compareILb0ELb0EiNS0_19identity_decomposerEEEEE10hipError_tT0_T1_T2_jT3_P12ihipStream_tbPNSt15iterator_traitsISC_E10value_typeEPNSI_ISD_E10value_typeEPSE_NS1_7vsmem_tEENKUlT_SC_SD_SE_E_clIS7_S7_S7_S7_EESB_SR_SC_SD_SE_EUlSR_E_NS1_11comp_targetILNS1_3genE3ELNS1_11target_archE908ELNS1_3gpuE7ELNS1_3repE0EEENS1_48merge_mergepath_partition_config_static_selectorELNS0_4arch9wavefront6targetE1EEEvSD_ ; -- Begin function _ZN7rocprim17ROCPRIM_400000_NS6detail17trampoline_kernelINS0_14default_configENS1_38merge_sort_block_merge_config_selectorIiiEEZZNS1_27merge_sort_block_merge_implIS3_PiS7_jNS1_19radix_merge_compareILb0ELb0EiNS0_19identity_decomposerEEEEE10hipError_tT0_T1_T2_jT3_P12ihipStream_tbPNSt15iterator_traitsISC_E10value_typeEPNSI_ISD_E10value_typeEPSE_NS1_7vsmem_tEENKUlT_SC_SD_SE_E_clIS7_S7_S7_S7_EESB_SR_SC_SD_SE_EUlSR_E_NS1_11comp_targetILNS1_3genE3ELNS1_11target_archE908ELNS1_3gpuE7ELNS1_3repE0EEENS1_48merge_mergepath_partition_config_static_selectorELNS0_4arch9wavefront6targetE1EEEvSD_
	.globl	_ZN7rocprim17ROCPRIM_400000_NS6detail17trampoline_kernelINS0_14default_configENS1_38merge_sort_block_merge_config_selectorIiiEEZZNS1_27merge_sort_block_merge_implIS3_PiS7_jNS1_19radix_merge_compareILb0ELb0EiNS0_19identity_decomposerEEEEE10hipError_tT0_T1_T2_jT3_P12ihipStream_tbPNSt15iterator_traitsISC_E10value_typeEPNSI_ISD_E10value_typeEPSE_NS1_7vsmem_tEENKUlT_SC_SD_SE_E_clIS7_S7_S7_S7_EESB_SR_SC_SD_SE_EUlSR_E_NS1_11comp_targetILNS1_3genE3ELNS1_11target_archE908ELNS1_3gpuE7ELNS1_3repE0EEENS1_48merge_mergepath_partition_config_static_selectorELNS0_4arch9wavefront6targetE1EEEvSD_
	.p2align	8
	.type	_ZN7rocprim17ROCPRIM_400000_NS6detail17trampoline_kernelINS0_14default_configENS1_38merge_sort_block_merge_config_selectorIiiEEZZNS1_27merge_sort_block_merge_implIS3_PiS7_jNS1_19radix_merge_compareILb0ELb0EiNS0_19identity_decomposerEEEEE10hipError_tT0_T1_T2_jT3_P12ihipStream_tbPNSt15iterator_traitsISC_E10value_typeEPNSI_ISD_E10value_typeEPSE_NS1_7vsmem_tEENKUlT_SC_SD_SE_E_clIS7_S7_S7_S7_EESB_SR_SC_SD_SE_EUlSR_E_NS1_11comp_targetILNS1_3genE3ELNS1_11target_archE908ELNS1_3gpuE7ELNS1_3repE0EEENS1_48merge_mergepath_partition_config_static_selectorELNS0_4arch9wavefront6targetE1EEEvSD_,@function
_ZN7rocprim17ROCPRIM_400000_NS6detail17trampoline_kernelINS0_14default_configENS1_38merge_sort_block_merge_config_selectorIiiEEZZNS1_27merge_sort_block_merge_implIS3_PiS7_jNS1_19radix_merge_compareILb0ELb0EiNS0_19identity_decomposerEEEEE10hipError_tT0_T1_T2_jT3_P12ihipStream_tbPNSt15iterator_traitsISC_E10value_typeEPNSI_ISD_E10value_typeEPSE_NS1_7vsmem_tEENKUlT_SC_SD_SE_E_clIS7_S7_S7_S7_EESB_SR_SC_SD_SE_EUlSR_E_NS1_11comp_targetILNS1_3genE3ELNS1_11target_archE908ELNS1_3gpuE7ELNS1_3repE0EEENS1_48merge_mergepath_partition_config_static_selectorELNS0_4arch9wavefront6targetE1EEEvSD_: ; @_ZN7rocprim17ROCPRIM_400000_NS6detail17trampoline_kernelINS0_14default_configENS1_38merge_sort_block_merge_config_selectorIiiEEZZNS1_27merge_sort_block_merge_implIS3_PiS7_jNS1_19radix_merge_compareILb0ELb0EiNS0_19identity_decomposerEEEEE10hipError_tT0_T1_T2_jT3_P12ihipStream_tbPNSt15iterator_traitsISC_E10value_typeEPNSI_ISD_E10value_typeEPSE_NS1_7vsmem_tEENKUlT_SC_SD_SE_E_clIS7_S7_S7_S7_EESB_SR_SC_SD_SE_EUlSR_E_NS1_11comp_targetILNS1_3genE3ELNS1_11target_archE908ELNS1_3gpuE7ELNS1_3repE0EEENS1_48merge_mergepath_partition_config_static_selectorELNS0_4arch9wavefront6targetE1EEEvSD_
; %bb.0:
	.section	.rodata,"a",@progbits
	.p2align	6, 0x0
	.amdhsa_kernel _ZN7rocprim17ROCPRIM_400000_NS6detail17trampoline_kernelINS0_14default_configENS1_38merge_sort_block_merge_config_selectorIiiEEZZNS1_27merge_sort_block_merge_implIS3_PiS7_jNS1_19radix_merge_compareILb0ELb0EiNS0_19identity_decomposerEEEEE10hipError_tT0_T1_T2_jT3_P12ihipStream_tbPNSt15iterator_traitsISC_E10value_typeEPNSI_ISD_E10value_typeEPSE_NS1_7vsmem_tEENKUlT_SC_SD_SE_E_clIS7_S7_S7_S7_EESB_SR_SC_SD_SE_EUlSR_E_NS1_11comp_targetILNS1_3genE3ELNS1_11target_archE908ELNS1_3gpuE7ELNS1_3repE0EEENS1_48merge_mergepath_partition_config_static_selectorELNS0_4arch9wavefront6targetE1EEEvSD_
		.amdhsa_group_segment_fixed_size 0
		.amdhsa_private_segment_fixed_size 0
		.amdhsa_kernarg_size 40
		.amdhsa_user_sgpr_count 6
		.amdhsa_user_sgpr_private_segment_buffer 1
		.amdhsa_user_sgpr_dispatch_ptr 0
		.amdhsa_user_sgpr_queue_ptr 0
		.amdhsa_user_sgpr_kernarg_segment_ptr 1
		.amdhsa_user_sgpr_dispatch_id 0
		.amdhsa_user_sgpr_flat_scratch_init 0
		.amdhsa_user_sgpr_kernarg_preload_length 0
		.amdhsa_user_sgpr_kernarg_preload_offset 0
		.amdhsa_user_sgpr_private_segment_size 0
		.amdhsa_uses_dynamic_stack 0
		.amdhsa_system_sgpr_private_segment_wavefront_offset 0
		.amdhsa_system_sgpr_workgroup_id_x 1
		.amdhsa_system_sgpr_workgroup_id_y 0
		.amdhsa_system_sgpr_workgroup_id_z 0
		.amdhsa_system_sgpr_workgroup_info 0
		.amdhsa_system_vgpr_workitem_id 0
		.amdhsa_next_free_vgpr 1
		.amdhsa_next_free_sgpr 0
		.amdhsa_accum_offset 4
		.amdhsa_reserve_vcc 0
		.amdhsa_reserve_flat_scratch 0
		.amdhsa_float_round_mode_32 0
		.amdhsa_float_round_mode_16_64 0
		.amdhsa_float_denorm_mode_32 3
		.amdhsa_float_denorm_mode_16_64 3
		.amdhsa_dx10_clamp 1
		.amdhsa_ieee_mode 1
		.amdhsa_fp16_overflow 0
		.amdhsa_tg_split 0
		.amdhsa_exception_fp_ieee_invalid_op 0
		.amdhsa_exception_fp_denorm_src 0
		.amdhsa_exception_fp_ieee_div_zero 0
		.amdhsa_exception_fp_ieee_overflow 0
		.amdhsa_exception_fp_ieee_underflow 0
		.amdhsa_exception_fp_ieee_inexact 0
		.amdhsa_exception_int_div_zero 0
	.end_amdhsa_kernel
	.section	.text._ZN7rocprim17ROCPRIM_400000_NS6detail17trampoline_kernelINS0_14default_configENS1_38merge_sort_block_merge_config_selectorIiiEEZZNS1_27merge_sort_block_merge_implIS3_PiS7_jNS1_19radix_merge_compareILb0ELb0EiNS0_19identity_decomposerEEEEE10hipError_tT0_T1_T2_jT3_P12ihipStream_tbPNSt15iterator_traitsISC_E10value_typeEPNSI_ISD_E10value_typeEPSE_NS1_7vsmem_tEENKUlT_SC_SD_SE_E_clIS7_S7_S7_S7_EESB_SR_SC_SD_SE_EUlSR_E_NS1_11comp_targetILNS1_3genE3ELNS1_11target_archE908ELNS1_3gpuE7ELNS1_3repE0EEENS1_48merge_mergepath_partition_config_static_selectorELNS0_4arch9wavefront6targetE1EEEvSD_,"axG",@progbits,_ZN7rocprim17ROCPRIM_400000_NS6detail17trampoline_kernelINS0_14default_configENS1_38merge_sort_block_merge_config_selectorIiiEEZZNS1_27merge_sort_block_merge_implIS3_PiS7_jNS1_19radix_merge_compareILb0ELb0EiNS0_19identity_decomposerEEEEE10hipError_tT0_T1_T2_jT3_P12ihipStream_tbPNSt15iterator_traitsISC_E10value_typeEPNSI_ISD_E10value_typeEPSE_NS1_7vsmem_tEENKUlT_SC_SD_SE_E_clIS7_S7_S7_S7_EESB_SR_SC_SD_SE_EUlSR_E_NS1_11comp_targetILNS1_3genE3ELNS1_11target_archE908ELNS1_3gpuE7ELNS1_3repE0EEENS1_48merge_mergepath_partition_config_static_selectorELNS0_4arch9wavefront6targetE1EEEvSD_,comdat
.Lfunc_end305:
	.size	_ZN7rocprim17ROCPRIM_400000_NS6detail17trampoline_kernelINS0_14default_configENS1_38merge_sort_block_merge_config_selectorIiiEEZZNS1_27merge_sort_block_merge_implIS3_PiS7_jNS1_19radix_merge_compareILb0ELb0EiNS0_19identity_decomposerEEEEE10hipError_tT0_T1_T2_jT3_P12ihipStream_tbPNSt15iterator_traitsISC_E10value_typeEPNSI_ISD_E10value_typeEPSE_NS1_7vsmem_tEENKUlT_SC_SD_SE_E_clIS7_S7_S7_S7_EESB_SR_SC_SD_SE_EUlSR_E_NS1_11comp_targetILNS1_3genE3ELNS1_11target_archE908ELNS1_3gpuE7ELNS1_3repE0EEENS1_48merge_mergepath_partition_config_static_selectorELNS0_4arch9wavefront6targetE1EEEvSD_, .Lfunc_end305-_ZN7rocprim17ROCPRIM_400000_NS6detail17trampoline_kernelINS0_14default_configENS1_38merge_sort_block_merge_config_selectorIiiEEZZNS1_27merge_sort_block_merge_implIS3_PiS7_jNS1_19radix_merge_compareILb0ELb0EiNS0_19identity_decomposerEEEEE10hipError_tT0_T1_T2_jT3_P12ihipStream_tbPNSt15iterator_traitsISC_E10value_typeEPNSI_ISD_E10value_typeEPSE_NS1_7vsmem_tEENKUlT_SC_SD_SE_E_clIS7_S7_S7_S7_EESB_SR_SC_SD_SE_EUlSR_E_NS1_11comp_targetILNS1_3genE3ELNS1_11target_archE908ELNS1_3gpuE7ELNS1_3repE0EEENS1_48merge_mergepath_partition_config_static_selectorELNS0_4arch9wavefront6targetE1EEEvSD_
                                        ; -- End function
	.section	.AMDGPU.csdata,"",@progbits
; Kernel info:
; codeLenInByte = 0
; NumSgprs: 4
; NumVgprs: 0
; NumAgprs: 0
; TotalNumVgprs: 0
; ScratchSize: 0
; MemoryBound: 0
; FloatMode: 240
; IeeeMode: 1
; LDSByteSize: 0 bytes/workgroup (compile time only)
; SGPRBlocks: 0
; VGPRBlocks: 0
; NumSGPRsForWavesPerEU: 4
; NumVGPRsForWavesPerEU: 1
; AccumOffset: 4
; Occupancy: 8
; WaveLimiterHint : 0
; COMPUTE_PGM_RSRC2:SCRATCH_EN: 0
; COMPUTE_PGM_RSRC2:USER_SGPR: 6
; COMPUTE_PGM_RSRC2:TRAP_HANDLER: 0
; COMPUTE_PGM_RSRC2:TGID_X_EN: 1
; COMPUTE_PGM_RSRC2:TGID_Y_EN: 0
; COMPUTE_PGM_RSRC2:TGID_Z_EN: 0
; COMPUTE_PGM_RSRC2:TIDIG_COMP_CNT: 0
; COMPUTE_PGM_RSRC3_GFX90A:ACCUM_OFFSET: 0
; COMPUTE_PGM_RSRC3_GFX90A:TG_SPLIT: 0
	.section	.text._ZN7rocprim17ROCPRIM_400000_NS6detail17trampoline_kernelINS0_14default_configENS1_38merge_sort_block_merge_config_selectorIiiEEZZNS1_27merge_sort_block_merge_implIS3_PiS7_jNS1_19radix_merge_compareILb0ELb0EiNS0_19identity_decomposerEEEEE10hipError_tT0_T1_T2_jT3_P12ihipStream_tbPNSt15iterator_traitsISC_E10value_typeEPNSI_ISD_E10value_typeEPSE_NS1_7vsmem_tEENKUlT_SC_SD_SE_E_clIS7_S7_S7_S7_EESB_SR_SC_SD_SE_EUlSR_E_NS1_11comp_targetILNS1_3genE2ELNS1_11target_archE906ELNS1_3gpuE6ELNS1_3repE0EEENS1_48merge_mergepath_partition_config_static_selectorELNS0_4arch9wavefront6targetE1EEEvSD_,"axG",@progbits,_ZN7rocprim17ROCPRIM_400000_NS6detail17trampoline_kernelINS0_14default_configENS1_38merge_sort_block_merge_config_selectorIiiEEZZNS1_27merge_sort_block_merge_implIS3_PiS7_jNS1_19radix_merge_compareILb0ELb0EiNS0_19identity_decomposerEEEEE10hipError_tT0_T1_T2_jT3_P12ihipStream_tbPNSt15iterator_traitsISC_E10value_typeEPNSI_ISD_E10value_typeEPSE_NS1_7vsmem_tEENKUlT_SC_SD_SE_E_clIS7_S7_S7_S7_EESB_SR_SC_SD_SE_EUlSR_E_NS1_11comp_targetILNS1_3genE2ELNS1_11target_archE906ELNS1_3gpuE6ELNS1_3repE0EEENS1_48merge_mergepath_partition_config_static_selectorELNS0_4arch9wavefront6targetE1EEEvSD_,comdat
	.protected	_ZN7rocprim17ROCPRIM_400000_NS6detail17trampoline_kernelINS0_14default_configENS1_38merge_sort_block_merge_config_selectorIiiEEZZNS1_27merge_sort_block_merge_implIS3_PiS7_jNS1_19radix_merge_compareILb0ELb0EiNS0_19identity_decomposerEEEEE10hipError_tT0_T1_T2_jT3_P12ihipStream_tbPNSt15iterator_traitsISC_E10value_typeEPNSI_ISD_E10value_typeEPSE_NS1_7vsmem_tEENKUlT_SC_SD_SE_E_clIS7_S7_S7_S7_EESB_SR_SC_SD_SE_EUlSR_E_NS1_11comp_targetILNS1_3genE2ELNS1_11target_archE906ELNS1_3gpuE6ELNS1_3repE0EEENS1_48merge_mergepath_partition_config_static_selectorELNS0_4arch9wavefront6targetE1EEEvSD_ ; -- Begin function _ZN7rocprim17ROCPRIM_400000_NS6detail17trampoline_kernelINS0_14default_configENS1_38merge_sort_block_merge_config_selectorIiiEEZZNS1_27merge_sort_block_merge_implIS3_PiS7_jNS1_19radix_merge_compareILb0ELb0EiNS0_19identity_decomposerEEEEE10hipError_tT0_T1_T2_jT3_P12ihipStream_tbPNSt15iterator_traitsISC_E10value_typeEPNSI_ISD_E10value_typeEPSE_NS1_7vsmem_tEENKUlT_SC_SD_SE_E_clIS7_S7_S7_S7_EESB_SR_SC_SD_SE_EUlSR_E_NS1_11comp_targetILNS1_3genE2ELNS1_11target_archE906ELNS1_3gpuE6ELNS1_3repE0EEENS1_48merge_mergepath_partition_config_static_selectorELNS0_4arch9wavefront6targetE1EEEvSD_
	.globl	_ZN7rocprim17ROCPRIM_400000_NS6detail17trampoline_kernelINS0_14default_configENS1_38merge_sort_block_merge_config_selectorIiiEEZZNS1_27merge_sort_block_merge_implIS3_PiS7_jNS1_19radix_merge_compareILb0ELb0EiNS0_19identity_decomposerEEEEE10hipError_tT0_T1_T2_jT3_P12ihipStream_tbPNSt15iterator_traitsISC_E10value_typeEPNSI_ISD_E10value_typeEPSE_NS1_7vsmem_tEENKUlT_SC_SD_SE_E_clIS7_S7_S7_S7_EESB_SR_SC_SD_SE_EUlSR_E_NS1_11comp_targetILNS1_3genE2ELNS1_11target_archE906ELNS1_3gpuE6ELNS1_3repE0EEENS1_48merge_mergepath_partition_config_static_selectorELNS0_4arch9wavefront6targetE1EEEvSD_
	.p2align	8
	.type	_ZN7rocprim17ROCPRIM_400000_NS6detail17trampoline_kernelINS0_14default_configENS1_38merge_sort_block_merge_config_selectorIiiEEZZNS1_27merge_sort_block_merge_implIS3_PiS7_jNS1_19radix_merge_compareILb0ELb0EiNS0_19identity_decomposerEEEEE10hipError_tT0_T1_T2_jT3_P12ihipStream_tbPNSt15iterator_traitsISC_E10value_typeEPNSI_ISD_E10value_typeEPSE_NS1_7vsmem_tEENKUlT_SC_SD_SE_E_clIS7_S7_S7_S7_EESB_SR_SC_SD_SE_EUlSR_E_NS1_11comp_targetILNS1_3genE2ELNS1_11target_archE906ELNS1_3gpuE6ELNS1_3repE0EEENS1_48merge_mergepath_partition_config_static_selectorELNS0_4arch9wavefront6targetE1EEEvSD_,@function
_ZN7rocprim17ROCPRIM_400000_NS6detail17trampoline_kernelINS0_14default_configENS1_38merge_sort_block_merge_config_selectorIiiEEZZNS1_27merge_sort_block_merge_implIS3_PiS7_jNS1_19radix_merge_compareILb0ELb0EiNS0_19identity_decomposerEEEEE10hipError_tT0_T1_T2_jT3_P12ihipStream_tbPNSt15iterator_traitsISC_E10value_typeEPNSI_ISD_E10value_typeEPSE_NS1_7vsmem_tEENKUlT_SC_SD_SE_E_clIS7_S7_S7_S7_EESB_SR_SC_SD_SE_EUlSR_E_NS1_11comp_targetILNS1_3genE2ELNS1_11target_archE906ELNS1_3gpuE6ELNS1_3repE0EEENS1_48merge_mergepath_partition_config_static_selectorELNS0_4arch9wavefront6targetE1EEEvSD_: ; @_ZN7rocprim17ROCPRIM_400000_NS6detail17trampoline_kernelINS0_14default_configENS1_38merge_sort_block_merge_config_selectorIiiEEZZNS1_27merge_sort_block_merge_implIS3_PiS7_jNS1_19radix_merge_compareILb0ELb0EiNS0_19identity_decomposerEEEEE10hipError_tT0_T1_T2_jT3_P12ihipStream_tbPNSt15iterator_traitsISC_E10value_typeEPNSI_ISD_E10value_typeEPSE_NS1_7vsmem_tEENKUlT_SC_SD_SE_E_clIS7_S7_S7_S7_EESB_SR_SC_SD_SE_EUlSR_E_NS1_11comp_targetILNS1_3genE2ELNS1_11target_archE906ELNS1_3gpuE6ELNS1_3repE0EEENS1_48merge_mergepath_partition_config_static_selectorELNS0_4arch9wavefront6targetE1EEEvSD_
; %bb.0:
	.section	.rodata,"a",@progbits
	.p2align	6, 0x0
	.amdhsa_kernel _ZN7rocprim17ROCPRIM_400000_NS6detail17trampoline_kernelINS0_14default_configENS1_38merge_sort_block_merge_config_selectorIiiEEZZNS1_27merge_sort_block_merge_implIS3_PiS7_jNS1_19radix_merge_compareILb0ELb0EiNS0_19identity_decomposerEEEEE10hipError_tT0_T1_T2_jT3_P12ihipStream_tbPNSt15iterator_traitsISC_E10value_typeEPNSI_ISD_E10value_typeEPSE_NS1_7vsmem_tEENKUlT_SC_SD_SE_E_clIS7_S7_S7_S7_EESB_SR_SC_SD_SE_EUlSR_E_NS1_11comp_targetILNS1_3genE2ELNS1_11target_archE906ELNS1_3gpuE6ELNS1_3repE0EEENS1_48merge_mergepath_partition_config_static_selectorELNS0_4arch9wavefront6targetE1EEEvSD_
		.amdhsa_group_segment_fixed_size 0
		.amdhsa_private_segment_fixed_size 0
		.amdhsa_kernarg_size 40
		.amdhsa_user_sgpr_count 6
		.amdhsa_user_sgpr_private_segment_buffer 1
		.amdhsa_user_sgpr_dispatch_ptr 0
		.amdhsa_user_sgpr_queue_ptr 0
		.amdhsa_user_sgpr_kernarg_segment_ptr 1
		.amdhsa_user_sgpr_dispatch_id 0
		.amdhsa_user_sgpr_flat_scratch_init 0
		.amdhsa_user_sgpr_kernarg_preload_length 0
		.amdhsa_user_sgpr_kernarg_preload_offset 0
		.amdhsa_user_sgpr_private_segment_size 0
		.amdhsa_uses_dynamic_stack 0
		.amdhsa_system_sgpr_private_segment_wavefront_offset 0
		.amdhsa_system_sgpr_workgroup_id_x 1
		.amdhsa_system_sgpr_workgroup_id_y 0
		.amdhsa_system_sgpr_workgroup_id_z 0
		.amdhsa_system_sgpr_workgroup_info 0
		.amdhsa_system_vgpr_workitem_id 0
		.amdhsa_next_free_vgpr 1
		.amdhsa_next_free_sgpr 0
		.amdhsa_accum_offset 4
		.amdhsa_reserve_vcc 0
		.amdhsa_reserve_flat_scratch 0
		.amdhsa_float_round_mode_32 0
		.amdhsa_float_round_mode_16_64 0
		.amdhsa_float_denorm_mode_32 3
		.amdhsa_float_denorm_mode_16_64 3
		.amdhsa_dx10_clamp 1
		.amdhsa_ieee_mode 1
		.amdhsa_fp16_overflow 0
		.amdhsa_tg_split 0
		.amdhsa_exception_fp_ieee_invalid_op 0
		.amdhsa_exception_fp_denorm_src 0
		.amdhsa_exception_fp_ieee_div_zero 0
		.amdhsa_exception_fp_ieee_overflow 0
		.amdhsa_exception_fp_ieee_underflow 0
		.amdhsa_exception_fp_ieee_inexact 0
		.amdhsa_exception_int_div_zero 0
	.end_amdhsa_kernel
	.section	.text._ZN7rocprim17ROCPRIM_400000_NS6detail17trampoline_kernelINS0_14default_configENS1_38merge_sort_block_merge_config_selectorIiiEEZZNS1_27merge_sort_block_merge_implIS3_PiS7_jNS1_19radix_merge_compareILb0ELb0EiNS0_19identity_decomposerEEEEE10hipError_tT0_T1_T2_jT3_P12ihipStream_tbPNSt15iterator_traitsISC_E10value_typeEPNSI_ISD_E10value_typeEPSE_NS1_7vsmem_tEENKUlT_SC_SD_SE_E_clIS7_S7_S7_S7_EESB_SR_SC_SD_SE_EUlSR_E_NS1_11comp_targetILNS1_3genE2ELNS1_11target_archE906ELNS1_3gpuE6ELNS1_3repE0EEENS1_48merge_mergepath_partition_config_static_selectorELNS0_4arch9wavefront6targetE1EEEvSD_,"axG",@progbits,_ZN7rocprim17ROCPRIM_400000_NS6detail17trampoline_kernelINS0_14default_configENS1_38merge_sort_block_merge_config_selectorIiiEEZZNS1_27merge_sort_block_merge_implIS3_PiS7_jNS1_19radix_merge_compareILb0ELb0EiNS0_19identity_decomposerEEEEE10hipError_tT0_T1_T2_jT3_P12ihipStream_tbPNSt15iterator_traitsISC_E10value_typeEPNSI_ISD_E10value_typeEPSE_NS1_7vsmem_tEENKUlT_SC_SD_SE_E_clIS7_S7_S7_S7_EESB_SR_SC_SD_SE_EUlSR_E_NS1_11comp_targetILNS1_3genE2ELNS1_11target_archE906ELNS1_3gpuE6ELNS1_3repE0EEENS1_48merge_mergepath_partition_config_static_selectorELNS0_4arch9wavefront6targetE1EEEvSD_,comdat
.Lfunc_end306:
	.size	_ZN7rocprim17ROCPRIM_400000_NS6detail17trampoline_kernelINS0_14default_configENS1_38merge_sort_block_merge_config_selectorIiiEEZZNS1_27merge_sort_block_merge_implIS3_PiS7_jNS1_19radix_merge_compareILb0ELb0EiNS0_19identity_decomposerEEEEE10hipError_tT0_T1_T2_jT3_P12ihipStream_tbPNSt15iterator_traitsISC_E10value_typeEPNSI_ISD_E10value_typeEPSE_NS1_7vsmem_tEENKUlT_SC_SD_SE_E_clIS7_S7_S7_S7_EESB_SR_SC_SD_SE_EUlSR_E_NS1_11comp_targetILNS1_3genE2ELNS1_11target_archE906ELNS1_3gpuE6ELNS1_3repE0EEENS1_48merge_mergepath_partition_config_static_selectorELNS0_4arch9wavefront6targetE1EEEvSD_, .Lfunc_end306-_ZN7rocprim17ROCPRIM_400000_NS6detail17trampoline_kernelINS0_14default_configENS1_38merge_sort_block_merge_config_selectorIiiEEZZNS1_27merge_sort_block_merge_implIS3_PiS7_jNS1_19radix_merge_compareILb0ELb0EiNS0_19identity_decomposerEEEEE10hipError_tT0_T1_T2_jT3_P12ihipStream_tbPNSt15iterator_traitsISC_E10value_typeEPNSI_ISD_E10value_typeEPSE_NS1_7vsmem_tEENKUlT_SC_SD_SE_E_clIS7_S7_S7_S7_EESB_SR_SC_SD_SE_EUlSR_E_NS1_11comp_targetILNS1_3genE2ELNS1_11target_archE906ELNS1_3gpuE6ELNS1_3repE0EEENS1_48merge_mergepath_partition_config_static_selectorELNS0_4arch9wavefront6targetE1EEEvSD_
                                        ; -- End function
	.section	.AMDGPU.csdata,"",@progbits
; Kernel info:
; codeLenInByte = 0
; NumSgprs: 4
; NumVgprs: 0
; NumAgprs: 0
; TotalNumVgprs: 0
; ScratchSize: 0
; MemoryBound: 0
; FloatMode: 240
; IeeeMode: 1
; LDSByteSize: 0 bytes/workgroup (compile time only)
; SGPRBlocks: 0
; VGPRBlocks: 0
; NumSGPRsForWavesPerEU: 4
; NumVGPRsForWavesPerEU: 1
; AccumOffset: 4
; Occupancy: 8
; WaveLimiterHint : 0
; COMPUTE_PGM_RSRC2:SCRATCH_EN: 0
; COMPUTE_PGM_RSRC2:USER_SGPR: 6
; COMPUTE_PGM_RSRC2:TRAP_HANDLER: 0
; COMPUTE_PGM_RSRC2:TGID_X_EN: 1
; COMPUTE_PGM_RSRC2:TGID_Y_EN: 0
; COMPUTE_PGM_RSRC2:TGID_Z_EN: 0
; COMPUTE_PGM_RSRC2:TIDIG_COMP_CNT: 0
; COMPUTE_PGM_RSRC3_GFX90A:ACCUM_OFFSET: 0
; COMPUTE_PGM_RSRC3_GFX90A:TG_SPLIT: 0
	.section	.text._ZN7rocprim17ROCPRIM_400000_NS6detail17trampoline_kernelINS0_14default_configENS1_38merge_sort_block_merge_config_selectorIiiEEZZNS1_27merge_sort_block_merge_implIS3_PiS7_jNS1_19radix_merge_compareILb0ELb0EiNS0_19identity_decomposerEEEEE10hipError_tT0_T1_T2_jT3_P12ihipStream_tbPNSt15iterator_traitsISC_E10value_typeEPNSI_ISD_E10value_typeEPSE_NS1_7vsmem_tEENKUlT_SC_SD_SE_E_clIS7_S7_S7_S7_EESB_SR_SC_SD_SE_EUlSR_E_NS1_11comp_targetILNS1_3genE9ELNS1_11target_archE1100ELNS1_3gpuE3ELNS1_3repE0EEENS1_48merge_mergepath_partition_config_static_selectorELNS0_4arch9wavefront6targetE1EEEvSD_,"axG",@progbits,_ZN7rocprim17ROCPRIM_400000_NS6detail17trampoline_kernelINS0_14default_configENS1_38merge_sort_block_merge_config_selectorIiiEEZZNS1_27merge_sort_block_merge_implIS3_PiS7_jNS1_19radix_merge_compareILb0ELb0EiNS0_19identity_decomposerEEEEE10hipError_tT0_T1_T2_jT3_P12ihipStream_tbPNSt15iterator_traitsISC_E10value_typeEPNSI_ISD_E10value_typeEPSE_NS1_7vsmem_tEENKUlT_SC_SD_SE_E_clIS7_S7_S7_S7_EESB_SR_SC_SD_SE_EUlSR_E_NS1_11comp_targetILNS1_3genE9ELNS1_11target_archE1100ELNS1_3gpuE3ELNS1_3repE0EEENS1_48merge_mergepath_partition_config_static_selectorELNS0_4arch9wavefront6targetE1EEEvSD_,comdat
	.protected	_ZN7rocprim17ROCPRIM_400000_NS6detail17trampoline_kernelINS0_14default_configENS1_38merge_sort_block_merge_config_selectorIiiEEZZNS1_27merge_sort_block_merge_implIS3_PiS7_jNS1_19radix_merge_compareILb0ELb0EiNS0_19identity_decomposerEEEEE10hipError_tT0_T1_T2_jT3_P12ihipStream_tbPNSt15iterator_traitsISC_E10value_typeEPNSI_ISD_E10value_typeEPSE_NS1_7vsmem_tEENKUlT_SC_SD_SE_E_clIS7_S7_S7_S7_EESB_SR_SC_SD_SE_EUlSR_E_NS1_11comp_targetILNS1_3genE9ELNS1_11target_archE1100ELNS1_3gpuE3ELNS1_3repE0EEENS1_48merge_mergepath_partition_config_static_selectorELNS0_4arch9wavefront6targetE1EEEvSD_ ; -- Begin function _ZN7rocprim17ROCPRIM_400000_NS6detail17trampoline_kernelINS0_14default_configENS1_38merge_sort_block_merge_config_selectorIiiEEZZNS1_27merge_sort_block_merge_implIS3_PiS7_jNS1_19radix_merge_compareILb0ELb0EiNS0_19identity_decomposerEEEEE10hipError_tT0_T1_T2_jT3_P12ihipStream_tbPNSt15iterator_traitsISC_E10value_typeEPNSI_ISD_E10value_typeEPSE_NS1_7vsmem_tEENKUlT_SC_SD_SE_E_clIS7_S7_S7_S7_EESB_SR_SC_SD_SE_EUlSR_E_NS1_11comp_targetILNS1_3genE9ELNS1_11target_archE1100ELNS1_3gpuE3ELNS1_3repE0EEENS1_48merge_mergepath_partition_config_static_selectorELNS0_4arch9wavefront6targetE1EEEvSD_
	.globl	_ZN7rocprim17ROCPRIM_400000_NS6detail17trampoline_kernelINS0_14default_configENS1_38merge_sort_block_merge_config_selectorIiiEEZZNS1_27merge_sort_block_merge_implIS3_PiS7_jNS1_19radix_merge_compareILb0ELb0EiNS0_19identity_decomposerEEEEE10hipError_tT0_T1_T2_jT3_P12ihipStream_tbPNSt15iterator_traitsISC_E10value_typeEPNSI_ISD_E10value_typeEPSE_NS1_7vsmem_tEENKUlT_SC_SD_SE_E_clIS7_S7_S7_S7_EESB_SR_SC_SD_SE_EUlSR_E_NS1_11comp_targetILNS1_3genE9ELNS1_11target_archE1100ELNS1_3gpuE3ELNS1_3repE0EEENS1_48merge_mergepath_partition_config_static_selectorELNS0_4arch9wavefront6targetE1EEEvSD_
	.p2align	8
	.type	_ZN7rocprim17ROCPRIM_400000_NS6detail17trampoline_kernelINS0_14default_configENS1_38merge_sort_block_merge_config_selectorIiiEEZZNS1_27merge_sort_block_merge_implIS3_PiS7_jNS1_19radix_merge_compareILb0ELb0EiNS0_19identity_decomposerEEEEE10hipError_tT0_T1_T2_jT3_P12ihipStream_tbPNSt15iterator_traitsISC_E10value_typeEPNSI_ISD_E10value_typeEPSE_NS1_7vsmem_tEENKUlT_SC_SD_SE_E_clIS7_S7_S7_S7_EESB_SR_SC_SD_SE_EUlSR_E_NS1_11comp_targetILNS1_3genE9ELNS1_11target_archE1100ELNS1_3gpuE3ELNS1_3repE0EEENS1_48merge_mergepath_partition_config_static_selectorELNS0_4arch9wavefront6targetE1EEEvSD_,@function
_ZN7rocprim17ROCPRIM_400000_NS6detail17trampoline_kernelINS0_14default_configENS1_38merge_sort_block_merge_config_selectorIiiEEZZNS1_27merge_sort_block_merge_implIS3_PiS7_jNS1_19radix_merge_compareILb0ELb0EiNS0_19identity_decomposerEEEEE10hipError_tT0_T1_T2_jT3_P12ihipStream_tbPNSt15iterator_traitsISC_E10value_typeEPNSI_ISD_E10value_typeEPSE_NS1_7vsmem_tEENKUlT_SC_SD_SE_E_clIS7_S7_S7_S7_EESB_SR_SC_SD_SE_EUlSR_E_NS1_11comp_targetILNS1_3genE9ELNS1_11target_archE1100ELNS1_3gpuE3ELNS1_3repE0EEENS1_48merge_mergepath_partition_config_static_selectorELNS0_4arch9wavefront6targetE1EEEvSD_: ; @_ZN7rocprim17ROCPRIM_400000_NS6detail17trampoline_kernelINS0_14default_configENS1_38merge_sort_block_merge_config_selectorIiiEEZZNS1_27merge_sort_block_merge_implIS3_PiS7_jNS1_19radix_merge_compareILb0ELb0EiNS0_19identity_decomposerEEEEE10hipError_tT0_T1_T2_jT3_P12ihipStream_tbPNSt15iterator_traitsISC_E10value_typeEPNSI_ISD_E10value_typeEPSE_NS1_7vsmem_tEENKUlT_SC_SD_SE_E_clIS7_S7_S7_S7_EESB_SR_SC_SD_SE_EUlSR_E_NS1_11comp_targetILNS1_3genE9ELNS1_11target_archE1100ELNS1_3gpuE3ELNS1_3repE0EEENS1_48merge_mergepath_partition_config_static_selectorELNS0_4arch9wavefront6targetE1EEEvSD_
; %bb.0:
	.section	.rodata,"a",@progbits
	.p2align	6, 0x0
	.amdhsa_kernel _ZN7rocprim17ROCPRIM_400000_NS6detail17trampoline_kernelINS0_14default_configENS1_38merge_sort_block_merge_config_selectorIiiEEZZNS1_27merge_sort_block_merge_implIS3_PiS7_jNS1_19radix_merge_compareILb0ELb0EiNS0_19identity_decomposerEEEEE10hipError_tT0_T1_T2_jT3_P12ihipStream_tbPNSt15iterator_traitsISC_E10value_typeEPNSI_ISD_E10value_typeEPSE_NS1_7vsmem_tEENKUlT_SC_SD_SE_E_clIS7_S7_S7_S7_EESB_SR_SC_SD_SE_EUlSR_E_NS1_11comp_targetILNS1_3genE9ELNS1_11target_archE1100ELNS1_3gpuE3ELNS1_3repE0EEENS1_48merge_mergepath_partition_config_static_selectorELNS0_4arch9wavefront6targetE1EEEvSD_
		.amdhsa_group_segment_fixed_size 0
		.amdhsa_private_segment_fixed_size 0
		.amdhsa_kernarg_size 40
		.amdhsa_user_sgpr_count 6
		.amdhsa_user_sgpr_private_segment_buffer 1
		.amdhsa_user_sgpr_dispatch_ptr 0
		.amdhsa_user_sgpr_queue_ptr 0
		.amdhsa_user_sgpr_kernarg_segment_ptr 1
		.amdhsa_user_sgpr_dispatch_id 0
		.amdhsa_user_sgpr_flat_scratch_init 0
		.amdhsa_user_sgpr_kernarg_preload_length 0
		.amdhsa_user_sgpr_kernarg_preload_offset 0
		.amdhsa_user_sgpr_private_segment_size 0
		.amdhsa_uses_dynamic_stack 0
		.amdhsa_system_sgpr_private_segment_wavefront_offset 0
		.amdhsa_system_sgpr_workgroup_id_x 1
		.amdhsa_system_sgpr_workgroup_id_y 0
		.amdhsa_system_sgpr_workgroup_id_z 0
		.amdhsa_system_sgpr_workgroup_info 0
		.amdhsa_system_vgpr_workitem_id 0
		.amdhsa_next_free_vgpr 1
		.amdhsa_next_free_sgpr 0
		.amdhsa_accum_offset 4
		.amdhsa_reserve_vcc 0
		.amdhsa_reserve_flat_scratch 0
		.amdhsa_float_round_mode_32 0
		.amdhsa_float_round_mode_16_64 0
		.amdhsa_float_denorm_mode_32 3
		.amdhsa_float_denorm_mode_16_64 3
		.amdhsa_dx10_clamp 1
		.amdhsa_ieee_mode 1
		.amdhsa_fp16_overflow 0
		.amdhsa_tg_split 0
		.amdhsa_exception_fp_ieee_invalid_op 0
		.amdhsa_exception_fp_denorm_src 0
		.amdhsa_exception_fp_ieee_div_zero 0
		.amdhsa_exception_fp_ieee_overflow 0
		.amdhsa_exception_fp_ieee_underflow 0
		.amdhsa_exception_fp_ieee_inexact 0
		.amdhsa_exception_int_div_zero 0
	.end_amdhsa_kernel
	.section	.text._ZN7rocprim17ROCPRIM_400000_NS6detail17trampoline_kernelINS0_14default_configENS1_38merge_sort_block_merge_config_selectorIiiEEZZNS1_27merge_sort_block_merge_implIS3_PiS7_jNS1_19radix_merge_compareILb0ELb0EiNS0_19identity_decomposerEEEEE10hipError_tT0_T1_T2_jT3_P12ihipStream_tbPNSt15iterator_traitsISC_E10value_typeEPNSI_ISD_E10value_typeEPSE_NS1_7vsmem_tEENKUlT_SC_SD_SE_E_clIS7_S7_S7_S7_EESB_SR_SC_SD_SE_EUlSR_E_NS1_11comp_targetILNS1_3genE9ELNS1_11target_archE1100ELNS1_3gpuE3ELNS1_3repE0EEENS1_48merge_mergepath_partition_config_static_selectorELNS0_4arch9wavefront6targetE1EEEvSD_,"axG",@progbits,_ZN7rocprim17ROCPRIM_400000_NS6detail17trampoline_kernelINS0_14default_configENS1_38merge_sort_block_merge_config_selectorIiiEEZZNS1_27merge_sort_block_merge_implIS3_PiS7_jNS1_19radix_merge_compareILb0ELb0EiNS0_19identity_decomposerEEEEE10hipError_tT0_T1_T2_jT3_P12ihipStream_tbPNSt15iterator_traitsISC_E10value_typeEPNSI_ISD_E10value_typeEPSE_NS1_7vsmem_tEENKUlT_SC_SD_SE_E_clIS7_S7_S7_S7_EESB_SR_SC_SD_SE_EUlSR_E_NS1_11comp_targetILNS1_3genE9ELNS1_11target_archE1100ELNS1_3gpuE3ELNS1_3repE0EEENS1_48merge_mergepath_partition_config_static_selectorELNS0_4arch9wavefront6targetE1EEEvSD_,comdat
.Lfunc_end307:
	.size	_ZN7rocprim17ROCPRIM_400000_NS6detail17trampoline_kernelINS0_14default_configENS1_38merge_sort_block_merge_config_selectorIiiEEZZNS1_27merge_sort_block_merge_implIS3_PiS7_jNS1_19radix_merge_compareILb0ELb0EiNS0_19identity_decomposerEEEEE10hipError_tT0_T1_T2_jT3_P12ihipStream_tbPNSt15iterator_traitsISC_E10value_typeEPNSI_ISD_E10value_typeEPSE_NS1_7vsmem_tEENKUlT_SC_SD_SE_E_clIS7_S7_S7_S7_EESB_SR_SC_SD_SE_EUlSR_E_NS1_11comp_targetILNS1_3genE9ELNS1_11target_archE1100ELNS1_3gpuE3ELNS1_3repE0EEENS1_48merge_mergepath_partition_config_static_selectorELNS0_4arch9wavefront6targetE1EEEvSD_, .Lfunc_end307-_ZN7rocprim17ROCPRIM_400000_NS6detail17trampoline_kernelINS0_14default_configENS1_38merge_sort_block_merge_config_selectorIiiEEZZNS1_27merge_sort_block_merge_implIS3_PiS7_jNS1_19radix_merge_compareILb0ELb0EiNS0_19identity_decomposerEEEEE10hipError_tT0_T1_T2_jT3_P12ihipStream_tbPNSt15iterator_traitsISC_E10value_typeEPNSI_ISD_E10value_typeEPSE_NS1_7vsmem_tEENKUlT_SC_SD_SE_E_clIS7_S7_S7_S7_EESB_SR_SC_SD_SE_EUlSR_E_NS1_11comp_targetILNS1_3genE9ELNS1_11target_archE1100ELNS1_3gpuE3ELNS1_3repE0EEENS1_48merge_mergepath_partition_config_static_selectorELNS0_4arch9wavefront6targetE1EEEvSD_
                                        ; -- End function
	.section	.AMDGPU.csdata,"",@progbits
; Kernel info:
; codeLenInByte = 0
; NumSgprs: 4
; NumVgprs: 0
; NumAgprs: 0
; TotalNumVgprs: 0
; ScratchSize: 0
; MemoryBound: 0
; FloatMode: 240
; IeeeMode: 1
; LDSByteSize: 0 bytes/workgroup (compile time only)
; SGPRBlocks: 0
; VGPRBlocks: 0
; NumSGPRsForWavesPerEU: 4
; NumVGPRsForWavesPerEU: 1
; AccumOffset: 4
; Occupancy: 8
; WaveLimiterHint : 0
; COMPUTE_PGM_RSRC2:SCRATCH_EN: 0
; COMPUTE_PGM_RSRC2:USER_SGPR: 6
; COMPUTE_PGM_RSRC2:TRAP_HANDLER: 0
; COMPUTE_PGM_RSRC2:TGID_X_EN: 1
; COMPUTE_PGM_RSRC2:TGID_Y_EN: 0
; COMPUTE_PGM_RSRC2:TGID_Z_EN: 0
; COMPUTE_PGM_RSRC2:TIDIG_COMP_CNT: 0
; COMPUTE_PGM_RSRC3_GFX90A:ACCUM_OFFSET: 0
; COMPUTE_PGM_RSRC3_GFX90A:TG_SPLIT: 0
	.section	.text._ZN7rocprim17ROCPRIM_400000_NS6detail17trampoline_kernelINS0_14default_configENS1_38merge_sort_block_merge_config_selectorIiiEEZZNS1_27merge_sort_block_merge_implIS3_PiS7_jNS1_19radix_merge_compareILb0ELb0EiNS0_19identity_decomposerEEEEE10hipError_tT0_T1_T2_jT3_P12ihipStream_tbPNSt15iterator_traitsISC_E10value_typeEPNSI_ISD_E10value_typeEPSE_NS1_7vsmem_tEENKUlT_SC_SD_SE_E_clIS7_S7_S7_S7_EESB_SR_SC_SD_SE_EUlSR_E_NS1_11comp_targetILNS1_3genE8ELNS1_11target_archE1030ELNS1_3gpuE2ELNS1_3repE0EEENS1_48merge_mergepath_partition_config_static_selectorELNS0_4arch9wavefront6targetE1EEEvSD_,"axG",@progbits,_ZN7rocprim17ROCPRIM_400000_NS6detail17trampoline_kernelINS0_14default_configENS1_38merge_sort_block_merge_config_selectorIiiEEZZNS1_27merge_sort_block_merge_implIS3_PiS7_jNS1_19radix_merge_compareILb0ELb0EiNS0_19identity_decomposerEEEEE10hipError_tT0_T1_T2_jT3_P12ihipStream_tbPNSt15iterator_traitsISC_E10value_typeEPNSI_ISD_E10value_typeEPSE_NS1_7vsmem_tEENKUlT_SC_SD_SE_E_clIS7_S7_S7_S7_EESB_SR_SC_SD_SE_EUlSR_E_NS1_11comp_targetILNS1_3genE8ELNS1_11target_archE1030ELNS1_3gpuE2ELNS1_3repE0EEENS1_48merge_mergepath_partition_config_static_selectorELNS0_4arch9wavefront6targetE1EEEvSD_,comdat
	.protected	_ZN7rocprim17ROCPRIM_400000_NS6detail17trampoline_kernelINS0_14default_configENS1_38merge_sort_block_merge_config_selectorIiiEEZZNS1_27merge_sort_block_merge_implIS3_PiS7_jNS1_19radix_merge_compareILb0ELb0EiNS0_19identity_decomposerEEEEE10hipError_tT0_T1_T2_jT3_P12ihipStream_tbPNSt15iterator_traitsISC_E10value_typeEPNSI_ISD_E10value_typeEPSE_NS1_7vsmem_tEENKUlT_SC_SD_SE_E_clIS7_S7_S7_S7_EESB_SR_SC_SD_SE_EUlSR_E_NS1_11comp_targetILNS1_3genE8ELNS1_11target_archE1030ELNS1_3gpuE2ELNS1_3repE0EEENS1_48merge_mergepath_partition_config_static_selectorELNS0_4arch9wavefront6targetE1EEEvSD_ ; -- Begin function _ZN7rocprim17ROCPRIM_400000_NS6detail17trampoline_kernelINS0_14default_configENS1_38merge_sort_block_merge_config_selectorIiiEEZZNS1_27merge_sort_block_merge_implIS3_PiS7_jNS1_19radix_merge_compareILb0ELb0EiNS0_19identity_decomposerEEEEE10hipError_tT0_T1_T2_jT3_P12ihipStream_tbPNSt15iterator_traitsISC_E10value_typeEPNSI_ISD_E10value_typeEPSE_NS1_7vsmem_tEENKUlT_SC_SD_SE_E_clIS7_S7_S7_S7_EESB_SR_SC_SD_SE_EUlSR_E_NS1_11comp_targetILNS1_3genE8ELNS1_11target_archE1030ELNS1_3gpuE2ELNS1_3repE0EEENS1_48merge_mergepath_partition_config_static_selectorELNS0_4arch9wavefront6targetE1EEEvSD_
	.globl	_ZN7rocprim17ROCPRIM_400000_NS6detail17trampoline_kernelINS0_14default_configENS1_38merge_sort_block_merge_config_selectorIiiEEZZNS1_27merge_sort_block_merge_implIS3_PiS7_jNS1_19radix_merge_compareILb0ELb0EiNS0_19identity_decomposerEEEEE10hipError_tT0_T1_T2_jT3_P12ihipStream_tbPNSt15iterator_traitsISC_E10value_typeEPNSI_ISD_E10value_typeEPSE_NS1_7vsmem_tEENKUlT_SC_SD_SE_E_clIS7_S7_S7_S7_EESB_SR_SC_SD_SE_EUlSR_E_NS1_11comp_targetILNS1_3genE8ELNS1_11target_archE1030ELNS1_3gpuE2ELNS1_3repE0EEENS1_48merge_mergepath_partition_config_static_selectorELNS0_4arch9wavefront6targetE1EEEvSD_
	.p2align	8
	.type	_ZN7rocprim17ROCPRIM_400000_NS6detail17trampoline_kernelINS0_14default_configENS1_38merge_sort_block_merge_config_selectorIiiEEZZNS1_27merge_sort_block_merge_implIS3_PiS7_jNS1_19radix_merge_compareILb0ELb0EiNS0_19identity_decomposerEEEEE10hipError_tT0_T1_T2_jT3_P12ihipStream_tbPNSt15iterator_traitsISC_E10value_typeEPNSI_ISD_E10value_typeEPSE_NS1_7vsmem_tEENKUlT_SC_SD_SE_E_clIS7_S7_S7_S7_EESB_SR_SC_SD_SE_EUlSR_E_NS1_11comp_targetILNS1_3genE8ELNS1_11target_archE1030ELNS1_3gpuE2ELNS1_3repE0EEENS1_48merge_mergepath_partition_config_static_selectorELNS0_4arch9wavefront6targetE1EEEvSD_,@function
_ZN7rocprim17ROCPRIM_400000_NS6detail17trampoline_kernelINS0_14default_configENS1_38merge_sort_block_merge_config_selectorIiiEEZZNS1_27merge_sort_block_merge_implIS3_PiS7_jNS1_19radix_merge_compareILb0ELb0EiNS0_19identity_decomposerEEEEE10hipError_tT0_T1_T2_jT3_P12ihipStream_tbPNSt15iterator_traitsISC_E10value_typeEPNSI_ISD_E10value_typeEPSE_NS1_7vsmem_tEENKUlT_SC_SD_SE_E_clIS7_S7_S7_S7_EESB_SR_SC_SD_SE_EUlSR_E_NS1_11comp_targetILNS1_3genE8ELNS1_11target_archE1030ELNS1_3gpuE2ELNS1_3repE0EEENS1_48merge_mergepath_partition_config_static_selectorELNS0_4arch9wavefront6targetE1EEEvSD_: ; @_ZN7rocprim17ROCPRIM_400000_NS6detail17trampoline_kernelINS0_14default_configENS1_38merge_sort_block_merge_config_selectorIiiEEZZNS1_27merge_sort_block_merge_implIS3_PiS7_jNS1_19radix_merge_compareILb0ELb0EiNS0_19identity_decomposerEEEEE10hipError_tT0_T1_T2_jT3_P12ihipStream_tbPNSt15iterator_traitsISC_E10value_typeEPNSI_ISD_E10value_typeEPSE_NS1_7vsmem_tEENKUlT_SC_SD_SE_E_clIS7_S7_S7_S7_EESB_SR_SC_SD_SE_EUlSR_E_NS1_11comp_targetILNS1_3genE8ELNS1_11target_archE1030ELNS1_3gpuE2ELNS1_3repE0EEENS1_48merge_mergepath_partition_config_static_selectorELNS0_4arch9wavefront6targetE1EEEvSD_
; %bb.0:
	.section	.rodata,"a",@progbits
	.p2align	6, 0x0
	.amdhsa_kernel _ZN7rocprim17ROCPRIM_400000_NS6detail17trampoline_kernelINS0_14default_configENS1_38merge_sort_block_merge_config_selectorIiiEEZZNS1_27merge_sort_block_merge_implIS3_PiS7_jNS1_19radix_merge_compareILb0ELb0EiNS0_19identity_decomposerEEEEE10hipError_tT0_T1_T2_jT3_P12ihipStream_tbPNSt15iterator_traitsISC_E10value_typeEPNSI_ISD_E10value_typeEPSE_NS1_7vsmem_tEENKUlT_SC_SD_SE_E_clIS7_S7_S7_S7_EESB_SR_SC_SD_SE_EUlSR_E_NS1_11comp_targetILNS1_3genE8ELNS1_11target_archE1030ELNS1_3gpuE2ELNS1_3repE0EEENS1_48merge_mergepath_partition_config_static_selectorELNS0_4arch9wavefront6targetE1EEEvSD_
		.amdhsa_group_segment_fixed_size 0
		.amdhsa_private_segment_fixed_size 0
		.amdhsa_kernarg_size 40
		.amdhsa_user_sgpr_count 6
		.amdhsa_user_sgpr_private_segment_buffer 1
		.amdhsa_user_sgpr_dispatch_ptr 0
		.amdhsa_user_sgpr_queue_ptr 0
		.amdhsa_user_sgpr_kernarg_segment_ptr 1
		.amdhsa_user_sgpr_dispatch_id 0
		.amdhsa_user_sgpr_flat_scratch_init 0
		.amdhsa_user_sgpr_kernarg_preload_length 0
		.amdhsa_user_sgpr_kernarg_preload_offset 0
		.amdhsa_user_sgpr_private_segment_size 0
		.amdhsa_uses_dynamic_stack 0
		.amdhsa_system_sgpr_private_segment_wavefront_offset 0
		.amdhsa_system_sgpr_workgroup_id_x 1
		.amdhsa_system_sgpr_workgroup_id_y 0
		.amdhsa_system_sgpr_workgroup_id_z 0
		.amdhsa_system_sgpr_workgroup_info 0
		.amdhsa_system_vgpr_workitem_id 0
		.amdhsa_next_free_vgpr 1
		.amdhsa_next_free_sgpr 0
		.amdhsa_accum_offset 4
		.amdhsa_reserve_vcc 0
		.amdhsa_reserve_flat_scratch 0
		.amdhsa_float_round_mode_32 0
		.amdhsa_float_round_mode_16_64 0
		.amdhsa_float_denorm_mode_32 3
		.amdhsa_float_denorm_mode_16_64 3
		.amdhsa_dx10_clamp 1
		.amdhsa_ieee_mode 1
		.amdhsa_fp16_overflow 0
		.amdhsa_tg_split 0
		.amdhsa_exception_fp_ieee_invalid_op 0
		.amdhsa_exception_fp_denorm_src 0
		.amdhsa_exception_fp_ieee_div_zero 0
		.amdhsa_exception_fp_ieee_overflow 0
		.amdhsa_exception_fp_ieee_underflow 0
		.amdhsa_exception_fp_ieee_inexact 0
		.amdhsa_exception_int_div_zero 0
	.end_amdhsa_kernel
	.section	.text._ZN7rocprim17ROCPRIM_400000_NS6detail17trampoline_kernelINS0_14default_configENS1_38merge_sort_block_merge_config_selectorIiiEEZZNS1_27merge_sort_block_merge_implIS3_PiS7_jNS1_19radix_merge_compareILb0ELb0EiNS0_19identity_decomposerEEEEE10hipError_tT0_T1_T2_jT3_P12ihipStream_tbPNSt15iterator_traitsISC_E10value_typeEPNSI_ISD_E10value_typeEPSE_NS1_7vsmem_tEENKUlT_SC_SD_SE_E_clIS7_S7_S7_S7_EESB_SR_SC_SD_SE_EUlSR_E_NS1_11comp_targetILNS1_3genE8ELNS1_11target_archE1030ELNS1_3gpuE2ELNS1_3repE0EEENS1_48merge_mergepath_partition_config_static_selectorELNS0_4arch9wavefront6targetE1EEEvSD_,"axG",@progbits,_ZN7rocprim17ROCPRIM_400000_NS6detail17trampoline_kernelINS0_14default_configENS1_38merge_sort_block_merge_config_selectorIiiEEZZNS1_27merge_sort_block_merge_implIS3_PiS7_jNS1_19radix_merge_compareILb0ELb0EiNS0_19identity_decomposerEEEEE10hipError_tT0_T1_T2_jT3_P12ihipStream_tbPNSt15iterator_traitsISC_E10value_typeEPNSI_ISD_E10value_typeEPSE_NS1_7vsmem_tEENKUlT_SC_SD_SE_E_clIS7_S7_S7_S7_EESB_SR_SC_SD_SE_EUlSR_E_NS1_11comp_targetILNS1_3genE8ELNS1_11target_archE1030ELNS1_3gpuE2ELNS1_3repE0EEENS1_48merge_mergepath_partition_config_static_selectorELNS0_4arch9wavefront6targetE1EEEvSD_,comdat
.Lfunc_end308:
	.size	_ZN7rocprim17ROCPRIM_400000_NS6detail17trampoline_kernelINS0_14default_configENS1_38merge_sort_block_merge_config_selectorIiiEEZZNS1_27merge_sort_block_merge_implIS3_PiS7_jNS1_19radix_merge_compareILb0ELb0EiNS0_19identity_decomposerEEEEE10hipError_tT0_T1_T2_jT3_P12ihipStream_tbPNSt15iterator_traitsISC_E10value_typeEPNSI_ISD_E10value_typeEPSE_NS1_7vsmem_tEENKUlT_SC_SD_SE_E_clIS7_S7_S7_S7_EESB_SR_SC_SD_SE_EUlSR_E_NS1_11comp_targetILNS1_3genE8ELNS1_11target_archE1030ELNS1_3gpuE2ELNS1_3repE0EEENS1_48merge_mergepath_partition_config_static_selectorELNS0_4arch9wavefront6targetE1EEEvSD_, .Lfunc_end308-_ZN7rocprim17ROCPRIM_400000_NS6detail17trampoline_kernelINS0_14default_configENS1_38merge_sort_block_merge_config_selectorIiiEEZZNS1_27merge_sort_block_merge_implIS3_PiS7_jNS1_19radix_merge_compareILb0ELb0EiNS0_19identity_decomposerEEEEE10hipError_tT0_T1_T2_jT3_P12ihipStream_tbPNSt15iterator_traitsISC_E10value_typeEPNSI_ISD_E10value_typeEPSE_NS1_7vsmem_tEENKUlT_SC_SD_SE_E_clIS7_S7_S7_S7_EESB_SR_SC_SD_SE_EUlSR_E_NS1_11comp_targetILNS1_3genE8ELNS1_11target_archE1030ELNS1_3gpuE2ELNS1_3repE0EEENS1_48merge_mergepath_partition_config_static_selectorELNS0_4arch9wavefront6targetE1EEEvSD_
                                        ; -- End function
	.section	.AMDGPU.csdata,"",@progbits
; Kernel info:
; codeLenInByte = 0
; NumSgprs: 4
; NumVgprs: 0
; NumAgprs: 0
; TotalNumVgprs: 0
; ScratchSize: 0
; MemoryBound: 0
; FloatMode: 240
; IeeeMode: 1
; LDSByteSize: 0 bytes/workgroup (compile time only)
; SGPRBlocks: 0
; VGPRBlocks: 0
; NumSGPRsForWavesPerEU: 4
; NumVGPRsForWavesPerEU: 1
; AccumOffset: 4
; Occupancy: 8
; WaveLimiterHint : 0
; COMPUTE_PGM_RSRC2:SCRATCH_EN: 0
; COMPUTE_PGM_RSRC2:USER_SGPR: 6
; COMPUTE_PGM_RSRC2:TRAP_HANDLER: 0
; COMPUTE_PGM_RSRC2:TGID_X_EN: 1
; COMPUTE_PGM_RSRC2:TGID_Y_EN: 0
; COMPUTE_PGM_RSRC2:TGID_Z_EN: 0
; COMPUTE_PGM_RSRC2:TIDIG_COMP_CNT: 0
; COMPUTE_PGM_RSRC3_GFX90A:ACCUM_OFFSET: 0
; COMPUTE_PGM_RSRC3_GFX90A:TG_SPLIT: 0
	.section	.text._ZN7rocprim17ROCPRIM_400000_NS6detail17trampoline_kernelINS0_14default_configENS1_38merge_sort_block_merge_config_selectorIiiEEZZNS1_27merge_sort_block_merge_implIS3_PiS7_jNS1_19radix_merge_compareILb0ELb0EiNS0_19identity_decomposerEEEEE10hipError_tT0_T1_T2_jT3_P12ihipStream_tbPNSt15iterator_traitsISC_E10value_typeEPNSI_ISD_E10value_typeEPSE_NS1_7vsmem_tEENKUlT_SC_SD_SE_E_clIS7_S7_S7_S7_EESB_SR_SC_SD_SE_EUlSR_E0_NS1_11comp_targetILNS1_3genE0ELNS1_11target_archE4294967295ELNS1_3gpuE0ELNS1_3repE0EEENS1_38merge_mergepath_config_static_selectorELNS0_4arch9wavefront6targetE1EEEvSD_,"axG",@progbits,_ZN7rocprim17ROCPRIM_400000_NS6detail17trampoline_kernelINS0_14default_configENS1_38merge_sort_block_merge_config_selectorIiiEEZZNS1_27merge_sort_block_merge_implIS3_PiS7_jNS1_19radix_merge_compareILb0ELb0EiNS0_19identity_decomposerEEEEE10hipError_tT0_T1_T2_jT3_P12ihipStream_tbPNSt15iterator_traitsISC_E10value_typeEPNSI_ISD_E10value_typeEPSE_NS1_7vsmem_tEENKUlT_SC_SD_SE_E_clIS7_S7_S7_S7_EESB_SR_SC_SD_SE_EUlSR_E0_NS1_11comp_targetILNS1_3genE0ELNS1_11target_archE4294967295ELNS1_3gpuE0ELNS1_3repE0EEENS1_38merge_mergepath_config_static_selectorELNS0_4arch9wavefront6targetE1EEEvSD_,comdat
	.protected	_ZN7rocprim17ROCPRIM_400000_NS6detail17trampoline_kernelINS0_14default_configENS1_38merge_sort_block_merge_config_selectorIiiEEZZNS1_27merge_sort_block_merge_implIS3_PiS7_jNS1_19radix_merge_compareILb0ELb0EiNS0_19identity_decomposerEEEEE10hipError_tT0_T1_T2_jT3_P12ihipStream_tbPNSt15iterator_traitsISC_E10value_typeEPNSI_ISD_E10value_typeEPSE_NS1_7vsmem_tEENKUlT_SC_SD_SE_E_clIS7_S7_S7_S7_EESB_SR_SC_SD_SE_EUlSR_E0_NS1_11comp_targetILNS1_3genE0ELNS1_11target_archE4294967295ELNS1_3gpuE0ELNS1_3repE0EEENS1_38merge_mergepath_config_static_selectorELNS0_4arch9wavefront6targetE1EEEvSD_ ; -- Begin function _ZN7rocprim17ROCPRIM_400000_NS6detail17trampoline_kernelINS0_14default_configENS1_38merge_sort_block_merge_config_selectorIiiEEZZNS1_27merge_sort_block_merge_implIS3_PiS7_jNS1_19radix_merge_compareILb0ELb0EiNS0_19identity_decomposerEEEEE10hipError_tT0_T1_T2_jT3_P12ihipStream_tbPNSt15iterator_traitsISC_E10value_typeEPNSI_ISD_E10value_typeEPSE_NS1_7vsmem_tEENKUlT_SC_SD_SE_E_clIS7_S7_S7_S7_EESB_SR_SC_SD_SE_EUlSR_E0_NS1_11comp_targetILNS1_3genE0ELNS1_11target_archE4294967295ELNS1_3gpuE0ELNS1_3repE0EEENS1_38merge_mergepath_config_static_selectorELNS0_4arch9wavefront6targetE1EEEvSD_
	.globl	_ZN7rocprim17ROCPRIM_400000_NS6detail17trampoline_kernelINS0_14default_configENS1_38merge_sort_block_merge_config_selectorIiiEEZZNS1_27merge_sort_block_merge_implIS3_PiS7_jNS1_19radix_merge_compareILb0ELb0EiNS0_19identity_decomposerEEEEE10hipError_tT0_T1_T2_jT3_P12ihipStream_tbPNSt15iterator_traitsISC_E10value_typeEPNSI_ISD_E10value_typeEPSE_NS1_7vsmem_tEENKUlT_SC_SD_SE_E_clIS7_S7_S7_S7_EESB_SR_SC_SD_SE_EUlSR_E0_NS1_11comp_targetILNS1_3genE0ELNS1_11target_archE4294967295ELNS1_3gpuE0ELNS1_3repE0EEENS1_38merge_mergepath_config_static_selectorELNS0_4arch9wavefront6targetE1EEEvSD_
	.p2align	8
	.type	_ZN7rocprim17ROCPRIM_400000_NS6detail17trampoline_kernelINS0_14default_configENS1_38merge_sort_block_merge_config_selectorIiiEEZZNS1_27merge_sort_block_merge_implIS3_PiS7_jNS1_19radix_merge_compareILb0ELb0EiNS0_19identity_decomposerEEEEE10hipError_tT0_T1_T2_jT3_P12ihipStream_tbPNSt15iterator_traitsISC_E10value_typeEPNSI_ISD_E10value_typeEPSE_NS1_7vsmem_tEENKUlT_SC_SD_SE_E_clIS7_S7_S7_S7_EESB_SR_SC_SD_SE_EUlSR_E0_NS1_11comp_targetILNS1_3genE0ELNS1_11target_archE4294967295ELNS1_3gpuE0ELNS1_3repE0EEENS1_38merge_mergepath_config_static_selectorELNS0_4arch9wavefront6targetE1EEEvSD_,@function
_ZN7rocprim17ROCPRIM_400000_NS6detail17trampoline_kernelINS0_14default_configENS1_38merge_sort_block_merge_config_selectorIiiEEZZNS1_27merge_sort_block_merge_implIS3_PiS7_jNS1_19radix_merge_compareILb0ELb0EiNS0_19identity_decomposerEEEEE10hipError_tT0_T1_T2_jT3_P12ihipStream_tbPNSt15iterator_traitsISC_E10value_typeEPNSI_ISD_E10value_typeEPSE_NS1_7vsmem_tEENKUlT_SC_SD_SE_E_clIS7_S7_S7_S7_EESB_SR_SC_SD_SE_EUlSR_E0_NS1_11comp_targetILNS1_3genE0ELNS1_11target_archE4294967295ELNS1_3gpuE0ELNS1_3repE0EEENS1_38merge_mergepath_config_static_selectorELNS0_4arch9wavefront6targetE1EEEvSD_: ; @_ZN7rocprim17ROCPRIM_400000_NS6detail17trampoline_kernelINS0_14default_configENS1_38merge_sort_block_merge_config_selectorIiiEEZZNS1_27merge_sort_block_merge_implIS3_PiS7_jNS1_19radix_merge_compareILb0ELb0EiNS0_19identity_decomposerEEEEE10hipError_tT0_T1_T2_jT3_P12ihipStream_tbPNSt15iterator_traitsISC_E10value_typeEPNSI_ISD_E10value_typeEPSE_NS1_7vsmem_tEENKUlT_SC_SD_SE_E_clIS7_S7_S7_S7_EESB_SR_SC_SD_SE_EUlSR_E0_NS1_11comp_targetILNS1_3genE0ELNS1_11target_archE4294967295ELNS1_3gpuE0ELNS1_3repE0EEENS1_38merge_mergepath_config_static_selectorELNS0_4arch9wavefront6targetE1EEEvSD_
; %bb.0:
	.section	.rodata,"a",@progbits
	.p2align	6, 0x0
	.amdhsa_kernel _ZN7rocprim17ROCPRIM_400000_NS6detail17trampoline_kernelINS0_14default_configENS1_38merge_sort_block_merge_config_selectorIiiEEZZNS1_27merge_sort_block_merge_implIS3_PiS7_jNS1_19radix_merge_compareILb0ELb0EiNS0_19identity_decomposerEEEEE10hipError_tT0_T1_T2_jT3_P12ihipStream_tbPNSt15iterator_traitsISC_E10value_typeEPNSI_ISD_E10value_typeEPSE_NS1_7vsmem_tEENKUlT_SC_SD_SE_E_clIS7_S7_S7_S7_EESB_SR_SC_SD_SE_EUlSR_E0_NS1_11comp_targetILNS1_3genE0ELNS1_11target_archE4294967295ELNS1_3gpuE0ELNS1_3repE0EEENS1_38merge_mergepath_config_static_selectorELNS0_4arch9wavefront6targetE1EEEvSD_
		.amdhsa_group_segment_fixed_size 0
		.amdhsa_private_segment_fixed_size 0
		.amdhsa_kernarg_size 64
		.amdhsa_user_sgpr_count 6
		.amdhsa_user_sgpr_private_segment_buffer 1
		.amdhsa_user_sgpr_dispatch_ptr 0
		.amdhsa_user_sgpr_queue_ptr 0
		.amdhsa_user_sgpr_kernarg_segment_ptr 1
		.amdhsa_user_sgpr_dispatch_id 0
		.amdhsa_user_sgpr_flat_scratch_init 0
		.amdhsa_user_sgpr_kernarg_preload_length 0
		.amdhsa_user_sgpr_kernarg_preload_offset 0
		.amdhsa_user_sgpr_private_segment_size 0
		.amdhsa_uses_dynamic_stack 0
		.amdhsa_system_sgpr_private_segment_wavefront_offset 0
		.amdhsa_system_sgpr_workgroup_id_x 1
		.amdhsa_system_sgpr_workgroup_id_y 0
		.amdhsa_system_sgpr_workgroup_id_z 0
		.amdhsa_system_sgpr_workgroup_info 0
		.amdhsa_system_vgpr_workitem_id 0
		.amdhsa_next_free_vgpr 1
		.amdhsa_next_free_sgpr 0
		.amdhsa_accum_offset 4
		.amdhsa_reserve_vcc 0
		.amdhsa_reserve_flat_scratch 0
		.amdhsa_float_round_mode_32 0
		.amdhsa_float_round_mode_16_64 0
		.amdhsa_float_denorm_mode_32 3
		.amdhsa_float_denorm_mode_16_64 3
		.amdhsa_dx10_clamp 1
		.amdhsa_ieee_mode 1
		.amdhsa_fp16_overflow 0
		.amdhsa_tg_split 0
		.amdhsa_exception_fp_ieee_invalid_op 0
		.amdhsa_exception_fp_denorm_src 0
		.amdhsa_exception_fp_ieee_div_zero 0
		.amdhsa_exception_fp_ieee_overflow 0
		.amdhsa_exception_fp_ieee_underflow 0
		.amdhsa_exception_fp_ieee_inexact 0
		.amdhsa_exception_int_div_zero 0
	.end_amdhsa_kernel
	.section	.text._ZN7rocprim17ROCPRIM_400000_NS6detail17trampoline_kernelINS0_14default_configENS1_38merge_sort_block_merge_config_selectorIiiEEZZNS1_27merge_sort_block_merge_implIS3_PiS7_jNS1_19radix_merge_compareILb0ELb0EiNS0_19identity_decomposerEEEEE10hipError_tT0_T1_T2_jT3_P12ihipStream_tbPNSt15iterator_traitsISC_E10value_typeEPNSI_ISD_E10value_typeEPSE_NS1_7vsmem_tEENKUlT_SC_SD_SE_E_clIS7_S7_S7_S7_EESB_SR_SC_SD_SE_EUlSR_E0_NS1_11comp_targetILNS1_3genE0ELNS1_11target_archE4294967295ELNS1_3gpuE0ELNS1_3repE0EEENS1_38merge_mergepath_config_static_selectorELNS0_4arch9wavefront6targetE1EEEvSD_,"axG",@progbits,_ZN7rocprim17ROCPRIM_400000_NS6detail17trampoline_kernelINS0_14default_configENS1_38merge_sort_block_merge_config_selectorIiiEEZZNS1_27merge_sort_block_merge_implIS3_PiS7_jNS1_19radix_merge_compareILb0ELb0EiNS0_19identity_decomposerEEEEE10hipError_tT0_T1_T2_jT3_P12ihipStream_tbPNSt15iterator_traitsISC_E10value_typeEPNSI_ISD_E10value_typeEPSE_NS1_7vsmem_tEENKUlT_SC_SD_SE_E_clIS7_S7_S7_S7_EESB_SR_SC_SD_SE_EUlSR_E0_NS1_11comp_targetILNS1_3genE0ELNS1_11target_archE4294967295ELNS1_3gpuE0ELNS1_3repE0EEENS1_38merge_mergepath_config_static_selectorELNS0_4arch9wavefront6targetE1EEEvSD_,comdat
.Lfunc_end309:
	.size	_ZN7rocprim17ROCPRIM_400000_NS6detail17trampoline_kernelINS0_14default_configENS1_38merge_sort_block_merge_config_selectorIiiEEZZNS1_27merge_sort_block_merge_implIS3_PiS7_jNS1_19radix_merge_compareILb0ELb0EiNS0_19identity_decomposerEEEEE10hipError_tT0_T1_T2_jT3_P12ihipStream_tbPNSt15iterator_traitsISC_E10value_typeEPNSI_ISD_E10value_typeEPSE_NS1_7vsmem_tEENKUlT_SC_SD_SE_E_clIS7_S7_S7_S7_EESB_SR_SC_SD_SE_EUlSR_E0_NS1_11comp_targetILNS1_3genE0ELNS1_11target_archE4294967295ELNS1_3gpuE0ELNS1_3repE0EEENS1_38merge_mergepath_config_static_selectorELNS0_4arch9wavefront6targetE1EEEvSD_, .Lfunc_end309-_ZN7rocprim17ROCPRIM_400000_NS6detail17trampoline_kernelINS0_14default_configENS1_38merge_sort_block_merge_config_selectorIiiEEZZNS1_27merge_sort_block_merge_implIS3_PiS7_jNS1_19radix_merge_compareILb0ELb0EiNS0_19identity_decomposerEEEEE10hipError_tT0_T1_T2_jT3_P12ihipStream_tbPNSt15iterator_traitsISC_E10value_typeEPNSI_ISD_E10value_typeEPSE_NS1_7vsmem_tEENKUlT_SC_SD_SE_E_clIS7_S7_S7_S7_EESB_SR_SC_SD_SE_EUlSR_E0_NS1_11comp_targetILNS1_3genE0ELNS1_11target_archE4294967295ELNS1_3gpuE0ELNS1_3repE0EEENS1_38merge_mergepath_config_static_selectorELNS0_4arch9wavefront6targetE1EEEvSD_
                                        ; -- End function
	.section	.AMDGPU.csdata,"",@progbits
; Kernel info:
; codeLenInByte = 0
; NumSgprs: 4
; NumVgprs: 0
; NumAgprs: 0
; TotalNumVgprs: 0
; ScratchSize: 0
; MemoryBound: 0
; FloatMode: 240
; IeeeMode: 1
; LDSByteSize: 0 bytes/workgroup (compile time only)
; SGPRBlocks: 0
; VGPRBlocks: 0
; NumSGPRsForWavesPerEU: 4
; NumVGPRsForWavesPerEU: 1
; AccumOffset: 4
; Occupancy: 8
; WaveLimiterHint : 0
; COMPUTE_PGM_RSRC2:SCRATCH_EN: 0
; COMPUTE_PGM_RSRC2:USER_SGPR: 6
; COMPUTE_PGM_RSRC2:TRAP_HANDLER: 0
; COMPUTE_PGM_RSRC2:TGID_X_EN: 1
; COMPUTE_PGM_RSRC2:TGID_Y_EN: 0
; COMPUTE_PGM_RSRC2:TGID_Z_EN: 0
; COMPUTE_PGM_RSRC2:TIDIG_COMP_CNT: 0
; COMPUTE_PGM_RSRC3_GFX90A:ACCUM_OFFSET: 0
; COMPUTE_PGM_RSRC3_GFX90A:TG_SPLIT: 0
	.section	.text._ZN7rocprim17ROCPRIM_400000_NS6detail17trampoline_kernelINS0_14default_configENS1_38merge_sort_block_merge_config_selectorIiiEEZZNS1_27merge_sort_block_merge_implIS3_PiS7_jNS1_19radix_merge_compareILb0ELb0EiNS0_19identity_decomposerEEEEE10hipError_tT0_T1_T2_jT3_P12ihipStream_tbPNSt15iterator_traitsISC_E10value_typeEPNSI_ISD_E10value_typeEPSE_NS1_7vsmem_tEENKUlT_SC_SD_SE_E_clIS7_S7_S7_S7_EESB_SR_SC_SD_SE_EUlSR_E0_NS1_11comp_targetILNS1_3genE10ELNS1_11target_archE1201ELNS1_3gpuE5ELNS1_3repE0EEENS1_38merge_mergepath_config_static_selectorELNS0_4arch9wavefront6targetE1EEEvSD_,"axG",@progbits,_ZN7rocprim17ROCPRIM_400000_NS6detail17trampoline_kernelINS0_14default_configENS1_38merge_sort_block_merge_config_selectorIiiEEZZNS1_27merge_sort_block_merge_implIS3_PiS7_jNS1_19radix_merge_compareILb0ELb0EiNS0_19identity_decomposerEEEEE10hipError_tT0_T1_T2_jT3_P12ihipStream_tbPNSt15iterator_traitsISC_E10value_typeEPNSI_ISD_E10value_typeEPSE_NS1_7vsmem_tEENKUlT_SC_SD_SE_E_clIS7_S7_S7_S7_EESB_SR_SC_SD_SE_EUlSR_E0_NS1_11comp_targetILNS1_3genE10ELNS1_11target_archE1201ELNS1_3gpuE5ELNS1_3repE0EEENS1_38merge_mergepath_config_static_selectorELNS0_4arch9wavefront6targetE1EEEvSD_,comdat
	.protected	_ZN7rocprim17ROCPRIM_400000_NS6detail17trampoline_kernelINS0_14default_configENS1_38merge_sort_block_merge_config_selectorIiiEEZZNS1_27merge_sort_block_merge_implIS3_PiS7_jNS1_19radix_merge_compareILb0ELb0EiNS0_19identity_decomposerEEEEE10hipError_tT0_T1_T2_jT3_P12ihipStream_tbPNSt15iterator_traitsISC_E10value_typeEPNSI_ISD_E10value_typeEPSE_NS1_7vsmem_tEENKUlT_SC_SD_SE_E_clIS7_S7_S7_S7_EESB_SR_SC_SD_SE_EUlSR_E0_NS1_11comp_targetILNS1_3genE10ELNS1_11target_archE1201ELNS1_3gpuE5ELNS1_3repE0EEENS1_38merge_mergepath_config_static_selectorELNS0_4arch9wavefront6targetE1EEEvSD_ ; -- Begin function _ZN7rocprim17ROCPRIM_400000_NS6detail17trampoline_kernelINS0_14default_configENS1_38merge_sort_block_merge_config_selectorIiiEEZZNS1_27merge_sort_block_merge_implIS3_PiS7_jNS1_19radix_merge_compareILb0ELb0EiNS0_19identity_decomposerEEEEE10hipError_tT0_T1_T2_jT3_P12ihipStream_tbPNSt15iterator_traitsISC_E10value_typeEPNSI_ISD_E10value_typeEPSE_NS1_7vsmem_tEENKUlT_SC_SD_SE_E_clIS7_S7_S7_S7_EESB_SR_SC_SD_SE_EUlSR_E0_NS1_11comp_targetILNS1_3genE10ELNS1_11target_archE1201ELNS1_3gpuE5ELNS1_3repE0EEENS1_38merge_mergepath_config_static_selectorELNS0_4arch9wavefront6targetE1EEEvSD_
	.globl	_ZN7rocprim17ROCPRIM_400000_NS6detail17trampoline_kernelINS0_14default_configENS1_38merge_sort_block_merge_config_selectorIiiEEZZNS1_27merge_sort_block_merge_implIS3_PiS7_jNS1_19radix_merge_compareILb0ELb0EiNS0_19identity_decomposerEEEEE10hipError_tT0_T1_T2_jT3_P12ihipStream_tbPNSt15iterator_traitsISC_E10value_typeEPNSI_ISD_E10value_typeEPSE_NS1_7vsmem_tEENKUlT_SC_SD_SE_E_clIS7_S7_S7_S7_EESB_SR_SC_SD_SE_EUlSR_E0_NS1_11comp_targetILNS1_3genE10ELNS1_11target_archE1201ELNS1_3gpuE5ELNS1_3repE0EEENS1_38merge_mergepath_config_static_selectorELNS0_4arch9wavefront6targetE1EEEvSD_
	.p2align	8
	.type	_ZN7rocprim17ROCPRIM_400000_NS6detail17trampoline_kernelINS0_14default_configENS1_38merge_sort_block_merge_config_selectorIiiEEZZNS1_27merge_sort_block_merge_implIS3_PiS7_jNS1_19radix_merge_compareILb0ELb0EiNS0_19identity_decomposerEEEEE10hipError_tT0_T1_T2_jT3_P12ihipStream_tbPNSt15iterator_traitsISC_E10value_typeEPNSI_ISD_E10value_typeEPSE_NS1_7vsmem_tEENKUlT_SC_SD_SE_E_clIS7_S7_S7_S7_EESB_SR_SC_SD_SE_EUlSR_E0_NS1_11comp_targetILNS1_3genE10ELNS1_11target_archE1201ELNS1_3gpuE5ELNS1_3repE0EEENS1_38merge_mergepath_config_static_selectorELNS0_4arch9wavefront6targetE1EEEvSD_,@function
_ZN7rocprim17ROCPRIM_400000_NS6detail17trampoline_kernelINS0_14default_configENS1_38merge_sort_block_merge_config_selectorIiiEEZZNS1_27merge_sort_block_merge_implIS3_PiS7_jNS1_19radix_merge_compareILb0ELb0EiNS0_19identity_decomposerEEEEE10hipError_tT0_T1_T2_jT3_P12ihipStream_tbPNSt15iterator_traitsISC_E10value_typeEPNSI_ISD_E10value_typeEPSE_NS1_7vsmem_tEENKUlT_SC_SD_SE_E_clIS7_S7_S7_S7_EESB_SR_SC_SD_SE_EUlSR_E0_NS1_11comp_targetILNS1_3genE10ELNS1_11target_archE1201ELNS1_3gpuE5ELNS1_3repE0EEENS1_38merge_mergepath_config_static_selectorELNS0_4arch9wavefront6targetE1EEEvSD_: ; @_ZN7rocprim17ROCPRIM_400000_NS6detail17trampoline_kernelINS0_14default_configENS1_38merge_sort_block_merge_config_selectorIiiEEZZNS1_27merge_sort_block_merge_implIS3_PiS7_jNS1_19radix_merge_compareILb0ELb0EiNS0_19identity_decomposerEEEEE10hipError_tT0_T1_T2_jT3_P12ihipStream_tbPNSt15iterator_traitsISC_E10value_typeEPNSI_ISD_E10value_typeEPSE_NS1_7vsmem_tEENKUlT_SC_SD_SE_E_clIS7_S7_S7_S7_EESB_SR_SC_SD_SE_EUlSR_E0_NS1_11comp_targetILNS1_3genE10ELNS1_11target_archE1201ELNS1_3gpuE5ELNS1_3repE0EEENS1_38merge_mergepath_config_static_selectorELNS0_4arch9wavefront6targetE1EEEvSD_
; %bb.0:
	.section	.rodata,"a",@progbits
	.p2align	6, 0x0
	.amdhsa_kernel _ZN7rocprim17ROCPRIM_400000_NS6detail17trampoline_kernelINS0_14default_configENS1_38merge_sort_block_merge_config_selectorIiiEEZZNS1_27merge_sort_block_merge_implIS3_PiS7_jNS1_19radix_merge_compareILb0ELb0EiNS0_19identity_decomposerEEEEE10hipError_tT0_T1_T2_jT3_P12ihipStream_tbPNSt15iterator_traitsISC_E10value_typeEPNSI_ISD_E10value_typeEPSE_NS1_7vsmem_tEENKUlT_SC_SD_SE_E_clIS7_S7_S7_S7_EESB_SR_SC_SD_SE_EUlSR_E0_NS1_11comp_targetILNS1_3genE10ELNS1_11target_archE1201ELNS1_3gpuE5ELNS1_3repE0EEENS1_38merge_mergepath_config_static_selectorELNS0_4arch9wavefront6targetE1EEEvSD_
		.amdhsa_group_segment_fixed_size 0
		.amdhsa_private_segment_fixed_size 0
		.amdhsa_kernarg_size 64
		.amdhsa_user_sgpr_count 6
		.amdhsa_user_sgpr_private_segment_buffer 1
		.amdhsa_user_sgpr_dispatch_ptr 0
		.amdhsa_user_sgpr_queue_ptr 0
		.amdhsa_user_sgpr_kernarg_segment_ptr 1
		.amdhsa_user_sgpr_dispatch_id 0
		.amdhsa_user_sgpr_flat_scratch_init 0
		.amdhsa_user_sgpr_kernarg_preload_length 0
		.amdhsa_user_sgpr_kernarg_preload_offset 0
		.amdhsa_user_sgpr_private_segment_size 0
		.amdhsa_uses_dynamic_stack 0
		.amdhsa_system_sgpr_private_segment_wavefront_offset 0
		.amdhsa_system_sgpr_workgroup_id_x 1
		.amdhsa_system_sgpr_workgroup_id_y 0
		.amdhsa_system_sgpr_workgroup_id_z 0
		.amdhsa_system_sgpr_workgroup_info 0
		.amdhsa_system_vgpr_workitem_id 0
		.amdhsa_next_free_vgpr 1
		.amdhsa_next_free_sgpr 0
		.amdhsa_accum_offset 4
		.amdhsa_reserve_vcc 0
		.amdhsa_reserve_flat_scratch 0
		.amdhsa_float_round_mode_32 0
		.amdhsa_float_round_mode_16_64 0
		.amdhsa_float_denorm_mode_32 3
		.amdhsa_float_denorm_mode_16_64 3
		.amdhsa_dx10_clamp 1
		.amdhsa_ieee_mode 1
		.amdhsa_fp16_overflow 0
		.amdhsa_tg_split 0
		.amdhsa_exception_fp_ieee_invalid_op 0
		.amdhsa_exception_fp_denorm_src 0
		.amdhsa_exception_fp_ieee_div_zero 0
		.amdhsa_exception_fp_ieee_overflow 0
		.amdhsa_exception_fp_ieee_underflow 0
		.amdhsa_exception_fp_ieee_inexact 0
		.amdhsa_exception_int_div_zero 0
	.end_amdhsa_kernel
	.section	.text._ZN7rocprim17ROCPRIM_400000_NS6detail17trampoline_kernelINS0_14default_configENS1_38merge_sort_block_merge_config_selectorIiiEEZZNS1_27merge_sort_block_merge_implIS3_PiS7_jNS1_19radix_merge_compareILb0ELb0EiNS0_19identity_decomposerEEEEE10hipError_tT0_T1_T2_jT3_P12ihipStream_tbPNSt15iterator_traitsISC_E10value_typeEPNSI_ISD_E10value_typeEPSE_NS1_7vsmem_tEENKUlT_SC_SD_SE_E_clIS7_S7_S7_S7_EESB_SR_SC_SD_SE_EUlSR_E0_NS1_11comp_targetILNS1_3genE10ELNS1_11target_archE1201ELNS1_3gpuE5ELNS1_3repE0EEENS1_38merge_mergepath_config_static_selectorELNS0_4arch9wavefront6targetE1EEEvSD_,"axG",@progbits,_ZN7rocprim17ROCPRIM_400000_NS6detail17trampoline_kernelINS0_14default_configENS1_38merge_sort_block_merge_config_selectorIiiEEZZNS1_27merge_sort_block_merge_implIS3_PiS7_jNS1_19radix_merge_compareILb0ELb0EiNS0_19identity_decomposerEEEEE10hipError_tT0_T1_T2_jT3_P12ihipStream_tbPNSt15iterator_traitsISC_E10value_typeEPNSI_ISD_E10value_typeEPSE_NS1_7vsmem_tEENKUlT_SC_SD_SE_E_clIS7_S7_S7_S7_EESB_SR_SC_SD_SE_EUlSR_E0_NS1_11comp_targetILNS1_3genE10ELNS1_11target_archE1201ELNS1_3gpuE5ELNS1_3repE0EEENS1_38merge_mergepath_config_static_selectorELNS0_4arch9wavefront6targetE1EEEvSD_,comdat
.Lfunc_end310:
	.size	_ZN7rocprim17ROCPRIM_400000_NS6detail17trampoline_kernelINS0_14default_configENS1_38merge_sort_block_merge_config_selectorIiiEEZZNS1_27merge_sort_block_merge_implIS3_PiS7_jNS1_19radix_merge_compareILb0ELb0EiNS0_19identity_decomposerEEEEE10hipError_tT0_T1_T2_jT3_P12ihipStream_tbPNSt15iterator_traitsISC_E10value_typeEPNSI_ISD_E10value_typeEPSE_NS1_7vsmem_tEENKUlT_SC_SD_SE_E_clIS7_S7_S7_S7_EESB_SR_SC_SD_SE_EUlSR_E0_NS1_11comp_targetILNS1_3genE10ELNS1_11target_archE1201ELNS1_3gpuE5ELNS1_3repE0EEENS1_38merge_mergepath_config_static_selectorELNS0_4arch9wavefront6targetE1EEEvSD_, .Lfunc_end310-_ZN7rocprim17ROCPRIM_400000_NS6detail17trampoline_kernelINS0_14default_configENS1_38merge_sort_block_merge_config_selectorIiiEEZZNS1_27merge_sort_block_merge_implIS3_PiS7_jNS1_19radix_merge_compareILb0ELb0EiNS0_19identity_decomposerEEEEE10hipError_tT0_T1_T2_jT3_P12ihipStream_tbPNSt15iterator_traitsISC_E10value_typeEPNSI_ISD_E10value_typeEPSE_NS1_7vsmem_tEENKUlT_SC_SD_SE_E_clIS7_S7_S7_S7_EESB_SR_SC_SD_SE_EUlSR_E0_NS1_11comp_targetILNS1_3genE10ELNS1_11target_archE1201ELNS1_3gpuE5ELNS1_3repE0EEENS1_38merge_mergepath_config_static_selectorELNS0_4arch9wavefront6targetE1EEEvSD_
                                        ; -- End function
	.section	.AMDGPU.csdata,"",@progbits
; Kernel info:
; codeLenInByte = 0
; NumSgprs: 4
; NumVgprs: 0
; NumAgprs: 0
; TotalNumVgprs: 0
; ScratchSize: 0
; MemoryBound: 0
; FloatMode: 240
; IeeeMode: 1
; LDSByteSize: 0 bytes/workgroup (compile time only)
; SGPRBlocks: 0
; VGPRBlocks: 0
; NumSGPRsForWavesPerEU: 4
; NumVGPRsForWavesPerEU: 1
; AccumOffset: 4
; Occupancy: 8
; WaveLimiterHint : 0
; COMPUTE_PGM_RSRC2:SCRATCH_EN: 0
; COMPUTE_PGM_RSRC2:USER_SGPR: 6
; COMPUTE_PGM_RSRC2:TRAP_HANDLER: 0
; COMPUTE_PGM_RSRC2:TGID_X_EN: 1
; COMPUTE_PGM_RSRC2:TGID_Y_EN: 0
; COMPUTE_PGM_RSRC2:TGID_Z_EN: 0
; COMPUTE_PGM_RSRC2:TIDIG_COMP_CNT: 0
; COMPUTE_PGM_RSRC3_GFX90A:ACCUM_OFFSET: 0
; COMPUTE_PGM_RSRC3_GFX90A:TG_SPLIT: 0
	.section	.text._ZN7rocprim17ROCPRIM_400000_NS6detail17trampoline_kernelINS0_14default_configENS1_38merge_sort_block_merge_config_selectorIiiEEZZNS1_27merge_sort_block_merge_implIS3_PiS7_jNS1_19radix_merge_compareILb0ELb0EiNS0_19identity_decomposerEEEEE10hipError_tT0_T1_T2_jT3_P12ihipStream_tbPNSt15iterator_traitsISC_E10value_typeEPNSI_ISD_E10value_typeEPSE_NS1_7vsmem_tEENKUlT_SC_SD_SE_E_clIS7_S7_S7_S7_EESB_SR_SC_SD_SE_EUlSR_E0_NS1_11comp_targetILNS1_3genE5ELNS1_11target_archE942ELNS1_3gpuE9ELNS1_3repE0EEENS1_38merge_mergepath_config_static_selectorELNS0_4arch9wavefront6targetE1EEEvSD_,"axG",@progbits,_ZN7rocprim17ROCPRIM_400000_NS6detail17trampoline_kernelINS0_14default_configENS1_38merge_sort_block_merge_config_selectorIiiEEZZNS1_27merge_sort_block_merge_implIS3_PiS7_jNS1_19radix_merge_compareILb0ELb0EiNS0_19identity_decomposerEEEEE10hipError_tT0_T1_T2_jT3_P12ihipStream_tbPNSt15iterator_traitsISC_E10value_typeEPNSI_ISD_E10value_typeEPSE_NS1_7vsmem_tEENKUlT_SC_SD_SE_E_clIS7_S7_S7_S7_EESB_SR_SC_SD_SE_EUlSR_E0_NS1_11comp_targetILNS1_3genE5ELNS1_11target_archE942ELNS1_3gpuE9ELNS1_3repE0EEENS1_38merge_mergepath_config_static_selectorELNS0_4arch9wavefront6targetE1EEEvSD_,comdat
	.protected	_ZN7rocprim17ROCPRIM_400000_NS6detail17trampoline_kernelINS0_14default_configENS1_38merge_sort_block_merge_config_selectorIiiEEZZNS1_27merge_sort_block_merge_implIS3_PiS7_jNS1_19radix_merge_compareILb0ELb0EiNS0_19identity_decomposerEEEEE10hipError_tT0_T1_T2_jT3_P12ihipStream_tbPNSt15iterator_traitsISC_E10value_typeEPNSI_ISD_E10value_typeEPSE_NS1_7vsmem_tEENKUlT_SC_SD_SE_E_clIS7_S7_S7_S7_EESB_SR_SC_SD_SE_EUlSR_E0_NS1_11comp_targetILNS1_3genE5ELNS1_11target_archE942ELNS1_3gpuE9ELNS1_3repE0EEENS1_38merge_mergepath_config_static_selectorELNS0_4arch9wavefront6targetE1EEEvSD_ ; -- Begin function _ZN7rocprim17ROCPRIM_400000_NS6detail17trampoline_kernelINS0_14default_configENS1_38merge_sort_block_merge_config_selectorIiiEEZZNS1_27merge_sort_block_merge_implIS3_PiS7_jNS1_19radix_merge_compareILb0ELb0EiNS0_19identity_decomposerEEEEE10hipError_tT0_T1_T2_jT3_P12ihipStream_tbPNSt15iterator_traitsISC_E10value_typeEPNSI_ISD_E10value_typeEPSE_NS1_7vsmem_tEENKUlT_SC_SD_SE_E_clIS7_S7_S7_S7_EESB_SR_SC_SD_SE_EUlSR_E0_NS1_11comp_targetILNS1_3genE5ELNS1_11target_archE942ELNS1_3gpuE9ELNS1_3repE0EEENS1_38merge_mergepath_config_static_selectorELNS0_4arch9wavefront6targetE1EEEvSD_
	.globl	_ZN7rocprim17ROCPRIM_400000_NS6detail17trampoline_kernelINS0_14default_configENS1_38merge_sort_block_merge_config_selectorIiiEEZZNS1_27merge_sort_block_merge_implIS3_PiS7_jNS1_19radix_merge_compareILb0ELb0EiNS0_19identity_decomposerEEEEE10hipError_tT0_T1_T2_jT3_P12ihipStream_tbPNSt15iterator_traitsISC_E10value_typeEPNSI_ISD_E10value_typeEPSE_NS1_7vsmem_tEENKUlT_SC_SD_SE_E_clIS7_S7_S7_S7_EESB_SR_SC_SD_SE_EUlSR_E0_NS1_11comp_targetILNS1_3genE5ELNS1_11target_archE942ELNS1_3gpuE9ELNS1_3repE0EEENS1_38merge_mergepath_config_static_selectorELNS0_4arch9wavefront6targetE1EEEvSD_
	.p2align	8
	.type	_ZN7rocprim17ROCPRIM_400000_NS6detail17trampoline_kernelINS0_14default_configENS1_38merge_sort_block_merge_config_selectorIiiEEZZNS1_27merge_sort_block_merge_implIS3_PiS7_jNS1_19radix_merge_compareILb0ELb0EiNS0_19identity_decomposerEEEEE10hipError_tT0_T1_T2_jT3_P12ihipStream_tbPNSt15iterator_traitsISC_E10value_typeEPNSI_ISD_E10value_typeEPSE_NS1_7vsmem_tEENKUlT_SC_SD_SE_E_clIS7_S7_S7_S7_EESB_SR_SC_SD_SE_EUlSR_E0_NS1_11comp_targetILNS1_3genE5ELNS1_11target_archE942ELNS1_3gpuE9ELNS1_3repE0EEENS1_38merge_mergepath_config_static_selectorELNS0_4arch9wavefront6targetE1EEEvSD_,@function
_ZN7rocprim17ROCPRIM_400000_NS6detail17trampoline_kernelINS0_14default_configENS1_38merge_sort_block_merge_config_selectorIiiEEZZNS1_27merge_sort_block_merge_implIS3_PiS7_jNS1_19radix_merge_compareILb0ELb0EiNS0_19identity_decomposerEEEEE10hipError_tT0_T1_T2_jT3_P12ihipStream_tbPNSt15iterator_traitsISC_E10value_typeEPNSI_ISD_E10value_typeEPSE_NS1_7vsmem_tEENKUlT_SC_SD_SE_E_clIS7_S7_S7_S7_EESB_SR_SC_SD_SE_EUlSR_E0_NS1_11comp_targetILNS1_3genE5ELNS1_11target_archE942ELNS1_3gpuE9ELNS1_3repE0EEENS1_38merge_mergepath_config_static_selectorELNS0_4arch9wavefront6targetE1EEEvSD_: ; @_ZN7rocprim17ROCPRIM_400000_NS6detail17trampoline_kernelINS0_14default_configENS1_38merge_sort_block_merge_config_selectorIiiEEZZNS1_27merge_sort_block_merge_implIS3_PiS7_jNS1_19radix_merge_compareILb0ELb0EiNS0_19identity_decomposerEEEEE10hipError_tT0_T1_T2_jT3_P12ihipStream_tbPNSt15iterator_traitsISC_E10value_typeEPNSI_ISD_E10value_typeEPSE_NS1_7vsmem_tEENKUlT_SC_SD_SE_E_clIS7_S7_S7_S7_EESB_SR_SC_SD_SE_EUlSR_E0_NS1_11comp_targetILNS1_3genE5ELNS1_11target_archE942ELNS1_3gpuE9ELNS1_3repE0EEENS1_38merge_mergepath_config_static_selectorELNS0_4arch9wavefront6targetE1EEEvSD_
; %bb.0:
	.section	.rodata,"a",@progbits
	.p2align	6, 0x0
	.amdhsa_kernel _ZN7rocprim17ROCPRIM_400000_NS6detail17trampoline_kernelINS0_14default_configENS1_38merge_sort_block_merge_config_selectorIiiEEZZNS1_27merge_sort_block_merge_implIS3_PiS7_jNS1_19radix_merge_compareILb0ELb0EiNS0_19identity_decomposerEEEEE10hipError_tT0_T1_T2_jT3_P12ihipStream_tbPNSt15iterator_traitsISC_E10value_typeEPNSI_ISD_E10value_typeEPSE_NS1_7vsmem_tEENKUlT_SC_SD_SE_E_clIS7_S7_S7_S7_EESB_SR_SC_SD_SE_EUlSR_E0_NS1_11comp_targetILNS1_3genE5ELNS1_11target_archE942ELNS1_3gpuE9ELNS1_3repE0EEENS1_38merge_mergepath_config_static_selectorELNS0_4arch9wavefront6targetE1EEEvSD_
		.amdhsa_group_segment_fixed_size 0
		.amdhsa_private_segment_fixed_size 0
		.amdhsa_kernarg_size 64
		.amdhsa_user_sgpr_count 6
		.amdhsa_user_sgpr_private_segment_buffer 1
		.amdhsa_user_sgpr_dispatch_ptr 0
		.amdhsa_user_sgpr_queue_ptr 0
		.amdhsa_user_sgpr_kernarg_segment_ptr 1
		.amdhsa_user_sgpr_dispatch_id 0
		.amdhsa_user_sgpr_flat_scratch_init 0
		.amdhsa_user_sgpr_kernarg_preload_length 0
		.amdhsa_user_sgpr_kernarg_preload_offset 0
		.amdhsa_user_sgpr_private_segment_size 0
		.amdhsa_uses_dynamic_stack 0
		.amdhsa_system_sgpr_private_segment_wavefront_offset 0
		.amdhsa_system_sgpr_workgroup_id_x 1
		.amdhsa_system_sgpr_workgroup_id_y 0
		.amdhsa_system_sgpr_workgroup_id_z 0
		.amdhsa_system_sgpr_workgroup_info 0
		.amdhsa_system_vgpr_workitem_id 0
		.amdhsa_next_free_vgpr 1
		.amdhsa_next_free_sgpr 0
		.amdhsa_accum_offset 4
		.amdhsa_reserve_vcc 0
		.amdhsa_reserve_flat_scratch 0
		.amdhsa_float_round_mode_32 0
		.amdhsa_float_round_mode_16_64 0
		.amdhsa_float_denorm_mode_32 3
		.amdhsa_float_denorm_mode_16_64 3
		.amdhsa_dx10_clamp 1
		.amdhsa_ieee_mode 1
		.amdhsa_fp16_overflow 0
		.amdhsa_tg_split 0
		.amdhsa_exception_fp_ieee_invalid_op 0
		.amdhsa_exception_fp_denorm_src 0
		.amdhsa_exception_fp_ieee_div_zero 0
		.amdhsa_exception_fp_ieee_overflow 0
		.amdhsa_exception_fp_ieee_underflow 0
		.amdhsa_exception_fp_ieee_inexact 0
		.amdhsa_exception_int_div_zero 0
	.end_amdhsa_kernel
	.section	.text._ZN7rocprim17ROCPRIM_400000_NS6detail17trampoline_kernelINS0_14default_configENS1_38merge_sort_block_merge_config_selectorIiiEEZZNS1_27merge_sort_block_merge_implIS3_PiS7_jNS1_19radix_merge_compareILb0ELb0EiNS0_19identity_decomposerEEEEE10hipError_tT0_T1_T2_jT3_P12ihipStream_tbPNSt15iterator_traitsISC_E10value_typeEPNSI_ISD_E10value_typeEPSE_NS1_7vsmem_tEENKUlT_SC_SD_SE_E_clIS7_S7_S7_S7_EESB_SR_SC_SD_SE_EUlSR_E0_NS1_11comp_targetILNS1_3genE5ELNS1_11target_archE942ELNS1_3gpuE9ELNS1_3repE0EEENS1_38merge_mergepath_config_static_selectorELNS0_4arch9wavefront6targetE1EEEvSD_,"axG",@progbits,_ZN7rocprim17ROCPRIM_400000_NS6detail17trampoline_kernelINS0_14default_configENS1_38merge_sort_block_merge_config_selectorIiiEEZZNS1_27merge_sort_block_merge_implIS3_PiS7_jNS1_19radix_merge_compareILb0ELb0EiNS0_19identity_decomposerEEEEE10hipError_tT0_T1_T2_jT3_P12ihipStream_tbPNSt15iterator_traitsISC_E10value_typeEPNSI_ISD_E10value_typeEPSE_NS1_7vsmem_tEENKUlT_SC_SD_SE_E_clIS7_S7_S7_S7_EESB_SR_SC_SD_SE_EUlSR_E0_NS1_11comp_targetILNS1_3genE5ELNS1_11target_archE942ELNS1_3gpuE9ELNS1_3repE0EEENS1_38merge_mergepath_config_static_selectorELNS0_4arch9wavefront6targetE1EEEvSD_,comdat
.Lfunc_end311:
	.size	_ZN7rocprim17ROCPRIM_400000_NS6detail17trampoline_kernelINS0_14default_configENS1_38merge_sort_block_merge_config_selectorIiiEEZZNS1_27merge_sort_block_merge_implIS3_PiS7_jNS1_19radix_merge_compareILb0ELb0EiNS0_19identity_decomposerEEEEE10hipError_tT0_T1_T2_jT3_P12ihipStream_tbPNSt15iterator_traitsISC_E10value_typeEPNSI_ISD_E10value_typeEPSE_NS1_7vsmem_tEENKUlT_SC_SD_SE_E_clIS7_S7_S7_S7_EESB_SR_SC_SD_SE_EUlSR_E0_NS1_11comp_targetILNS1_3genE5ELNS1_11target_archE942ELNS1_3gpuE9ELNS1_3repE0EEENS1_38merge_mergepath_config_static_selectorELNS0_4arch9wavefront6targetE1EEEvSD_, .Lfunc_end311-_ZN7rocprim17ROCPRIM_400000_NS6detail17trampoline_kernelINS0_14default_configENS1_38merge_sort_block_merge_config_selectorIiiEEZZNS1_27merge_sort_block_merge_implIS3_PiS7_jNS1_19radix_merge_compareILb0ELb0EiNS0_19identity_decomposerEEEEE10hipError_tT0_T1_T2_jT3_P12ihipStream_tbPNSt15iterator_traitsISC_E10value_typeEPNSI_ISD_E10value_typeEPSE_NS1_7vsmem_tEENKUlT_SC_SD_SE_E_clIS7_S7_S7_S7_EESB_SR_SC_SD_SE_EUlSR_E0_NS1_11comp_targetILNS1_3genE5ELNS1_11target_archE942ELNS1_3gpuE9ELNS1_3repE0EEENS1_38merge_mergepath_config_static_selectorELNS0_4arch9wavefront6targetE1EEEvSD_
                                        ; -- End function
	.section	.AMDGPU.csdata,"",@progbits
; Kernel info:
; codeLenInByte = 0
; NumSgprs: 4
; NumVgprs: 0
; NumAgprs: 0
; TotalNumVgprs: 0
; ScratchSize: 0
; MemoryBound: 0
; FloatMode: 240
; IeeeMode: 1
; LDSByteSize: 0 bytes/workgroup (compile time only)
; SGPRBlocks: 0
; VGPRBlocks: 0
; NumSGPRsForWavesPerEU: 4
; NumVGPRsForWavesPerEU: 1
; AccumOffset: 4
; Occupancy: 8
; WaveLimiterHint : 0
; COMPUTE_PGM_RSRC2:SCRATCH_EN: 0
; COMPUTE_PGM_RSRC2:USER_SGPR: 6
; COMPUTE_PGM_RSRC2:TRAP_HANDLER: 0
; COMPUTE_PGM_RSRC2:TGID_X_EN: 1
; COMPUTE_PGM_RSRC2:TGID_Y_EN: 0
; COMPUTE_PGM_RSRC2:TGID_Z_EN: 0
; COMPUTE_PGM_RSRC2:TIDIG_COMP_CNT: 0
; COMPUTE_PGM_RSRC3_GFX90A:ACCUM_OFFSET: 0
; COMPUTE_PGM_RSRC3_GFX90A:TG_SPLIT: 0
	.section	.text._ZN7rocprim17ROCPRIM_400000_NS6detail17trampoline_kernelINS0_14default_configENS1_38merge_sort_block_merge_config_selectorIiiEEZZNS1_27merge_sort_block_merge_implIS3_PiS7_jNS1_19radix_merge_compareILb0ELb0EiNS0_19identity_decomposerEEEEE10hipError_tT0_T1_T2_jT3_P12ihipStream_tbPNSt15iterator_traitsISC_E10value_typeEPNSI_ISD_E10value_typeEPSE_NS1_7vsmem_tEENKUlT_SC_SD_SE_E_clIS7_S7_S7_S7_EESB_SR_SC_SD_SE_EUlSR_E0_NS1_11comp_targetILNS1_3genE4ELNS1_11target_archE910ELNS1_3gpuE8ELNS1_3repE0EEENS1_38merge_mergepath_config_static_selectorELNS0_4arch9wavefront6targetE1EEEvSD_,"axG",@progbits,_ZN7rocprim17ROCPRIM_400000_NS6detail17trampoline_kernelINS0_14default_configENS1_38merge_sort_block_merge_config_selectorIiiEEZZNS1_27merge_sort_block_merge_implIS3_PiS7_jNS1_19radix_merge_compareILb0ELb0EiNS0_19identity_decomposerEEEEE10hipError_tT0_T1_T2_jT3_P12ihipStream_tbPNSt15iterator_traitsISC_E10value_typeEPNSI_ISD_E10value_typeEPSE_NS1_7vsmem_tEENKUlT_SC_SD_SE_E_clIS7_S7_S7_S7_EESB_SR_SC_SD_SE_EUlSR_E0_NS1_11comp_targetILNS1_3genE4ELNS1_11target_archE910ELNS1_3gpuE8ELNS1_3repE0EEENS1_38merge_mergepath_config_static_selectorELNS0_4arch9wavefront6targetE1EEEvSD_,comdat
	.protected	_ZN7rocprim17ROCPRIM_400000_NS6detail17trampoline_kernelINS0_14default_configENS1_38merge_sort_block_merge_config_selectorIiiEEZZNS1_27merge_sort_block_merge_implIS3_PiS7_jNS1_19radix_merge_compareILb0ELb0EiNS0_19identity_decomposerEEEEE10hipError_tT0_T1_T2_jT3_P12ihipStream_tbPNSt15iterator_traitsISC_E10value_typeEPNSI_ISD_E10value_typeEPSE_NS1_7vsmem_tEENKUlT_SC_SD_SE_E_clIS7_S7_S7_S7_EESB_SR_SC_SD_SE_EUlSR_E0_NS1_11comp_targetILNS1_3genE4ELNS1_11target_archE910ELNS1_3gpuE8ELNS1_3repE0EEENS1_38merge_mergepath_config_static_selectorELNS0_4arch9wavefront6targetE1EEEvSD_ ; -- Begin function _ZN7rocprim17ROCPRIM_400000_NS6detail17trampoline_kernelINS0_14default_configENS1_38merge_sort_block_merge_config_selectorIiiEEZZNS1_27merge_sort_block_merge_implIS3_PiS7_jNS1_19radix_merge_compareILb0ELb0EiNS0_19identity_decomposerEEEEE10hipError_tT0_T1_T2_jT3_P12ihipStream_tbPNSt15iterator_traitsISC_E10value_typeEPNSI_ISD_E10value_typeEPSE_NS1_7vsmem_tEENKUlT_SC_SD_SE_E_clIS7_S7_S7_S7_EESB_SR_SC_SD_SE_EUlSR_E0_NS1_11comp_targetILNS1_3genE4ELNS1_11target_archE910ELNS1_3gpuE8ELNS1_3repE0EEENS1_38merge_mergepath_config_static_selectorELNS0_4arch9wavefront6targetE1EEEvSD_
	.globl	_ZN7rocprim17ROCPRIM_400000_NS6detail17trampoline_kernelINS0_14default_configENS1_38merge_sort_block_merge_config_selectorIiiEEZZNS1_27merge_sort_block_merge_implIS3_PiS7_jNS1_19radix_merge_compareILb0ELb0EiNS0_19identity_decomposerEEEEE10hipError_tT0_T1_T2_jT3_P12ihipStream_tbPNSt15iterator_traitsISC_E10value_typeEPNSI_ISD_E10value_typeEPSE_NS1_7vsmem_tEENKUlT_SC_SD_SE_E_clIS7_S7_S7_S7_EESB_SR_SC_SD_SE_EUlSR_E0_NS1_11comp_targetILNS1_3genE4ELNS1_11target_archE910ELNS1_3gpuE8ELNS1_3repE0EEENS1_38merge_mergepath_config_static_selectorELNS0_4arch9wavefront6targetE1EEEvSD_
	.p2align	8
	.type	_ZN7rocprim17ROCPRIM_400000_NS6detail17trampoline_kernelINS0_14default_configENS1_38merge_sort_block_merge_config_selectorIiiEEZZNS1_27merge_sort_block_merge_implIS3_PiS7_jNS1_19radix_merge_compareILb0ELb0EiNS0_19identity_decomposerEEEEE10hipError_tT0_T1_T2_jT3_P12ihipStream_tbPNSt15iterator_traitsISC_E10value_typeEPNSI_ISD_E10value_typeEPSE_NS1_7vsmem_tEENKUlT_SC_SD_SE_E_clIS7_S7_S7_S7_EESB_SR_SC_SD_SE_EUlSR_E0_NS1_11comp_targetILNS1_3genE4ELNS1_11target_archE910ELNS1_3gpuE8ELNS1_3repE0EEENS1_38merge_mergepath_config_static_selectorELNS0_4arch9wavefront6targetE1EEEvSD_,@function
_ZN7rocprim17ROCPRIM_400000_NS6detail17trampoline_kernelINS0_14default_configENS1_38merge_sort_block_merge_config_selectorIiiEEZZNS1_27merge_sort_block_merge_implIS3_PiS7_jNS1_19radix_merge_compareILb0ELb0EiNS0_19identity_decomposerEEEEE10hipError_tT0_T1_T2_jT3_P12ihipStream_tbPNSt15iterator_traitsISC_E10value_typeEPNSI_ISD_E10value_typeEPSE_NS1_7vsmem_tEENKUlT_SC_SD_SE_E_clIS7_S7_S7_S7_EESB_SR_SC_SD_SE_EUlSR_E0_NS1_11comp_targetILNS1_3genE4ELNS1_11target_archE910ELNS1_3gpuE8ELNS1_3repE0EEENS1_38merge_mergepath_config_static_selectorELNS0_4arch9wavefront6targetE1EEEvSD_: ; @_ZN7rocprim17ROCPRIM_400000_NS6detail17trampoline_kernelINS0_14default_configENS1_38merge_sort_block_merge_config_selectorIiiEEZZNS1_27merge_sort_block_merge_implIS3_PiS7_jNS1_19radix_merge_compareILb0ELb0EiNS0_19identity_decomposerEEEEE10hipError_tT0_T1_T2_jT3_P12ihipStream_tbPNSt15iterator_traitsISC_E10value_typeEPNSI_ISD_E10value_typeEPSE_NS1_7vsmem_tEENKUlT_SC_SD_SE_E_clIS7_S7_S7_S7_EESB_SR_SC_SD_SE_EUlSR_E0_NS1_11comp_targetILNS1_3genE4ELNS1_11target_archE910ELNS1_3gpuE8ELNS1_3repE0EEENS1_38merge_mergepath_config_static_selectorELNS0_4arch9wavefront6targetE1EEEvSD_
; %bb.0:
	s_load_dwordx2 s[24:25], s[4:5], 0x40
	s_load_dword s0, s[4:5], 0x30
	s_add_u32 s20, s4, 64
	s_addc_u32 s21, s5, 0
	s_waitcnt lgkmcnt(0)
	s_mul_i32 s1, s25, s8
	s_add_i32 s1, s1, s7
	s_mul_i32 s1, s1, s24
	s_add_i32 s22, s1, s6
	s_cmp_ge_u32 s22, s0
	s_cbranch_scc1 .LBB312_46
; %bb.1:
	s_load_dwordx8 s[8:15], s[4:5], 0x10
	s_load_dwordx2 s[28:29], s[4:5], 0x8
	s_load_dwordx2 s[0:1], s[4:5], 0x38
	s_mov_b32 s23, 0
	v_mov_b32_e32 v5, 0
	s_waitcnt lgkmcnt(0)
	s_lshr_b32 s30, s14, 10
	s_cmp_lg_u32 s22, s30
	s_cselect_b64 s[18:19], -1, 0
	s_lshl_b64 s[2:3], s[22:23], 2
	s_add_u32 s0, s0, s2
	s_addc_u32 s1, s1, s3
	s_load_dwordx2 s[2:3], s[0:1], 0x0
	s_lshr_b32 s0, s15, 9
	s_and_b32 s0, s0, 0x7ffffe
	s_sub_i32 s1, 0, s0
	s_and_b32 s0, s22, s1
	s_lshl_b32 s4, s0, 10
	s_lshl_b32 s16, s22, 10
	;; [unrolled: 1-line block ×3, first 2 shown]
	s_sub_i32 s5, s16, s4
	s_add_i32 s7, s0, s15
	s_add_i32 s5, s7, s5
	s_waitcnt lgkmcnt(0)
	s_sub_i32 s0, s5, s2
	s_sub_i32 s5, s5, s3
	;; [unrolled: 1-line block ×3, first 2 shown]
	s_min_u32 s0, s14, s0
	s_addk_i32 s5, 0x400
	s_or_b32 s1, s22, s1
	s_min_u32 s7, s14, s4
	s_add_i32 s4, s4, s15
	s_cmp_eq_u32 s1, -1
	s_cselect_b32 s3, s7, s3
	s_cselect_b32 s1, s4, s5
	s_sub_i32 s15, s3, s2
	s_mov_b32 s3, s23
	s_min_u32 s17, s1, s14
	s_lshl_b64 s[2:3], s[2:3], 2
	s_add_u32 s26, s28, s2
	s_mov_b32 s1, s23
	s_addc_u32 s27, s29, s3
	s_lshl_b64 s[4:5], s[0:1], 2
	s_add_u32 s23, s28, s4
	s_addc_u32 s25, s29, s5
	s_cmp_lt_u32 s6, s24
	s_cselect_b32 s1, 12, 18
	global_load_dword v1, v5, s[20:21] offset:14
	s_add_u32 s6, s20, s1
	s_addc_u32 s7, s21, 0
	global_load_ushort v2, v5, s[6:7]
	s_cmp_eq_u32 s22, s30
	v_lshlrev_b32_e32 v14, 2, v0
	s_waitcnt vmcnt(1)
	v_lshrrev_b32_e32 v3, 16, v1
	v_and_b32_e32 v1, 0xffff, v1
	v_mul_lo_u32 v1, v1, v3
	s_waitcnt vmcnt(0)
	v_mul_lo_u32 v1, v1, v2
	v_add_u32_e32 v12, v1, v0
	v_add_u32_e32 v10, v12, v1
	s_cbranch_scc1 .LBB312_3
; %bb.2:
	v_mov_b32_e32 v2, s27
	v_add_co_u32_e32 v6, vcc, s26, v14
	v_subrev_u32_e32 v4, s15, v0
	v_addc_co_u32_e32 v7, vcc, 0, v2, vcc
	v_lshlrev_b64 v[2:3], 2, v[4:5]
	v_mov_b32_e32 v4, s25
	v_add_co_u32_e32 v2, vcc, s23, v2
	v_addc_co_u32_e32 v3, vcc, v4, v3, vcc
	v_cmp_gt_u32_e32 vcc, s15, v0
	v_mov_b32_e32 v13, v5
	v_cndmask_b32_e32 v3, v3, v7, vcc
	v_cndmask_b32_e32 v2, v2, v6, vcc
	v_lshlrev_b64 v[6:7], 2, v[12:13]
	global_load_dword v2, v[2:3], off
	v_mov_b32_e32 v3, s27
	v_add_co_u32_e32 v8, vcc, s26, v6
	v_subrev_u32_e32 v4, s15, v12
	v_addc_co_u32_e32 v3, vcc, v3, v7, vcc
	v_lshlrev_b64 v[6:7], 2, v[4:5]
	v_mov_b32_e32 v4, s25
	v_add_co_u32_e32 v6, vcc, s23, v6
	v_addc_co_u32_e32 v4, vcc, v4, v7, vcc
	v_cmp_gt_u32_e32 vcc, s15, v12
	v_cndmask_b32_e32 v7, v4, v3, vcc
	v_cndmask_b32_e32 v6, v6, v8, vcc
	v_mov_b32_e32 v11, v5
	global_load_dword v3, v[6:7], off
	v_lshlrev_b64 v[6:7], 2, v[10:11]
	v_mov_b32_e32 v4, s27
	v_add_co_u32_e32 v6, vcc, s26, v6
	v_addc_co_u32_e32 v7, vcc, v4, v7, vcc
	v_subrev_u32_e32 v4, s15, v10
	v_lshlrev_b64 v[4:5], 2, v[4:5]
	v_mov_b32_e32 v8, s25
	v_add_co_u32_e32 v4, vcc, s23, v4
	v_addc_co_u32_e32 v5, vcc, v8, v5, vcc
	v_cmp_gt_u32_e32 vcc, s15, v10
	v_cndmask_b32_e32 v5, v5, v7, vcc
	v_cndmask_b32_e32 v4, v4, v6, vcc
	global_load_dword v4, v[4:5], off
	v_add_u32_e32 v6, v10, v1
	s_mov_b64 s[6:7], -1
	s_sub_i32 s17, s17, s0
	s_cbranch_execz .LBB312_4
	s_branch .LBB312_9
.LBB312_3:
	s_mov_b64 s[6:7], 0
                                        ; implicit-def: $vgpr2_vgpr3_vgpr4_vgpr5
                                        ; implicit-def: $vgpr6
	s_sub_i32 s17, s17, s0
.LBB312_4:
	s_add_i32 s6, s17, s15
	v_cmp_gt_u32_e32 vcc, s6, v0
                                        ; implicit-def: $vgpr2_vgpr3_vgpr4_vgpr5
	s_and_saveexec_b64 s[0:1], vcc
	s_cbranch_execnz .LBB312_47
; %bb.5:
	s_or_b64 exec, exec, s[0:1]
	v_cmp_gt_u32_e32 vcc, s6, v12
	s_and_saveexec_b64 s[0:1], vcc
	s_cbranch_execnz .LBB312_48
.LBB312_6:
	s_or_b64 exec, exec, s[0:1]
	v_cmp_gt_u32_e32 vcc, s6, v10
	s_and_saveexec_b64 s[0:1], vcc
	s_cbranch_execz .LBB312_8
.LBB312_7:
	v_mov_b32_e32 v11, 0
	v_lshlrev_b64 v[6:7], 2, v[10:11]
	s_waitcnt vmcnt(0)
	v_mov_b32_e32 v4, s27
	v_add_co_u32_e32 v8, vcc, s26, v6
	v_addc_co_u32_e32 v4, vcc, v4, v7, vcc
	v_subrev_u32_e32 v6, s15, v10
	v_mov_b32_e32 v7, v11
	v_lshlrev_b64 v[6:7], 2, v[6:7]
	v_mov_b32_e32 v9, s25
	v_add_co_u32_e32 v6, vcc, s23, v6
	v_addc_co_u32_e32 v7, vcc, v9, v7, vcc
	v_cmp_gt_u32_e32 vcc, s15, v10
	v_cndmask_b32_e32 v7, v7, v4, vcc
	v_cndmask_b32_e32 v6, v6, v8, vcc
	global_load_dword v4, v[6:7], off
.LBB312_8:
	s_or_b64 exec, exec, s[0:1]
	v_add_u32_e32 v6, v10, v1
	v_cmp_gt_u32_e64 s[6:7], s6, v6
.LBB312_9:
	s_and_saveexec_b64 s[20:21], s[6:7]
	s_cbranch_execz .LBB312_11
; %bb.10:
	v_mov_b32_e32 v7, 0
	v_lshlrev_b64 v[8:9], 2, v[6:7]
	v_mov_b32_e32 v5, s27
	v_add_co_u32_e32 v8, vcc, s26, v8
	v_addc_co_u32_e32 v5, vcc, v5, v9, vcc
	v_cmp_gt_u32_e32 vcc, s15, v6
	v_subrev_u32_e32 v6, s15, v6
	v_lshlrev_b64 v[6:7], 2, v[6:7]
	v_mov_b32_e32 v9, s25
	v_add_co_u32_e64 v6, s[0:1], s23, v6
	v_addc_co_u32_e64 v7, s[0:1], v9, v7, s[0:1]
	v_cndmask_b32_e32 v7, v7, v5, vcc
	v_cndmask_b32_e32 v6, v6, v8, vcc
	global_load_dword v5, v[6:7], off
.LBB312_11:
	s_or_b64 exec, exec, s[20:21]
	s_add_u32 s6, s10, s2
	s_addc_u32 s7, s11, s3
	s_add_u32 s4, s10, s4
	s_addc_u32 s5, s11, s5
	s_andn2_b64 vcc, exec, s[18:19]
	s_waitcnt vmcnt(0)
	ds_write2st64_b32 v14, v2, v3 offset1:4
	ds_write2st64_b32 v14, v4, v5 offset0:8 offset1:12
	s_cbranch_vccnz .LBB312_13
; %bb.12:
	v_mov_b32_e32 v17, 0
	v_mov_b32_e32 v6, s7
	v_add_co_u32_e32 v8, vcc, s6, v14
	v_subrev_u32_e32 v16, s15, v0
	v_addc_co_u32_e32 v9, vcc, 0, v6, vcc
	v_lshlrev_b64 v[6:7], 2, v[16:17]
	v_mov_b32_e32 v11, s5
	v_add_co_u32_e32 v6, vcc, s4, v6
	v_addc_co_u32_e32 v7, vcc, v11, v7, vcc
	v_cmp_gt_u32_e32 vcc, s15, v0
	v_mov_b32_e32 v13, v17
	v_cndmask_b32_e32 v7, v7, v9, vcc
	v_cndmask_b32_e32 v6, v6, v8, vcc
	v_lshlrev_b64 v[8:9], 2, v[12:13]
	global_load_dword v6, v[6:7], off
	v_mov_b32_e32 v7, s7
	v_add_co_u32_e32 v11, vcc, s6, v8
	v_subrev_u32_e32 v16, s15, v12
	v_addc_co_u32_e32 v7, vcc, v7, v9, vcc
	v_lshlrev_b64 v[8:9], 2, v[16:17]
	v_mov_b32_e32 v13, s5
	v_add_co_u32_e32 v8, vcc, s4, v8
	v_addc_co_u32_e32 v9, vcc, v13, v9, vcc
	v_cmp_gt_u32_e32 vcc, s15, v12
	v_cndmask_b32_e32 v9, v9, v7, vcc
	v_cndmask_b32_e32 v8, v8, v11, vcc
	v_mov_b32_e32 v11, v17
	global_load_dword v7, v[8:9], off
	v_lshlrev_b64 v[8:9], 2, v[10:11]
	v_mov_b32_e32 v11, s7
	v_add_co_u32_e32 v13, vcc, s6, v8
	v_subrev_u32_e32 v16, s15, v10
	v_addc_co_u32_e32 v11, vcc, v11, v9, vcc
	v_lshlrev_b64 v[8:9], 2, v[16:17]
	v_mov_b32_e32 v15, s5
	v_add_co_u32_e32 v8, vcc, s4, v8
	v_addc_co_u32_e32 v9, vcc, v15, v9, vcc
	v_cmp_gt_u32_e32 vcc, s15, v10
	v_add_u32_e32 v16, v10, v1
	v_cndmask_b32_e32 v9, v9, v11, vcc
	v_cndmask_b32_e32 v8, v8, v13, vcc
	v_lshlrev_b64 v[18:19], 2, v[16:17]
	global_load_dword v8, v[8:9], off
	v_mov_b32_e32 v9, s7
	v_add_co_u32_e32 v11, vcc, s6, v18
	v_addc_co_u32_e32 v9, vcc, v9, v19, vcc
	v_cmp_gt_u32_e32 vcc, s15, v16
	v_subrev_u32_e32 v16, s15, v16
	v_lshlrev_b64 v[16:17], 2, v[16:17]
	v_mov_b32_e32 v13, s5
	v_add_co_u32_e64 v15, s[0:1], s4, v16
	v_addc_co_u32_e64 v13, s[0:1], v13, v17, s[0:1]
	v_cndmask_b32_e32 v17, v13, v9, vcc
	v_cndmask_b32_e32 v16, v15, v11, vcc
	global_load_dword v9, v[16:17], off
	s_add_i32 s20, s17, s15
	s_cbranch_execz .LBB312_14
	s_branch .LBB312_21
.LBB312_13:
                                        ; implicit-def: $vgpr6_vgpr7_vgpr8_vgpr9
                                        ; implicit-def: $sgpr20
.LBB312_14:
	s_add_i32 s20, s17, s15
	v_cmp_gt_u32_e32 vcc, s20, v0
                                        ; implicit-def: $vgpr6_vgpr7_vgpr8_vgpr9
	s_and_saveexec_b64 s[0:1], vcc
	s_cbranch_execnz .LBB312_49
; %bb.15:
	s_or_b64 exec, exec, s[0:1]
	v_cmp_gt_u32_e32 vcc, s20, v12
	s_and_saveexec_b64 s[2:3], vcc
	s_cbranch_execnz .LBB312_50
.LBB312_16:
	s_or_b64 exec, exec, s[2:3]
	v_cmp_gt_u32_e32 vcc, s20, v10
	s_and_saveexec_b64 s[0:1], vcc
	s_cbranch_execz .LBB312_18
.LBB312_17:
	v_mov_b32_e32 v11, 0
	v_lshlrev_b64 v[12:13], 2, v[10:11]
	s_waitcnt vmcnt(1)
	v_mov_b32_e32 v8, s7
	v_add_co_u32_e32 v15, vcc, s6, v12
	v_addc_co_u32_e32 v8, vcc, v8, v13, vcc
	v_subrev_u32_e32 v12, s15, v10
	v_mov_b32_e32 v13, v11
	v_lshlrev_b64 v[12:13], 2, v[12:13]
	v_mov_b32_e32 v11, s5
	v_add_co_u32_e32 v12, vcc, s4, v12
	v_addc_co_u32_e32 v11, vcc, v11, v13, vcc
	v_cmp_gt_u32_e32 vcc, s15, v10
	v_cndmask_b32_e32 v13, v11, v8, vcc
	v_cndmask_b32_e32 v12, v12, v15, vcc
	global_load_dword v8, v[12:13], off
.LBB312_18:
	s_or_b64 exec, exec, s[0:1]
	v_add_u32_e32 v10, v10, v1
	v_cmp_gt_u32_e32 vcc, s20, v10
	s_and_saveexec_b64 s[2:3], vcc
	s_cbranch_execz .LBB312_20
; %bb.19:
	v_mov_b32_e32 v11, 0
	v_lshlrev_b64 v[12:13], 2, v[10:11]
	v_mov_b32_e32 v1, s7
	s_waitcnt vmcnt(0)
	v_add_co_u32_e32 v9, vcc, s6, v12
	v_addc_co_u32_e32 v1, vcc, v1, v13, vcc
	v_cmp_gt_u32_e32 vcc, s15, v10
	v_subrev_u32_e32 v10, s15, v10
	v_lshlrev_b64 v[10:11], 2, v[10:11]
	v_mov_b32_e32 v12, s5
	v_add_co_u32_e64 v10, s[0:1], s4, v10
	v_addc_co_u32_e64 v11, s[0:1], v12, v11, s[0:1]
	v_cndmask_b32_e32 v11, v11, v1, vcc
	v_cndmask_b32_e32 v10, v10, v9, vcc
	global_load_dword v9, v[10:11], off
.LBB312_20:
	s_or_b64 exec, exec, s[2:3]
.LBB312_21:
	v_min_u32_e32 v10, s20, v14
	v_sub_u32_e64 v1, v10, s17 clamp
	v_min_u32_e32 v11, s15, v10
	v_cmp_lt_u32_e32 vcc, v1, v11
	s_waitcnt lgkmcnt(0)
	s_barrier
	s_and_saveexec_b64 s[0:1], vcc
	s_cbranch_execz .LBB312_25
; %bb.22:
	v_lshlrev_b32_e32 v12, 2, v10
	v_lshl_add_u32 v12, s15, 2, v12
	s_mov_b64 s[2:3], 0
.LBB312_23:                             ; =>This Inner Loop Header: Depth=1
	v_add_u32_e32 v13, v11, v1
	v_lshrrev_b32_e32 v13, 1, v13
	v_not_b32_e32 v15, v13
	v_lshlrev_b32_e32 v16, 2, v13
	v_lshl_add_u32 v15, v15, 2, v12
	ds_read_b32 v16, v16
	ds_read_b32 v15, v15
	v_add_u32_e32 v17, 1, v13
	s_waitcnt lgkmcnt(0)
	v_cmp_gt_i32_e32 vcc, v16, v15
	v_cndmask_b32_e32 v11, v11, v13, vcc
	v_cndmask_b32_e32 v1, v17, v1, vcc
	v_cmp_ge_u32_e32 vcc, v1, v11
	s_or_b64 s[2:3], vcc, s[2:3]
	s_andn2_b64 exec, exec, s[2:3]
	s_cbranch_execnz .LBB312_23
; %bb.24:
	s_or_b64 exec, exec, s[2:3]
.LBB312_25:
	s_or_b64 exec, exec, s[0:1]
	v_sub_u32_e32 v10, v10, v1
	v_add_u32_e32 v13, s15, v10
	v_cmp_ge_u32_e32 vcc, s15, v1
	v_cmp_ge_u32_e64 s[0:1], s20, v13
	s_or_b64 s[0:1], vcc, s[0:1]
                                        ; implicit-def: $vgpr15
                                        ; implicit-def: $vgpr12
                                        ; implicit-def: $vgpr11
                                        ; implicit-def: $vgpr10
	s_and_saveexec_b64 s[10:11], s[0:1]
	s_cbranch_execz .LBB312_31
; %bb.26:
	v_cmp_gt_u32_e32 vcc, s15, v1
                                        ; implicit-def: $vgpr2
	s_and_saveexec_b64 s[0:1], vcc
	s_cbranch_execz .LBB312_28
; %bb.27:
	v_lshlrev_b32_e32 v2, 2, v1
	ds_read_b32 v2, v2
.LBB312_28:
	s_or_b64 exec, exec, s[0:1]
	v_cmp_le_u32_e64 s[0:1], s20, v13
	v_cmp_gt_u32_e64 s[2:3], s20, v13
                                        ; implicit-def: $vgpr3
	s_and_saveexec_b64 s[4:5], s[2:3]
	s_cbranch_execz .LBB312_30
; %bb.29:
	v_lshlrev_b32_e32 v3, 2, v13
	ds_read_b32 v3, v3
.LBB312_30:
	s_or_b64 exec, exec, s[4:5]
	s_waitcnt lgkmcnt(0)
	v_cmp_le_i32_e64 s[2:3], v2, v3
	s_and_b64 s[2:3], vcc, s[2:3]
	s_or_b64 vcc, s[0:1], s[2:3]
	v_mov_b32_e32 v4, s20
	v_mov_b32_e32 v5, s15
	v_cndmask_b32_e32 v10, v13, v1, vcc
	v_cndmask_b32_e32 v11, v4, v5, vcc
	v_add_u32_e32 v12, 1, v10
	v_add_u32_e32 v11, -1, v11
	v_min_u32_e32 v11, v12, v11
	v_lshlrev_b32_e32 v11, 2, v11
	ds_read_b32 v11, v11
	v_cndmask_b32_e32 v1, v1, v12, vcc
	v_cndmask_b32_e32 v13, v12, v13, vcc
	v_cmp_gt_u32_e64 s[2:3], s15, v1
	v_cmp_le_u32_e64 s[0:1], s20, v13
	s_waitcnt lgkmcnt(0)
	v_cndmask_b32_e32 v15, v11, v3, vcc
	v_cndmask_b32_e32 v16, v2, v11, vcc
	v_cmp_le_i32_e64 s[4:5], v16, v15
	s_and_b64 s[2:3], s[2:3], s[4:5]
	s_or_b64 s[0:1], s[0:1], s[2:3]
	v_cndmask_b32_e64 v11, v13, v1, s[0:1]
	v_cndmask_b32_e64 v12, v4, v5, s[0:1]
	v_add_u32_e32 v17, 1, v11
	v_add_u32_e32 v12, -1, v12
	v_min_u32_e32 v12, v17, v12
	v_lshlrev_b32_e32 v12, 2, v12
	ds_read_b32 v12, v12
	v_cndmask_b32_e64 v1, v1, v17, s[0:1]
	v_cndmask_b32_e64 v13, v17, v13, s[0:1]
	v_cmp_gt_u32_e64 s[4:5], s15, v1
	v_cmp_le_u32_e64 s[2:3], s20, v13
	s_waitcnt lgkmcnt(0)
	v_cndmask_b32_e64 v18, v12, v15, s[0:1]
	v_cndmask_b32_e64 v19, v16, v12, s[0:1]
	v_cmp_le_i32_e64 s[6:7], v19, v18
	s_and_b64 s[4:5], s[4:5], s[6:7]
	s_or_b64 s[2:3], s[2:3], s[4:5]
	v_cndmask_b32_e64 v12, v13, v1, s[2:3]
	v_cndmask_b32_e64 v4, v4, v5, s[2:3]
	v_add_u32_e32 v5, 1, v12
	v_add_u32_e32 v4, -1, v4
	v_min_u32_e32 v4, v5, v4
	v_lshlrev_b32_e32 v4, 2, v4
	ds_read_b32 v17, v4
	v_cndmask_b32_e32 v2, v3, v2, vcc
	v_cndmask_b32_e64 v3, v15, v16, s[0:1]
	v_cndmask_b32_e64 v1, v1, v5, s[2:3]
	v_cndmask_b32_e64 v4, v18, v19, s[2:3]
	s_waitcnt lgkmcnt(0)
	v_cndmask_b32_e64 v16, v17, v18, s[2:3]
	v_cndmask_b32_e64 v17, v19, v17, s[2:3]
	;; [unrolled: 1-line block ×3, first 2 shown]
	v_cmp_gt_u32_e64 s[0:1], s15, v1
	v_cmp_le_i32_e64 s[2:3], v17, v16
	v_cmp_le_u32_e32 vcc, s20, v13
	s_and_b64 s[0:1], s[0:1], s[2:3]
	s_or_b64 vcc, vcc, s[0:1]
	v_cndmask_b32_e32 v15, v13, v1, vcc
	v_cndmask_b32_e32 v5, v16, v17, vcc
.LBB312_31:
	s_or_b64 exec, exec, s[10:11]
	s_barrier
	s_waitcnt vmcnt(0)
	ds_write2st64_b32 v14, v6, v7 offset1:4
	ds_write2st64_b32 v14, v8, v9 offset0:8 offset1:12
	v_lshlrev_b32_e32 v1, 2, v10
	v_lshrrev_b32_e32 v10, 3, v0
	v_lshlrev_b32_e32 v9, 2, v14
	v_lshlrev_b32_e32 v6, 2, v11
	;; [unrolled: 1-line block ×4, first 2 shown]
	v_lshl_add_u32 v9, v10, 2, v9
	s_waitcnt lgkmcnt(0)
	s_barrier
	ds_read_b32 v1, v1
	ds_read_b32 v6, v6
	;; [unrolled: 1-line block ×4, first 2 shown]
	s_waitcnt lgkmcnt(0)
	s_barrier
	s_barrier
	ds_write2_b32 v9, v2, v3 offset1:1
	ds_write2_b32 v9, v4, v5 offset0:2 offset1:3
	v_and_b32_e32 v2, 28, v10
	v_or_b32_e32 v15, 0x100, v0
	v_add_u32_e32 v4, v14, v2
	v_lshrrev_b32_e32 v2, 3, v15
	v_and_b32_e32 v2, 60, v2
	v_or_b32_e32 v13, 0x200, v0
	s_mov_b32 s17, 0
	v_add_u32_e32 v5, v14, v2
	v_lshrrev_b32_e32 v2, 3, v13
	s_lshl_b64 s[6:7], s[16:17], 2
	v_and_b32_e32 v2, 0x5c, v2
	v_or_b32_e32 v12, 0x300, v0
	s_add_u32 s0, s8, s6
	v_add_u32_e32 v10, v14, v2
	v_lshrrev_b32_e32 v2, 3, v12
	s_addc_u32 s1, s9, s7
	v_and_b32_e32 v2, 0x7c, v2
	v_add_u32_e32 v11, v14, v2
	v_mov_b32_e32 v3, s1
	v_add_co_u32_e32 v2, vcc, s0, v14
	v_addc_co_u32_e32 v3, vcc, 0, v3, vcc
	s_and_b64 vcc, exec, s[18:19]
	s_waitcnt lgkmcnt(0)
	s_cbranch_vccz .LBB312_33
; %bb.32:
	s_barrier
	ds_read_b32 v16, v4
	ds_read_b32 v17, v5 offset:1024
	ds_read_b32 v18, v10 offset:2048
	;; [unrolled: 1-line block ×3, first 2 shown]
	s_add_u32 s0, s12, s6
	s_addc_u32 s1, s13, s7
	s_waitcnt lgkmcnt(3)
	global_store_dword v[2:3], v16, off
	s_waitcnt lgkmcnt(2)
	global_store_dword v[2:3], v17, off offset:1024
	s_waitcnt lgkmcnt(1)
	global_store_dword v[2:3], v18, off offset:2048
	s_waitcnt lgkmcnt(0)
	global_store_dword v[2:3], v19, off offset:3072
	s_barrier
	ds_write2_b32 v9, v1, v6 offset1:1
	ds_write2_b32 v9, v7, v8 offset0:2 offset1:3
	s_waitcnt lgkmcnt(0)
	s_barrier
	ds_read_b32 v17, v4
	ds_read_b32 v18, v5 offset:1024
	ds_read_b32 v19, v10 offset:2048
	;; [unrolled: 1-line block ×3, first 2 shown]
	s_waitcnt lgkmcnt(3)
	global_store_dword v14, v17, s[0:1]
	s_waitcnt lgkmcnt(2)
	global_store_dword v14, v18, s[0:1] offset:1024
	s_waitcnt lgkmcnt(1)
	global_store_dword v14, v19, s[0:1] offset:2048
	s_mov_b64 s[8:9], -1
	s_cbranch_execz .LBB312_34
	s_branch .LBB312_44
.LBB312_33:
	s_mov_b64 s[8:9], 0
                                        ; implicit-def: $vgpr16
.LBB312_34:
	s_barrier
	s_waitcnt lgkmcnt(0)
	ds_read_b32 v18, v5 offset:1024
	ds_read_b32 v17, v10 offset:2048
	;; [unrolled: 1-line block ×3, first 2 shown]
	s_sub_i32 s8, s14, s16
	v_cmp_gt_u32_e32 vcc, s8, v0
	s_and_saveexec_b64 s[0:1], vcc
	s_cbranch_execnz .LBB312_51
; %bb.35:
	s_or_b64 exec, exec, s[0:1]
	v_cmp_gt_u32_e64 s[0:1], s8, v15
	s_and_saveexec_b64 s[2:3], s[0:1]
	s_cbranch_execnz .LBB312_52
.LBB312_36:
	s_or_b64 exec, exec, s[2:3]
	v_cmp_gt_u32_e64 s[2:3], s8, v13
	s_and_saveexec_b64 s[4:5], s[2:3]
	s_cbranch_execnz .LBB312_53
.LBB312_37:
	s_or_b64 exec, exec, s[4:5]
	v_cmp_gt_u32_e64 s[8:9], s8, v12
	s_and_saveexec_b64 s[4:5], s[8:9]
	s_cbranch_execz .LBB312_39
.LBB312_38:
	s_waitcnt lgkmcnt(0)
	global_store_dword v[2:3], v16, off offset:3072
.LBB312_39:
	s_or_b64 exec, exec, s[4:5]
	s_waitcnt lgkmcnt(0)
	s_barrier
	ds_write2_b32 v9, v1, v6 offset1:1
	ds_write2_b32 v9, v7, v8 offset0:2 offset1:3
	s_waitcnt lgkmcnt(0)
	s_barrier
	ds_read_b32 v3, v5 offset:1024
	ds_read_b32 v2, v10 offset:2048
	;; [unrolled: 1-line block ×3, first 2 shown]
	s_add_u32 s4, s12, s6
	s_addc_u32 s5, s13, s7
	v_mov_b32_e32 v1, s5
	v_add_co_u32_e64 v0, s[4:5], s4, v14
	v_addc_co_u32_e64 v1, s[4:5], 0, v1, s[4:5]
	s_and_saveexec_b64 s[4:5], vcc
	s_cbranch_execnz .LBB312_54
; %bb.40:
	s_or_b64 exec, exec, s[4:5]
	s_and_saveexec_b64 s[4:5], s[0:1]
	s_cbranch_execnz .LBB312_55
.LBB312_41:
	s_or_b64 exec, exec, s[4:5]
	s_and_saveexec_b64 s[0:1], s[2:3]
	s_cbranch_execz .LBB312_43
.LBB312_42:
	s_waitcnt lgkmcnt(1)
	global_store_dword v[0:1], v2, off offset:2048
.LBB312_43:
	s_or_b64 exec, exec, s[0:1]
.LBB312_44:
	s_and_saveexec_b64 s[0:1], s[8:9]
	s_cbranch_execz .LBB312_46
; %bb.45:
	s_add_u32 s0, s12, s6
	s_addc_u32 s1, s13, s7
	s_waitcnt lgkmcnt(0)
	global_store_dword v14, v16, s[0:1] offset:3072
.LBB312_46:
	s_endpgm
.LBB312_47:
	s_waitcnt vmcnt(2)
	v_mov_b32_e32 v2, s27
	s_waitcnt vmcnt(0)
	v_add_co_u32_e32 v4, vcc, s26, v14
	v_mov_b32_e32 v3, 0
	v_addc_co_u32_e32 v5, vcc, 0, v2, vcc
	v_subrev_u32_e32 v2, s15, v0
	v_lshlrev_b64 v[2:3], 2, v[2:3]
	v_mov_b32_e32 v6, s25
	v_add_co_u32_e32 v2, vcc, s23, v2
	v_addc_co_u32_e32 v3, vcc, v6, v3, vcc
	v_cmp_gt_u32_e32 vcc, s15, v0
	v_cndmask_b32_e32 v3, v3, v5, vcc
	v_cndmask_b32_e32 v2, v2, v4, vcc
	global_load_dword v2, v[2:3], off
	s_or_b64 exec, exec, s[0:1]
	v_cmp_gt_u32_e32 vcc, s6, v12
	s_and_saveexec_b64 s[0:1], vcc
	s_cbranch_execz .LBB312_6
.LBB312_48:
	v_mov_b32_e32 v13, 0
	v_lshlrev_b64 v[6:7], 2, v[12:13]
	s_waitcnt vmcnt(1)
	v_mov_b32_e32 v3, s27
	v_add_co_u32_e32 v8, vcc, s26, v6
	v_addc_co_u32_e32 v3, vcc, v3, v7, vcc
	v_subrev_u32_e32 v6, s15, v12
	v_mov_b32_e32 v7, v13
	v_lshlrev_b64 v[6:7], 2, v[6:7]
	v_mov_b32_e32 v9, s25
	v_add_co_u32_e32 v6, vcc, s23, v6
	v_addc_co_u32_e32 v7, vcc, v9, v7, vcc
	v_cmp_gt_u32_e32 vcc, s15, v12
	v_cndmask_b32_e32 v7, v7, v3, vcc
	v_cndmask_b32_e32 v6, v6, v8, vcc
	global_load_dword v3, v[6:7], off
	s_or_b64 exec, exec, s[0:1]
	v_cmp_gt_u32_e32 vcc, s6, v10
	s_and_saveexec_b64 s[0:1], vcc
	s_cbranch_execnz .LBB312_7
	s_branch .LBB312_8
.LBB312_49:
	s_waitcnt vmcnt(3)
	v_mov_b32_e32 v6, s7
	s_waitcnt vmcnt(1)
	v_add_co_u32_e32 v8, vcc, s6, v14
	v_mov_b32_e32 v7, 0
	s_waitcnt vmcnt(0)
	v_addc_co_u32_e32 v9, vcc, 0, v6, vcc
	v_subrev_u32_e32 v6, s15, v0
	v_lshlrev_b64 v[6:7], 2, v[6:7]
	v_mov_b32_e32 v11, s5
	v_add_co_u32_e32 v6, vcc, s4, v6
	v_addc_co_u32_e32 v7, vcc, v11, v7, vcc
	v_cmp_gt_u32_e32 vcc, s15, v0
	v_cndmask_b32_e32 v7, v7, v9, vcc
	v_cndmask_b32_e32 v6, v6, v8, vcc
	global_load_dword v6, v[6:7], off
	s_or_b64 exec, exec, s[0:1]
	v_cmp_gt_u32_e32 vcc, s20, v12
	s_and_saveexec_b64 s[2:3], vcc
	s_cbranch_execz .LBB312_16
.LBB312_50:
	v_mov_b32_e32 v13, 0
	v_lshlrev_b64 v[16:17], 2, v[12:13]
	s_waitcnt vmcnt(2)
	v_mov_b32_e32 v7, s7
	v_add_co_u32_e32 v11, vcc, s6, v16
	v_addc_co_u32_e32 v7, vcc, v7, v17, vcc
	v_cmp_gt_u32_e32 vcc, s15, v12
	v_subrev_u32_e32 v12, s15, v12
	v_lshlrev_b64 v[12:13], 2, v[12:13]
	v_mov_b32_e32 v15, s5
	v_add_co_u32_e64 v12, s[0:1], s4, v12
	v_addc_co_u32_e64 v13, s[0:1], v15, v13, s[0:1]
	v_cndmask_b32_e32 v13, v13, v7, vcc
	v_cndmask_b32_e32 v12, v12, v11, vcc
	global_load_dword v7, v[12:13], off
	s_or_b64 exec, exec, s[2:3]
	v_cmp_gt_u32_e32 vcc, s20, v10
	s_and_saveexec_b64 s[0:1], vcc
	s_cbranch_execnz .LBB312_17
	s_branch .LBB312_18
.LBB312_51:
	ds_read_b32 v0, v4
	s_waitcnt lgkmcnt(0)
	global_store_dword v[2:3], v0, off
	s_or_b64 exec, exec, s[0:1]
	v_cmp_gt_u32_e64 s[0:1], s8, v15
	s_and_saveexec_b64 s[2:3], s[0:1]
	s_cbranch_execz .LBB312_36
.LBB312_52:
	s_waitcnt lgkmcnt(2)
	global_store_dword v[2:3], v18, off offset:1024
	s_or_b64 exec, exec, s[2:3]
	v_cmp_gt_u32_e64 s[2:3], s8, v13
	s_and_saveexec_b64 s[4:5], s[2:3]
	s_cbranch_execz .LBB312_37
.LBB312_53:
	s_waitcnt lgkmcnt(1)
	global_store_dword v[2:3], v17, off offset:2048
	s_or_b64 exec, exec, s[4:5]
	v_cmp_gt_u32_e64 s[8:9], s8, v12
	s_and_saveexec_b64 s[4:5], s[8:9]
	s_cbranch_execnz .LBB312_38
	s_branch .LBB312_39
.LBB312_54:
	ds_read_b32 v4, v4
	s_waitcnt lgkmcnt(0)
	global_store_dword v[0:1], v4, off
	s_or_b64 exec, exec, s[4:5]
	s_and_saveexec_b64 s[4:5], s[0:1]
	s_cbranch_execz .LBB312_41
.LBB312_55:
	s_waitcnt lgkmcnt(2)
	global_store_dword v[0:1], v3, off offset:1024
	s_or_b64 exec, exec, s[4:5]
	s_and_saveexec_b64 s[0:1], s[2:3]
	s_cbranch_execnz .LBB312_42
	s_branch .LBB312_43
	.section	.rodata,"a",@progbits
	.p2align	6, 0x0
	.amdhsa_kernel _ZN7rocprim17ROCPRIM_400000_NS6detail17trampoline_kernelINS0_14default_configENS1_38merge_sort_block_merge_config_selectorIiiEEZZNS1_27merge_sort_block_merge_implIS3_PiS7_jNS1_19radix_merge_compareILb0ELb0EiNS0_19identity_decomposerEEEEE10hipError_tT0_T1_T2_jT3_P12ihipStream_tbPNSt15iterator_traitsISC_E10value_typeEPNSI_ISD_E10value_typeEPSE_NS1_7vsmem_tEENKUlT_SC_SD_SE_E_clIS7_S7_S7_S7_EESB_SR_SC_SD_SE_EUlSR_E0_NS1_11comp_targetILNS1_3genE4ELNS1_11target_archE910ELNS1_3gpuE8ELNS1_3repE0EEENS1_38merge_mergepath_config_static_selectorELNS0_4arch9wavefront6targetE1EEEvSD_
		.amdhsa_group_segment_fixed_size 4224
		.amdhsa_private_segment_fixed_size 0
		.amdhsa_kernarg_size 320
		.amdhsa_user_sgpr_count 6
		.amdhsa_user_sgpr_private_segment_buffer 1
		.amdhsa_user_sgpr_dispatch_ptr 0
		.amdhsa_user_sgpr_queue_ptr 0
		.amdhsa_user_sgpr_kernarg_segment_ptr 1
		.amdhsa_user_sgpr_dispatch_id 0
		.amdhsa_user_sgpr_flat_scratch_init 0
		.amdhsa_user_sgpr_kernarg_preload_length 0
		.amdhsa_user_sgpr_kernarg_preload_offset 0
		.amdhsa_user_sgpr_private_segment_size 0
		.amdhsa_uses_dynamic_stack 0
		.amdhsa_system_sgpr_private_segment_wavefront_offset 0
		.amdhsa_system_sgpr_workgroup_id_x 1
		.amdhsa_system_sgpr_workgroup_id_y 1
		.amdhsa_system_sgpr_workgroup_id_z 1
		.amdhsa_system_sgpr_workgroup_info 0
		.amdhsa_system_vgpr_workitem_id 0
		.amdhsa_next_free_vgpr 20
		.amdhsa_next_free_sgpr 31
		.amdhsa_accum_offset 20
		.amdhsa_reserve_vcc 1
		.amdhsa_reserve_flat_scratch 0
		.amdhsa_float_round_mode_32 0
		.amdhsa_float_round_mode_16_64 0
		.amdhsa_float_denorm_mode_32 3
		.amdhsa_float_denorm_mode_16_64 3
		.amdhsa_dx10_clamp 1
		.amdhsa_ieee_mode 1
		.amdhsa_fp16_overflow 0
		.amdhsa_tg_split 0
		.amdhsa_exception_fp_ieee_invalid_op 0
		.amdhsa_exception_fp_denorm_src 0
		.amdhsa_exception_fp_ieee_div_zero 0
		.amdhsa_exception_fp_ieee_overflow 0
		.amdhsa_exception_fp_ieee_underflow 0
		.amdhsa_exception_fp_ieee_inexact 0
		.amdhsa_exception_int_div_zero 0
	.end_amdhsa_kernel
	.section	.text._ZN7rocprim17ROCPRIM_400000_NS6detail17trampoline_kernelINS0_14default_configENS1_38merge_sort_block_merge_config_selectorIiiEEZZNS1_27merge_sort_block_merge_implIS3_PiS7_jNS1_19radix_merge_compareILb0ELb0EiNS0_19identity_decomposerEEEEE10hipError_tT0_T1_T2_jT3_P12ihipStream_tbPNSt15iterator_traitsISC_E10value_typeEPNSI_ISD_E10value_typeEPSE_NS1_7vsmem_tEENKUlT_SC_SD_SE_E_clIS7_S7_S7_S7_EESB_SR_SC_SD_SE_EUlSR_E0_NS1_11comp_targetILNS1_3genE4ELNS1_11target_archE910ELNS1_3gpuE8ELNS1_3repE0EEENS1_38merge_mergepath_config_static_selectorELNS0_4arch9wavefront6targetE1EEEvSD_,"axG",@progbits,_ZN7rocprim17ROCPRIM_400000_NS6detail17trampoline_kernelINS0_14default_configENS1_38merge_sort_block_merge_config_selectorIiiEEZZNS1_27merge_sort_block_merge_implIS3_PiS7_jNS1_19radix_merge_compareILb0ELb0EiNS0_19identity_decomposerEEEEE10hipError_tT0_T1_T2_jT3_P12ihipStream_tbPNSt15iterator_traitsISC_E10value_typeEPNSI_ISD_E10value_typeEPSE_NS1_7vsmem_tEENKUlT_SC_SD_SE_E_clIS7_S7_S7_S7_EESB_SR_SC_SD_SE_EUlSR_E0_NS1_11comp_targetILNS1_3genE4ELNS1_11target_archE910ELNS1_3gpuE8ELNS1_3repE0EEENS1_38merge_mergepath_config_static_selectorELNS0_4arch9wavefront6targetE1EEEvSD_,comdat
.Lfunc_end312:
	.size	_ZN7rocprim17ROCPRIM_400000_NS6detail17trampoline_kernelINS0_14default_configENS1_38merge_sort_block_merge_config_selectorIiiEEZZNS1_27merge_sort_block_merge_implIS3_PiS7_jNS1_19radix_merge_compareILb0ELb0EiNS0_19identity_decomposerEEEEE10hipError_tT0_T1_T2_jT3_P12ihipStream_tbPNSt15iterator_traitsISC_E10value_typeEPNSI_ISD_E10value_typeEPSE_NS1_7vsmem_tEENKUlT_SC_SD_SE_E_clIS7_S7_S7_S7_EESB_SR_SC_SD_SE_EUlSR_E0_NS1_11comp_targetILNS1_3genE4ELNS1_11target_archE910ELNS1_3gpuE8ELNS1_3repE0EEENS1_38merge_mergepath_config_static_selectorELNS0_4arch9wavefront6targetE1EEEvSD_, .Lfunc_end312-_ZN7rocprim17ROCPRIM_400000_NS6detail17trampoline_kernelINS0_14default_configENS1_38merge_sort_block_merge_config_selectorIiiEEZZNS1_27merge_sort_block_merge_implIS3_PiS7_jNS1_19radix_merge_compareILb0ELb0EiNS0_19identity_decomposerEEEEE10hipError_tT0_T1_T2_jT3_P12ihipStream_tbPNSt15iterator_traitsISC_E10value_typeEPNSI_ISD_E10value_typeEPSE_NS1_7vsmem_tEENKUlT_SC_SD_SE_E_clIS7_S7_S7_S7_EESB_SR_SC_SD_SE_EUlSR_E0_NS1_11comp_targetILNS1_3genE4ELNS1_11target_archE910ELNS1_3gpuE8ELNS1_3repE0EEENS1_38merge_mergepath_config_static_selectorELNS0_4arch9wavefront6targetE1EEEvSD_
                                        ; -- End function
	.section	.AMDGPU.csdata,"",@progbits
; Kernel info:
; codeLenInByte = 3204
; NumSgprs: 35
; NumVgprs: 20
; NumAgprs: 0
; TotalNumVgprs: 20
; ScratchSize: 0
; MemoryBound: 0
; FloatMode: 240
; IeeeMode: 1
; LDSByteSize: 4224 bytes/workgroup (compile time only)
; SGPRBlocks: 4
; VGPRBlocks: 2
; NumSGPRsForWavesPerEU: 35
; NumVGPRsForWavesPerEU: 20
; AccumOffset: 20
; Occupancy: 8
; WaveLimiterHint : 1
; COMPUTE_PGM_RSRC2:SCRATCH_EN: 0
; COMPUTE_PGM_RSRC2:USER_SGPR: 6
; COMPUTE_PGM_RSRC2:TRAP_HANDLER: 0
; COMPUTE_PGM_RSRC2:TGID_X_EN: 1
; COMPUTE_PGM_RSRC2:TGID_Y_EN: 1
; COMPUTE_PGM_RSRC2:TGID_Z_EN: 1
; COMPUTE_PGM_RSRC2:TIDIG_COMP_CNT: 0
; COMPUTE_PGM_RSRC3_GFX90A:ACCUM_OFFSET: 4
; COMPUTE_PGM_RSRC3_GFX90A:TG_SPLIT: 0
	.section	.text._ZN7rocprim17ROCPRIM_400000_NS6detail17trampoline_kernelINS0_14default_configENS1_38merge_sort_block_merge_config_selectorIiiEEZZNS1_27merge_sort_block_merge_implIS3_PiS7_jNS1_19radix_merge_compareILb0ELb0EiNS0_19identity_decomposerEEEEE10hipError_tT0_T1_T2_jT3_P12ihipStream_tbPNSt15iterator_traitsISC_E10value_typeEPNSI_ISD_E10value_typeEPSE_NS1_7vsmem_tEENKUlT_SC_SD_SE_E_clIS7_S7_S7_S7_EESB_SR_SC_SD_SE_EUlSR_E0_NS1_11comp_targetILNS1_3genE3ELNS1_11target_archE908ELNS1_3gpuE7ELNS1_3repE0EEENS1_38merge_mergepath_config_static_selectorELNS0_4arch9wavefront6targetE1EEEvSD_,"axG",@progbits,_ZN7rocprim17ROCPRIM_400000_NS6detail17trampoline_kernelINS0_14default_configENS1_38merge_sort_block_merge_config_selectorIiiEEZZNS1_27merge_sort_block_merge_implIS3_PiS7_jNS1_19radix_merge_compareILb0ELb0EiNS0_19identity_decomposerEEEEE10hipError_tT0_T1_T2_jT3_P12ihipStream_tbPNSt15iterator_traitsISC_E10value_typeEPNSI_ISD_E10value_typeEPSE_NS1_7vsmem_tEENKUlT_SC_SD_SE_E_clIS7_S7_S7_S7_EESB_SR_SC_SD_SE_EUlSR_E0_NS1_11comp_targetILNS1_3genE3ELNS1_11target_archE908ELNS1_3gpuE7ELNS1_3repE0EEENS1_38merge_mergepath_config_static_selectorELNS0_4arch9wavefront6targetE1EEEvSD_,comdat
	.protected	_ZN7rocprim17ROCPRIM_400000_NS6detail17trampoline_kernelINS0_14default_configENS1_38merge_sort_block_merge_config_selectorIiiEEZZNS1_27merge_sort_block_merge_implIS3_PiS7_jNS1_19radix_merge_compareILb0ELb0EiNS0_19identity_decomposerEEEEE10hipError_tT0_T1_T2_jT3_P12ihipStream_tbPNSt15iterator_traitsISC_E10value_typeEPNSI_ISD_E10value_typeEPSE_NS1_7vsmem_tEENKUlT_SC_SD_SE_E_clIS7_S7_S7_S7_EESB_SR_SC_SD_SE_EUlSR_E0_NS1_11comp_targetILNS1_3genE3ELNS1_11target_archE908ELNS1_3gpuE7ELNS1_3repE0EEENS1_38merge_mergepath_config_static_selectorELNS0_4arch9wavefront6targetE1EEEvSD_ ; -- Begin function _ZN7rocprim17ROCPRIM_400000_NS6detail17trampoline_kernelINS0_14default_configENS1_38merge_sort_block_merge_config_selectorIiiEEZZNS1_27merge_sort_block_merge_implIS3_PiS7_jNS1_19radix_merge_compareILb0ELb0EiNS0_19identity_decomposerEEEEE10hipError_tT0_T1_T2_jT3_P12ihipStream_tbPNSt15iterator_traitsISC_E10value_typeEPNSI_ISD_E10value_typeEPSE_NS1_7vsmem_tEENKUlT_SC_SD_SE_E_clIS7_S7_S7_S7_EESB_SR_SC_SD_SE_EUlSR_E0_NS1_11comp_targetILNS1_3genE3ELNS1_11target_archE908ELNS1_3gpuE7ELNS1_3repE0EEENS1_38merge_mergepath_config_static_selectorELNS0_4arch9wavefront6targetE1EEEvSD_
	.globl	_ZN7rocprim17ROCPRIM_400000_NS6detail17trampoline_kernelINS0_14default_configENS1_38merge_sort_block_merge_config_selectorIiiEEZZNS1_27merge_sort_block_merge_implIS3_PiS7_jNS1_19radix_merge_compareILb0ELb0EiNS0_19identity_decomposerEEEEE10hipError_tT0_T1_T2_jT3_P12ihipStream_tbPNSt15iterator_traitsISC_E10value_typeEPNSI_ISD_E10value_typeEPSE_NS1_7vsmem_tEENKUlT_SC_SD_SE_E_clIS7_S7_S7_S7_EESB_SR_SC_SD_SE_EUlSR_E0_NS1_11comp_targetILNS1_3genE3ELNS1_11target_archE908ELNS1_3gpuE7ELNS1_3repE0EEENS1_38merge_mergepath_config_static_selectorELNS0_4arch9wavefront6targetE1EEEvSD_
	.p2align	8
	.type	_ZN7rocprim17ROCPRIM_400000_NS6detail17trampoline_kernelINS0_14default_configENS1_38merge_sort_block_merge_config_selectorIiiEEZZNS1_27merge_sort_block_merge_implIS3_PiS7_jNS1_19radix_merge_compareILb0ELb0EiNS0_19identity_decomposerEEEEE10hipError_tT0_T1_T2_jT3_P12ihipStream_tbPNSt15iterator_traitsISC_E10value_typeEPNSI_ISD_E10value_typeEPSE_NS1_7vsmem_tEENKUlT_SC_SD_SE_E_clIS7_S7_S7_S7_EESB_SR_SC_SD_SE_EUlSR_E0_NS1_11comp_targetILNS1_3genE3ELNS1_11target_archE908ELNS1_3gpuE7ELNS1_3repE0EEENS1_38merge_mergepath_config_static_selectorELNS0_4arch9wavefront6targetE1EEEvSD_,@function
_ZN7rocprim17ROCPRIM_400000_NS6detail17trampoline_kernelINS0_14default_configENS1_38merge_sort_block_merge_config_selectorIiiEEZZNS1_27merge_sort_block_merge_implIS3_PiS7_jNS1_19radix_merge_compareILb0ELb0EiNS0_19identity_decomposerEEEEE10hipError_tT0_T1_T2_jT3_P12ihipStream_tbPNSt15iterator_traitsISC_E10value_typeEPNSI_ISD_E10value_typeEPSE_NS1_7vsmem_tEENKUlT_SC_SD_SE_E_clIS7_S7_S7_S7_EESB_SR_SC_SD_SE_EUlSR_E0_NS1_11comp_targetILNS1_3genE3ELNS1_11target_archE908ELNS1_3gpuE7ELNS1_3repE0EEENS1_38merge_mergepath_config_static_selectorELNS0_4arch9wavefront6targetE1EEEvSD_: ; @_ZN7rocprim17ROCPRIM_400000_NS6detail17trampoline_kernelINS0_14default_configENS1_38merge_sort_block_merge_config_selectorIiiEEZZNS1_27merge_sort_block_merge_implIS3_PiS7_jNS1_19radix_merge_compareILb0ELb0EiNS0_19identity_decomposerEEEEE10hipError_tT0_T1_T2_jT3_P12ihipStream_tbPNSt15iterator_traitsISC_E10value_typeEPNSI_ISD_E10value_typeEPSE_NS1_7vsmem_tEENKUlT_SC_SD_SE_E_clIS7_S7_S7_S7_EESB_SR_SC_SD_SE_EUlSR_E0_NS1_11comp_targetILNS1_3genE3ELNS1_11target_archE908ELNS1_3gpuE7ELNS1_3repE0EEENS1_38merge_mergepath_config_static_selectorELNS0_4arch9wavefront6targetE1EEEvSD_
; %bb.0:
	.section	.rodata,"a",@progbits
	.p2align	6, 0x0
	.amdhsa_kernel _ZN7rocprim17ROCPRIM_400000_NS6detail17trampoline_kernelINS0_14default_configENS1_38merge_sort_block_merge_config_selectorIiiEEZZNS1_27merge_sort_block_merge_implIS3_PiS7_jNS1_19radix_merge_compareILb0ELb0EiNS0_19identity_decomposerEEEEE10hipError_tT0_T1_T2_jT3_P12ihipStream_tbPNSt15iterator_traitsISC_E10value_typeEPNSI_ISD_E10value_typeEPSE_NS1_7vsmem_tEENKUlT_SC_SD_SE_E_clIS7_S7_S7_S7_EESB_SR_SC_SD_SE_EUlSR_E0_NS1_11comp_targetILNS1_3genE3ELNS1_11target_archE908ELNS1_3gpuE7ELNS1_3repE0EEENS1_38merge_mergepath_config_static_selectorELNS0_4arch9wavefront6targetE1EEEvSD_
		.amdhsa_group_segment_fixed_size 0
		.amdhsa_private_segment_fixed_size 0
		.amdhsa_kernarg_size 64
		.amdhsa_user_sgpr_count 6
		.amdhsa_user_sgpr_private_segment_buffer 1
		.amdhsa_user_sgpr_dispatch_ptr 0
		.amdhsa_user_sgpr_queue_ptr 0
		.amdhsa_user_sgpr_kernarg_segment_ptr 1
		.amdhsa_user_sgpr_dispatch_id 0
		.amdhsa_user_sgpr_flat_scratch_init 0
		.amdhsa_user_sgpr_kernarg_preload_length 0
		.amdhsa_user_sgpr_kernarg_preload_offset 0
		.amdhsa_user_sgpr_private_segment_size 0
		.amdhsa_uses_dynamic_stack 0
		.amdhsa_system_sgpr_private_segment_wavefront_offset 0
		.amdhsa_system_sgpr_workgroup_id_x 1
		.amdhsa_system_sgpr_workgroup_id_y 0
		.amdhsa_system_sgpr_workgroup_id_z 0
		.amdhsa_system_sgpr_workgroup_info 0
		.amdhsa_system_vgpr_workitem_id 0
		.amdhsa_next_free_vgpr 1
		.amdhsa_next_free_sgpr 0
		.amdhsa_accum_offset 4
		.amdhsa_reserve_vcc 0
		.amdhsa_reserve_flat_scratch 0
		.amdhsa_float_round_mode_32 0
		.amdhsa_float_round_mode_16_64 0
		.amdhsa_float_denorm_mode_32 3
		.amdhsa_float_denorm_mode_16_64 3
		.amdhsa_dx10_clamp 1
		.amdhsa_ieee_mode 1
		.amdhsa_fp16_overflow 0
		.amdhsa_tg_split 0
		.amdhsa_exception_fp_ieee_invalid_op 0
		.amdhsa_exception_fp_denorm_src 0
		.amdhsa_exception_fp_ieee_div_zero 0
		.amdhsa_exception_fp_ieee_overflow 0
		.amdhsa_exception_fp_ieee_underflow 0
		.amdhsa_exception_fp_ieee_inexact 0
		.amdhsa_exception_int_div_zero 0
	.end_amdhsa_kernel
	.section	.text._ZN7rocprim17ROCPRIM_400000_NS6detail17trampoline_kernelINS0_14default_configENS1_38merge_sort_block_merge_config_selectorIiiEEZZNS1_27merge_sort_block_merge_implIS3_PiS7_jNS1_19radix_merge_compareILb0ELb0EiNS0_19identity_decomposerEEEEE10hipError_tT0_T1_T2_jT3_P12ihipStream_tbPNSt15iterator_traitsISC_E10value_typeEPNSI_ISD_E10value_typeEPSE_NS1_7vsmem_tEENKUlT_SC_SD_SE_E_clIS7_S7_S7_S7_EESB_SR_SC_SD_SE_EUlSR_E0_NS1_11comp_targetILNS1_3genE3ELNS1_11target_archE908ELNS1_3gpuE7ELNS1_3repE0EEENS1_38merge_mergepath_config_static_selectorELNS0_4arch9wavefront6targetE1EEEvSD_,"axG",@progbits,_ZN7rocprim17ROCPRIM_400000_NS6detail17trampoline_kernelINS0_14default_configENS1_38merge_sort_block_merge_config_selectorIiiEEZZNS1_27merge_sort_block_merge_implIS3_PiS7_jNS1_19radix_merge_compareILb0ELb0EiNS0_19identity_decomposerEEEEE10hipError_tT0_T1_T2_jT3_P12ihipStream_tbPNSt15iterator_traitsISC_E10value_typeEPNSI_ISD_E10value_typeEPSE_NS1_7vsmem_tEENKUlT_SC_SD_SE_E_clIS7_S7_S7_S7_EESB_SR_SC_SD_SE_EUlSR_E0_NS1_11comp_targetILNS1_3genE3ELNS1_11target_archE908ELNS1_3gpuE7ELNS1_3repE0EEENS1_38merge_mergepath_config_static_selectorELNS0_4arch9wavefront6targetE1EEEvSD_,comdat
.Lfunc_end313:
	.size	_ZN7rocprim17ROCPRIM_400000_NS6detail17trampoline_kernelINS0_14default_configENS1_38merge_sort_block_merge_config_selectorIiiEEZZNS1_27merge_sort_block_merge_implIS3_PiS7_jNS1_19radix_merge_compareILb0ELb0EiNS0_19identity_decomposerEEEEE10hipError_tT0_T1_T2_jT3_P12ihipStream_tbPNSt15iterator_traitsISC_E10value_typeEPNSI_ISD_E10value_typeEPSE_NS1_7vsmem_tEENKUlT_SC_SD_SE_E_clIS7_S7_S7_S7_EESB_SR_SC_SD_SE_EUlSR_E0_NS1_11comp_targetILNS1_3genE3ELNS1_11target_archE908ELNS1_3gpuE7ELNS1_3repE0EEENS1_38merge_mergepath_config_static_selectorELNS0_4arch9wavefront6targetE1EEEvSD_, .Lfunc_end313-_ZN7rocprim17ROCPRIM_400000_NS6detail17trampoline_kernelINS0_14default_configENS1_38merge_sort_block_merge_config_selectorIiiEEZZNS1_27merge_sort_block_merge_implIS3_PiS7_jNS1_19radix_merge_compareILb0ELb0EiNS0_19identity_decomposerEEEEE10hipError_tT0_T1_T2_jT3_P12ihipStream_tbPNSt15iterator_traitsISC_E10value_typeEPNSI_ISD_E10value_typeEPSE_NS1_7vsmem_tEENKUlT_SC_SD_SE_E_clIS7_S7_S7_S7_EESB_SR_SC_SD_SE_EUlSR_E0_NS1_11comp_targetILNS1_3genE3ELNS1_11target_archE908ELNS1_3gpuE7ELNS1_3repE0EEENS1_38merge_mergepath_config_static_selectorELNS0_4arch9wavefront6targetE1EEEvSD_
                                        ; -- End function
	.section	.AMDGPU.csdata,"",@progbits
; Kernel info:
; codeLenInByte = 0
; NumSgprs: 4
; NumVgprs: 0
; NumAgprs: 0
; TotalNumVgprs: 0
; ScratchSize: 0
; MemoryBound: 0
; FloatMode: 240
; IeeeMode: 1
; LDSByteSize: 0 bytes/workgroup (compile time only)
; SGPRBlocks: 0
; VGPRBlocks: 0
; NumSGPRsForWavesPerEU: 4
; NumVGPRsForWavesPerEU: 1
; AccumOffset: 4
; Occupancy: 8
; WaveLimiterHint : 0
; COMPUTE_PGM_RSRC2:SCRATCH_EN: 0
; COMPUTE_PGM_RSRC2:USER_SGPR: 6
; COMPUTE_PGM_RSRC2:TRAP_HANDLER: 0
; COMPUTE_PGM_RSRC2:TGID_X_EN: 1
; COMPUTE_PGM_RSRC2:TGID_Y_EN: 0
; COMPUTE_PGM_RSRC2:TGID_Z_EN: 0
; COMPUTE_PGM_RSRC2:TIDIG_COMP_CNT: 0
; COMPUTE_PGM_RSRC3_GFX90A:ACCUM_OFFSET: 0
; COMPUTE_PGM_RSRC3_GFX90A:TG_SPLIT: 0
	.section	.text._ZN7rocprim17ROCPRIM_400000_NS6detail17trampoline_kernelINS0_14default_configENS1_38merge_sort_block_merge_config_selectorIiiEEZZNS1_27merge_sort_block_merge_implIS3_PiS7_jNS1_19radix_merge_compareILb0ELb0EiNS0_19identity_decomposerEEEEE10hipError_tT0_T1_T2_jT3_P12ihipStream_tbPNSt15iterator_traitsISC_E10value_typeEPNSI_ISD_E10value_typeEPSE_NS1_7vsmem_tEENKUlT_SC_SD_SE_E_clIS7_S7_S7_S7_EESB_SR_SC_SD_SE_EUlSR_E0_NS1_11comp_targetILNS1_3genE2ELNS1_11target_archE906ELNS1_3gpuE6ELNS1_3repE0EEENS1_38merge_mergepath_config_static_selectorELNS0_4arch9wavefront6targetE1EEEvSD_,"axG",@progbits,_ZN7rocprim17ROCPRIM_400000_NS6detail17trampoline_kernelINS0_14default_configENS1_38merge_sort_block_merge_config_selectorIiiEEZZNS1_27merge_sort_block_merge_implIS3_PiS7_jNS1_19radix_merge_compareILb0ELb0EiNS0_19identity_decomposerEEEEE10hipError_tT0_T1_T2_jT3_P12ihipStream_tbPNSt15iterator_traitsISC_E10value_typeEPNSI_ISD_E10value_typeEPSE_NS1_7vsmem_tEENKUlT_SC_SD_SE_E_clIS7_S7_S7_S7_EESB_SR_SC_SD_SE_EUlSR_E0_NS1_11comp_targetILNS1_3genE2ELNS1_11target_archE906ELNS1_3gpuE6ELNS1_3repE0EEENS1_38merge_mergepath_config_static_selectorELNS0_4arch9wavefront6targetE1EEEvSD_,comdat
	.protected	_ZN7rocprim17ROCPRIM_400000_NS6detail17trampoline_kernelINS0_14default_configENS1_38merge_sort_block_merge_config_selectorIiiEEZZNS1_27merge_sort_block_merge_implIS3_PiS7_jNS1_19radix_merge_compareILb0ELb0EiNS0_19identity_decomposerEEEEE10hipError_tT0_T1_T2_jT3_P12ihipStream_tbPNSt15iterator_traitsISC_E10value_typeEPNSI_ISD_E10value_typeEPSE_NS1_7vsmem_tEENKUlT_SC_SD_SE_E_clIS7_S7_S7_S7_EESB_SR_SC_SD_SE_EUlSR_E0_NS1_11comp_targetILNS1_3genE2ELNS1_11target_archE906ELNS1_3gpuE6ELNS1_3repE0EEENS1_38merge_mergepath_config_static_selectorELNS0_4arch9wavefront6targetE1EEEvSD_ ; -- Begin function _ZN7rocprim17ROCPRIM_400000_NS6detail17trampoline_kernelINS0_14default_configENS1_38merge_sort_block_merge_config_selectorIiiEEZZNS1_27merge_sort_block_merge_implIS3_PiS7_jNS1_19radix_merge_compareILb0ELb0EiNS0_19identity_decomposerEEEEE10hipError_tT0_T1_T2_jT3_P12ihipStream_tbPNSt15iterator_traitsISC_E10value_typeEPNSI_ISD_E10value_typeEPSE_NS1_7vsmem_tEENKUlT_SC_SD_SE_E_clIS7_S7_S7_S7_EESB_SR_SC_SD_SE_EUlSR_E0_NS1_11comp_targetILNS1_3genE2ELNS1_11target_archE906ELNS1_3gpuE6ELNS1_3repE0EEENS1_38merge_mergepath_config_static_selectorELNS0_4arch9wavefront6targetE1EEEvSD_
	.globl	_ZN7rocprim17ROCPRIM_400000_NS6detail17trampoline_kernelINS0_14default_configENS1_38merge_sort_block_merge_config_selectorIiiEEZZNS1_27merge_sort_block_merge_implIS3_PiS7_jNS1_19radix_merge_compareILb0ELb0EiNS0_19identity_decomposerEEEEE10hipError_tT0_T1_T2_jT3_P12ihipStream_tbPNSt15iterator_traitsISC_E10value_typeEPNSI_ISD_E10value_typeEPSE_NS1_7vsmem_tEENKUlT_SC_SD_SE_E_clIS7_S7_S7_S7_EESB_SR_SC_SD_SE_EUlSR_E0_NS1_11comp_targetILNS1_3genE2ELNS1_11target_archE906ELNS1_3gpuE6ELNS1_3repE0EEENS1_38merge_mergepath_config_static_selectorELNS0_4arch9wavefront6targetE1EEEvSD_
	.p2align	8
	.type	_ZN7rocprim17ROCPRIM_400000_NS6detail17trampoline_kernelINS0_14default_configENS1_38merge_sort_block_merge_config_selectorIiiEEZZNS1_27merge_sort_block_merge_implIS3_PiS7_jNS1_19radix_merge_compareILb0ELb0EiNS0_19identity_decomposerEEEEE10hipError_tT0_T1_T2_jT3_P12ihipStream_tbPNSt15iterator_traitsISC_E10value_typeEPNSI_ISD_E10value_typeEPSE_NS1_7vsmem_tEENKUlT_SC_SD_SE_E_clIS7_S7_S7_S7_EESB_SR_SC_SD_SE_EUlSR_E0_NS1_11comp_targetILNS1_3genE2ELNS1_11target_archE906ELNS1_3gpuE6ELNS1_3repE0EEENS1_38merge_mergepath_config_static_selectorELNS0_4arch9wavefront6targetE1EEEvSD_,@function
_ZN7rocprim17ROCPRIM_400000_NS6detail17trampoline_kernelINS0_14default_configENS1_38merge_sort_block_merge_config_selectorIiiEEZZNS1_27merge_sort_block_merge_implIS3_PiS7_jNS1_19radix_merge_compareILb0ELb0EiNS0_19identity_decomposerEEEEE10hipError_tT0_T1_T2_jT3_P12ihipStream_tbPNSt15iterator_traitsISC_E10value_typeEPNSI_ISD_E10value_typeEPSE_NS1_7vsmem_tEENKUlT_SC_SD_SE_E_clIS7_S7_S7_S7_EESB_SR_SC_SD_SE_EUlSR_E0_NS1_11comp_targetILNS1_3genE2ELNS1_11target_archE906ELNS1_3gpuE6ELNS1_3repE0EEENS1_38merge_mergepath_config_static_selectorELNS0_4arch9wavefront6targetE1EEEvSD_: ; @_ZN7rocprim17ROCPRIM_400000_NS6detail17trampoline_kernelINS0_14default_configENS1_38merge_sort_block_merge_config_selectorIiiEEZZNS1_27merge_sort_block_merge_implIS3_PiS7_jNS1_19radix_merge_compareILb0ELb0EiNS0_19identity_decomposerEEEEE10hipError_tT0_T1_T2_jT3_P12ihipStream_tbPNSt15iterator_traitsISC_E10value_typeEPNSI_ISD_E10value_typeEPSE_NS1_7vsmem_tEENKUlT_SC_SD_SE_E_clIS7_S7_S7_S7_EESB_SR_SC_SD_SE_EUlSR_E0_NS1_11comp_targetILNS1_3genE2ELNS1_11target_archE906ELNS1_3gpuE6ELNS1_3repE0EEENS1_38merge_mergepath_config_static_selectorELNS0_4arch9wavefront6targetE1EEEvSD_
; %bb.0:
	.section	.rodata,"a",@progbits
	.p2align	6, 0x0
	.amdhsa_kernel _ZN7rocprim17ROCPRIM_400000_NS6detail17trampoline_kernelINS0_14default_configENS1_38merge_sort_block_merge_config_selectorIiiEEZZNS1_27merge_sort_block_merge_implIS3_PiS7_jNS1_19radix_merge_compareILb0ELb0EiNS0_19identity_decomposerEEEEE10hipError_tT0_T1_T2_jT3_P12ihipStream_tbPNSt15iterator_traitsISC_E10value_typeEPNSI_ISD_E10value_typeEPSE_NS1_7vsmem_tEENKUlT_SC_SD_SE_E_clIS7_S7_S7_S7_EESB_SR_SC_SD_SE_EUlSR_E0_NS1_11comp_targetILNS1_3genE2ELNS1_11target_archE906ELNS1_3gpuE6ELNS1_3repE0EEENS1_38merge_mergepath_config_static_selectorELNS0_4arch9wavefront6targetE1EEEvSD_
		.amdhsa_group_segment_fixed_size 0
		.amdhsa_private_segment_fixed_size 0
		.amdhsa_kernarg_size 64
		.amdhsa_user_sgpr_count 6
		.amdhsa_user_sgpr_private_segment_buffer 1
		.amdhsa_user_sgpr_dispatch_ptr 0
		.amdhsa_user_sgpr_queue_ptr 0
		.amdhsa_user_sgpr_kernarg_segment_ptr 1
		.amdhsa_user_sgpr_dispatch_id 0
		.amdhsa_user_sgpr_flat_scratch_init 0
		.amdhsa_user_sgpr_kernarg_preload_length 0
		.amdhsa_user_sgpr_kernarg_preload_offset 0
		.amdhsa_user_sgpr_private_segment_size 0
		.amdhsa_uses_dynamic_stack 0
		.amdhsa_system_sgpr_private_segment_wavefront_offset 0
		.amdhsa_system_sgpr_workgroup_id_x 1
		.amdhsa_system_sgpr_workgroup_id_y 0
		.amdhsa_system_sgpr_workgroup_id_z 0
		.amdhsa_system_sgpr_workgroup_info 0
		.amdhsa_system_vgpr_workitem_id 0
		.amdhsa_next_free_vgpr 1
		.amdhsa_next_free_sgpr 0
		.amdhsa_accum_offset 4
		.amdhsa_reserve_vcc 0
		.amdhsa_reserve_flat_scratch 0
		.amdhsa_float_round_mode_32 0
		.amdhsa_float_round_mode_16_64 0
		.amdhsa_float_denorm_mode_32 3
		.amdhsa_float_denorm_mode_16_64 3
		.amdhsa_dx10_clamp 1
		.amdhsa_ieee_mode 1
		.amdhsa_fp16_overflow 0
		.amdhsa_tg_split 0
		.amdhsa_exception_fp_ieee_invalid_op 0
		.amdhsa_exception_fp_denorm_src 0
		.amdhsa_exception_fp_ieee_div_zero 0
		.amdhsa_exception_fp_ieee_overflow 0
		.amdhsa_exception_fp_ieee_underflow 0
		.amdhsa_exception_fp_ieee_inexact 0
		.amdhsa_exception_int_div_zero 0
	.end_amdhsa_kernel
	.section	.text._ZN7rocprim17ROCPRIM_400000_NS6detail17trampoline_kernelINS0_14default_configENS1_38merge_sort_block_merge_config_selectorIiiEEZZNS1_27merge_sort_block_merge_implIS3_PiS7_jNS1_19radix_merge_compareILb0ELb0EiNS0_19identity_decomposerEEEEE10hipError_tT0_T1_T2_jT3_P12ihipStream_tbPNSt15iterator_traitsISC_E10value_typeEPNSI_ISD_E10value_typeEPSE_NS1_7vsmem_tEENKUlT_SC_SD_SE_E_clIS7_S7_S7_S7_EESB_SR_SC_SD_SE_EUlSR_E0_NS1_11comp_targetILNS1_3genE2ELNS1_11target_archE906ELNS1_3gpuE6ELNS1_3repE0EEENS1_38merge_mergepath_config_static_selectorELNS0_4arch9wavefront6targetE1EEEvSD_,"axG",@progbits,_ZN7rocprim17ROCPRIM_400000_NS6detail17trampoline_kernelINS0_14default_configENS1_38merge_sort_block_merge_config_selectorIiiEEZZNS1_27merge_sort_block_merge_implIS3_PiS7_jNS1_19radix_merge_compareILb0ELb0EiNS0_19identity_decomposerEEEEE10hipError_tT0_T1_T2_jT3_P12ihipStream_tbPNSt15iterator_traitsISC_E10value_typeEPNSI_ISD_E10value_typeEPSE_NS1_7vsmem_tEENKUlT_SC_SD_SE_E_clIS7_S7_S7_S7_EESB_SR_SC_SD_SE_EUlSR_E0_NS1_11comp_targetILNS1_3genE2ELNS1_11target_archE906ELNS1_3gpuE6ELNS1_3repE0EEENS1_38merge_mergepath_config_static_selectorELNS0_4arch9wavefront6targetE1EEEvSD_,comdat
.Lfunc_end314:
	.size	_ZN7rocprim17ROCPRIM_400000_NS6detail17trampoline_kernelINS0_14default_configENS1_38merge_sort_block_merge_config_selectorIiiEEZZNS1_27merge_sort_block_merge_implIS3_PiS7_jNS1_19radix_merge_compareILb0ELb0EiNS0_19identity_decomposerEEEEE10hipError_tT0_T1_T2_jT3_P12ihipStream_tbPNSt15iterator_traitsISC_E10value_typeEPNSI_ISD_E10value_typeEPSE_NS1_7vsmem_tEENKUlT_SC_SD_SE_E_clIS7_S7_S7_S7_EESB_SR_SC_SD_SE_EUlSR_E0_NS1_11comp_targetILNS1_3genE2ELNS1_11target_archE906ELNS1_3gpuE6ELNS1_3repE0EEENS1_38merge_mergepath_config_static_selectorELNS0_4arch9wavefront6targetE1EEEvSD_, .Lfunc_end314-_ZN7rocprim17ROCPRIM_400000_NS6detail17trampoline_kernelINS0_14default_configENS1_38merge_sort_block_merge_config_selectorIiiEEZZNS1_27merge_sort_block_merge_implIS3_PiS7_jNS1_19radix_merge_compareILb0ELb0EiNS0_19identity_decomposerEEEEE10hipError_tT0_T1_T2_jT3_P12ihipStream_tbPNSt15iterator_traitsISC_E10value_typeEPNSI_ISD_E10value_typeEPSE_NS1_7vsmem_tEENKUlT_SC_SD_SE_E_clIS7_S7_S7_S7_EESB_SR_SC_SD_SE_EUlSR_E0_NS1_11comp_targetILNS1_3genE2ELNS1_11target_archE906ELNS1_3gpuE6ELNS1_3repE0EEENS1_38merge_mergepath_config_static_selectorELNS0_4arch9wavefront6targetE1EEEvSD_
                                        ; -- End function
	.section	.AMDGPU.csdata,"",@progbits
; Kernel info:
; codeLenInByte = 0
; NumSgprs: 4
; NumVgprs: 0
; NumAgprs: 0
; TotalNumVgprs: 0
; ScratchSize: 0
; MemoryBound: 0
; FloatMode: 240
; IeeeMode: 1
; LDSByteSize: 0 bytes/workgroup (compile time only)
; SGPRBlocks: 0
; VGPRBlocks: 0
; NumSGPRsForWavesPerEU: 4
; NumVGPRsForWavesPerEU: 1
; AccumOffset: 4
; Occupancy: 8
; WaveLimiterHint : 0
; COMPUTE_PGM_RSRC2:SCRATCH_EN: 0
; COMPUTE_PGM_RSRC2:USER_SGPR: 6
; COMPUTE_PGM_RSRC2:TRAP_HANDLER: 0
; COMPUTE_PGM_RSRC2:TGID_X_EN: 1
; COMPUTE_PGM_RSRC2:TGID_Y_EN: 0
; COMPUTE_PGM_RSRC2:TGID_Z_EN: 0
; COMPUTE_PGM_RSRC2:TIDIG_COMP_CNT: 0
; COMPUTE_PGM_RSRC3_GFX90A:ACCUM_OFFSET: 0
; COMPUTE_PGM_RSRC3_GFX90A:TG_SPLIT: 0
	.section	.text._ZN7rocprim17ROCPRIM_400000_NS6detail17trampoline_kernelINS0_14default_configENS1_38merge_sort_block_merge_config_selectorIiiEEZZNS1_27merge_sort_block_merge_implIS3_PiS7_jNS1_19radix_merge_compareILb0ELb0EiNS0_19identity_decomposerEEEEE10hipError_tT0_T1_T2_jT3_P12ihipStream_tbPNSt15iterator_traitsISC_E10value_typeEPNSI_ISD_E10value_typeEPSE_NS1_7vsmem_tEENKUlT_SC_SD_SE_E_clIS7_S7_S7_S7_EESB_SR_SC_SD_SE_EUlSR_E0_NS1_11comp_targetILNS1_3genE9ELNS1_11target_archE1100ELNS1_3gpuE3ELNS1_3repE0EEENS1_38merge_mergepath_config_static_selectorELNS0_4arch9wavefront6targetE1EEEvSD_,"axG",@progbits,_ZN7rocprim17ROCPRIM_400000_NS6detail17trampoline_kernelINS0_14default_configENS1_38merge_sort_block_merge_config_selectorIiiEEZZNS1_27merge_sort_block_merge_implIS3_PiS7_jNS1_19radix_merge_compareILb0ELb0EiNS0_19identity_decomposerEEEEE10hipError_tT0_T1_T2_jT3_P12ihipStream_tbPNSt15iterator_traitsISC_E10value_typeEPNSI_ISD_E10value_typeEPSE_NS1_7vsmem_tEENKUlT_SC_SD_SE_E_clIS7_S7_S7_S7_EESB_SR_SC_SD_SE_EUlSR_E0_NS1_11comp_targetILNS1_3genE9ELNS1_11target_archE1100ELNS1_3gpuE3ELNS1_3repE0EEENS1_38merge_mergepath_config_static_selectorELNS0_4arch9wavefront6targetE1EEEvSD_,comdat
	.protected	_ZN7rocprim17ROCPRIM_400000_NS6detail17trampoline_kernelINS0_14default_configENS1_38merge_sort_block_merge_config_selectorIiiEEZZNS1_27merge_sort_block_merge_implIS3_PiS7_jNS1_19radix_merge_compareILb0ELb0EiNS0_19identity_decomposerEEEEE10hipError_tT0_T1_T2_jT3_P12ihipStream_tbPNSt15iterator_traitsISC_E10value_typeEPNSI_ISD_E10value_typeEPSE_NS1_7vsmem_tEENKUlT_SC_SD_SE_E_clIS7_S7_S7_S7_EESB_SR_SC_SD_SE_EUlSR_E0_NS1_11comp_targetILNS1_3genE9ELNS1_11target_archE1100ELNS1_3gpuE3ELNS1_3repE0EEENS1_38merge_mergepath_config_static_selectorELNS0_4arch9wavefront6targetE1EEEvSD_ ; -- Begin function _ZN7rocprim17ROCPRIM_400000_NS6detail17trampoline_kernelINS0_14default_configENS1_38merge_sort_block_merge_config_selectorIiiEEZZNS1_27merge_sort_block_merge_implIS3_PiS7_jNS1_19radix_merge_compareILb0ELb0EiNS0_19identity_decomposerEEEEE10hipError_tT0_T1_T2_jT3_P12ihipStream_tbPNSt15iterator_traitsISC_E10value_typeEPNSI_ISD_E10value_typeEPSE_NS1_7vsmem_tEENKUlT_SC_SD_SE_E_clIS7_S7_S7_S7_EESB_SR_SC_SD_SE_EUlSR_E0_NS1_11comp_targetILNS1_3genE9ELNS1_11target_archE1100ELNS1_3gpuE3ELNS1_3repE0EEENS1_38merge_mergepath_config_static_selectorELNS0_4arch9wavefront6targetE1EEEvSD_
	.globl	_ZN7rocprim17ROCPRIM_400000_NS6detail17trampoline_kernelINS0_14default_configENS1_38merge_sort_block_merge_config_selectorIiiEEZZNS1_27merge_sort_block_merge_implIS3_PiS7_jNS1_19radix_merge_compareILb0ELb0EiNS0_19identity_decomposerEEEEE10hipError_tT0_T1_T2_jT3_P12ihipStream_tbPNSt15iterator_traitsISC_E10value_typeEPNSI_ISD_E10value_typeEPSE_NS1_7vsmem_tEENKUlT_SC_SD_SE_E_clIS7_S7_S7_S7_EESB_SR_SC_SD_SE_EUlSR_E0_NS1_11comp_targetILNS1_3genE9ELNS1_11target_archE1100ELNS1_3gpuE3ELNS1_3repE0EEENS1_38merge_mergepath_config_static_selectorELNS0_4arch9wavefront6targetE1EEEvSD_
	.p2align	8
	.type	_ZN7rocprim17ROCPRIM_400000_NS6detail17trampoline_kernelINS0_14default_configENS1_38merge_sort_block_merge_config_selectorIiiEEZZNS1_27merge_sort_block_merge_implIS3_PiS7_jNS1_19radix_merge_compareILb0ELb0EiNS0_19identity_decomposerEEEEE10hipError_tT0_T1_T2_jT3_P12ihipStream_tbPNSt15iterator_traitsISC_E10value_typeEPNSI_ISD_E10value_typeEPSE_NS1_7vsmem_tEENKUlT_SC_SD_SE_E_clIS7_S7_S7_S7_EESB_SR_SC_SD_SE_EUlSR_E0_NS1_11comp_targetILNS1_3genE9ELNS1_11target_archE1100ELNS1_3gpuE3ELNS1_3repE0EEENS1_38merge_mergepath_config_static_selectorELNS0_4arch9wavefront6targetE1EEEvSD_,@function
_ZN7rocprim17ROCPRIM_400000_NS6detail17trampoline_kernelINS0_14default_configENS1_38merge_sort_block_merge_config_selectorIiiEEZZNS1_27merge_sort_block_merge_implIS3_PiS7_jNS1_19radix_merge_compareILb0ELb0EiNS0_19identity_decomposerEEEEE10hipError_tT0_T1_T2_jT3_P12ihipStream_tbPNSt15iterator_traitsISC_E10value_typeEPNSI_ISD_E10value_typeEPSE_NS1_7vsmem_tEENKUlT_SC_SD_SE_E_clIS7_S7_S7_S7_EESB_SR_SC_SD_SE_EUlSR_E0_NS1_11comp_targetILNS1_3genE9ELNS1_11target_archE1100ELNS1_3gpuE3ELNS1_3repE0EEENS1_38merge_mergepath_config_static_selectorELNS0_4arch9wavefront6targetE1EEEvSD_: ; @_ZN7rocprim17ROCPRIM_400000_NS6detail17trampoline_kernelINS0_14default_configENS1_38merge_sort_block_merge_config_selectorIiiEEZZNS1_27merge_sort_block_merge_implIS3_PiS7_jNS1_19radix_merge_compareILb0ELb0EiNS0_19identity_decomposerEEEEE10hipError_tT0_T1_T2_jT3_P12ihipStream_tbPNSt15iterator_traitsISC_E10value_typeEPNSI_ISD_E10value_typeEPSE_NS1_7vsmem_tEENKUlT_SC_SD_SE_E_clIS7_S7_S7_S7_EESB_SR_SC_SD_SE_EUlSR_E0_NS1_11comp_targetILNS1_3genE9ELNS1_11target_archE1100ELNS1_3gpuE3ELNS1_3repE0EEENS1_38merge_mergepath_config_static_selectorELNS0_4arch9wavefront6targetE1EEEvSD_
; %bb.0:
	.section	.rodata,"a",@progbits
	.p2align	6, 0x0
	.amdhsa_kernel _ZN7rocprim17ROCPRIM_400000_NS6detail17trampoline_kernelINS0_14default_configENS1_38merge_sort_block_merge_config_selectorIiiEEZZNS1_27merge_sort_block_merge_implIS3_PiS7_jNS1_19radix_merge_compareILb0ELb0EiNS0_19identity_decomposerEEEEE10hipError_tT0_T1_T2_jT3_P12ihipStream_tbPNSt15iterator_traitsISC_E10value_typeEPNSI_ISD_E10value_typeEPSE_NS1_7vsmem_tEENKUlT_SC_SD_SE_E_clIS7_S7_S7_S7_EESB_SR_SC_SD_SE_EUlSR_E0_NS1_11comp_targetILNS1_3genE9ELNS1_11target_archE1100ELNS1_3gpuE3ELNS1_3repE0EEENS1_38merge_mergepath_config_static_selectorELNS0_4arch9wavefront6targetE1EEEvSD_
		.amdhsa_group_segment_fixed_size 0
		.amdhsa_private_segment_fixed_size 0
		.amdhsa_kernarg_size 64
		.amdhsa_user_sgpr_count 6
		.amdhsa_user_sgpr_private_segment_buffer 1
		.amdhsa_user_sgpr_dispatch_ptr 0
		.amdhsa_user_sgpr_queue_ptr 0
		.amdhsa_user_sgpr_kernarg_segment_ptr 1
		.amdhsa_user_sgpr_dispatch_id 0
		.amdhsa_user_sgpr_flat_scratch_init 0
		.amdhsa_user_sgpr_kernarg_preload_length 0
		.amdhsa_user_sgpr_kernarg_preload_offset 0
		.amdhsa_user_sgpr_private_segment_size 0
		.amdhsa_uses_dynamic_stack 0
		.amdhsa_system_sgpr_private_segment_wavefront_offset 0
		.amdhsa_system_sgpr_workgroup_id_x 1
		.amdhsa_system_sgpr_workgroup_id_y 0
		.amdhsa_system_sgpr_workgroup_id_z 0
		.amdhsa_system_sgpr_workgroup_info 0
		.amdhsa_system_vgpr_workitem_id 0
		.amdhsa_next_free_vgpr 1
		.amdhsa_next_free_sgpr 0
		.amdhsa_accum_offset 4
		.amdhsa_reserve_vcc 0
		.amdhsa_reserve_flat_scratch 0
		.amdhsa_float_round_mode_32 0
		.amdhsa_float_round_mode_16_64 0
		.amdhsa_float_denorm_mode_32 3
		.amdhsa_float_denorm_mode_16_64 3
		.amdhsa_dx10_clamp 1
		.amdhsa_ieee_mode 1
		.amdhsa_fp16_overflow 0
		.amdhsa_tg_split 0
		.amdhsa_exception_fp_ieee_invalid_op 0
		.amdhsa_exception_fp_denorm_src 0
		.amdhsa_exception_fp_ieee_div_zero 0
		.amdhsa_exception_fp_ieee_overflow 0
		.amdhsa_exception_fp_ieee_underflow 0
		.amdhsa_exception_fp_ieee_inexact 0
		.amdhsa_exception_int_div_zero 0
	.end_amdhsa_kernel
	.section	.text._ZN7rocprim17ROCPRIM_400000_NS6detail17trampoline_kernelINS0_14default_configENS1_38merge_sort_block_merge_config_selectorIiiEEZZNS1_27merge_sort_block_merge_implIS3_PiS7_jNS1_19radix_merge_compareILb0ELb0EiNS0_19identity_decomposerEEEEE10hipError_tT0_T1_T2_jT3_P12ihipStream_tbPNSt15iterator_traitsISC_E10value_typeEPNSI_ISD_E10value_typeEPSE_NS1_7vsmem_tEENKUlT_SC_SD_SE_E_clIS7_S7_S7_S7_EESB_SR_SC_SD_SE_EUlSR_E0_NS1_11comp_targetILNS1_3genE9ELNS1_11target_archE1100ELNS1_3gpuE3ELNS1_3repE0EEENS1_38merge_mergepath_config_static_selectorELNS0_4arch9wavefront6targetE1EEEvSD_,"axG",@progbits,_ZN7rocprim17ROCPRIM_400000_NS6detail17trampoline_kernelINS0_14default_configENS1_38merge_sort_block_merge_config_selectorIiiEEZZNS1_27merge_sort_block_merge_implIS3_PiS7_jNS1_19radix_merge_compareILb0ELb0EiNS0_19identity_decomposerEEEEE10hipError_tT0_T1_T2_jT3_P12ihipStream_tbPNSt15iterator_traitsISC_E10value_typeEPNSI_ISD_E10value_typeEPSE_NS1_7vsmem_tEENKUlT_SC_SD_SE_E_clIS7_S7_S7_S7_EESB_SR_SC_SD_SE_EUlSR_E0_NS1_11comp_targetILNS1_3genE9ELNS1_11target_archE1100ELNS1_3gpuE3ELNS1_3repE0EEENS1_38merge_mergepath_config_static_selectorELNS0_4arch9wavefront6targetE1EEEvSD_,comdat
.Lfunc_end315:
	.size	_ZN7rocprim17ROCPRIM_400000_NS6detail17trampoline_kernelINS0_14default_configENS1_38merge_sort_block_merge_config_selectorIiiEEZZNS1_27merge_sort_block_merge_implIS3_PiS7_jNS1_19radix_merge_compareILb0ELb0EiNS0_19identity_decomposerEEEEE10hipError_tT0_T1_T2_jT3_P12ihipStream_tbPNSt15iterator_traitsISC_E10value_typeEPNSI_ISD_E10value_typeEPSE_NS1_7vsmem_tEENKUlT_SC_SD_SE_E_clIS7_S7_S7_S7_EESB_SR_SC_SD_SE_EUlSR_E0_NS1_11comp_targetILNS1_3genE9ELNS1_11target_archE1100ELNS1_3gpuE3ELNS1_3repE0EEENS1_38merge_mergepath_config_static_selectorELNS0_4arch9wavefront6targetE1EEEvSD_, .Lfunc_end315-_ZN7rocprim17ROCPRIM_400000_NS6detail17trampoline_kernelINS0_14default_configENS1_38merge_sort_block_merge_config_selectorIiiEEZZNS1_27merge_sort_block_merge_implIS3_PiS7_jNS1_19radix_merge_compareILb0ELb0EiNS0_19identity_decomposerEEEEE10hipError_tT0_T1_T2_jT3_P12ihipStream_tbPNSt15iterator_traitsISC_E10value_typeEPNSI_ISD_E10value_typeEPSE_NS1_7vsmem_tEENKUlT_SC_SD_SE_E_clIS7_S7_S7_S7_EESB_SR_SC_SD_SE_EUlSR_E0_NS1_11comp_targetILNS1_3genE9ELNS1_11target_archE1100ELNS1_3gpuE3ELNS1_3repE0EEENS1_38merge_mergepath_config_static_selectorELNS0_4arch9wavefront6targetE1EEEvSD_
                                        ; -- End function
	.section	.AMDGPU.csdata,"",@progbits
; Kernel info:
; codeLenInByte = 0
; NumSgprs: 4
; NumVgprs: 0
; NumAgprs: 0
; TotalNumVgprs: 0
; ScratchSize: 0
; MemoryBound: 0
; FloatMode: 240
; IeeeMode: 1
; LDSByteSize: 0 bytes/workgroup (compile time only)
; SGPRBlocks: 0
; VGPRBlocks: 0
; NumSGPRsForWavesPerEU: 4
; NumVGPRsForWavesPerEU: 1
; AccumOffset: 4
; Occupancy: 8
; WaveLimiterHint : 0
; COMPUTE_PGM_RSRC2:SCRATCH_EN: 0
; COMPUTE_PGM_RSRC2:USER_SGPR: 6
; COMPUTE_PGM_RSRC2:TRAP_HANDLER: 0
; COMPUTE_PGM_RSRC2:TGID_X_EN: 1
; COMPUTE_PGM_RSRC2:TGID_Y_EN: 0
; COMPUTE_PGM_RSRC2:TGID_Z_EN: 0
; COMPUTE_PGM_RSRC2:TIDIG_COMP_CNT: 0
; COMPUTE_PGM_RSRC3_GFX90A:ACCUM_OFFSET: 0
; COMPUTE_PGM_RSRC3_GFX90A:TG_SPLIT: 0
	.section	.text._ZN7rocprim17ROCPRIM_400000_NS6detail17trampoline_kernelINS0_14default_configENS1_38merge_sort_block_merge_config_selectorIiiEEZZNS1_27merge_sort_block_merge_implIS3_PiS7_jNS1_19radix_merge_compareILb0ELb0EiNS0_19identity_decomposerEEEEE10hipError_tT0_T1_T2_jT3_P12ihipStream_tbPNSt15iterator_traitsISC_E10value_typeEPNSI_ISD_E10value_typeEPSE_NS1_7vsmem_tEENKUlT_SC_SD_SE_E_clIS7_S7_S7_S7_EESB_SR_SC_SD_SE_EUlSR_E0_NS1_11comp_targetILNS1_3genE8ELNS1_11target_archE1030ELNS1_3gpuE2ELNS1_3repE0EEENS1_38merge_mergepath_config_static_selectorELNS0_4arch9wavefront6targetE1EEEvSD_,"axG",@progbits,_ZN7rocprim17ROCPRIM_400000_NS6detail17trampoline_kernelINS0_14default_configENS1_38merge_sort_block_merge_config_selectorIiiEEZZNS1_27merge_sort_block_merge_implIS3_PiS7_jNS1_19radix_merge_compareILb0ELb0EiNS0_19identity_decomposerEEEEE10hipError_tT0_T1_T2_jT3_P12ihipStream_tbPNSt15iterator_traitsISC_E10value_typeEPNSI_ISD_E10value_typeEPSE_NS1_7vsmem_tEENKUlT_SC_SD_SE_E_clIS7_S7_S7_S7_EESB_SR_SC_SD_SE_EUlSR_E0_NS1_11comp_targetILNS1_3genE8ELNS1_11target_archE1030ELNS1_3gpuE2ELNS1_3repE0EEENS1_38merge_mergepath_config_static_selectorELNS0_4arch9wavefront6targetE1EEEvSD_,comdat
	.protected	_ZN7rocprim17ROCPRIM_400000_NS6detail17trampoline_kernelINS0_14default_configENS1_38merge_sort_block_merge_config_selectorIiiEEZZNS1_27merge_sort_block_merge_implIS3_PiS7_jNS1_19radix_merge_compareILb0ELb0EiNS0_19identity_decomposerEEEEE10hipError_tT0_T1_T2_jT3_P12ihipStream_tbPNSt15iterator_traitsISC_E10value_typeEPNSI_ISD_E10value_typeEPSE_NS1_7vsmem_tEENKUlT_SC_SD_SE_E_clIS7_S7_S7_S7_EESB_SR_SC_SD_SE_EUlSR_E0_NS1_11comp_targetILNS1_3genE8ELNS1_11target_archE1030ELNS1_3gpuE2ELNS1_3repE0EEENS1_38merge_mergepath_config_static_selectorELNS0_4arch9wavefront6targetE1EEEvSD_ ; -- Begin function _ZN7rocprim17ROCPRIM_400000_NS6detail17trampoline_kernelINS0_14default_configENS1_38merge_sort_block_merge_config_selectorIiiEEZZNS1_27merge_sort_block_merge_implIS3_PiS7_jNS1_19radix_merge_compareILb0ELb0EiNS0_19identity_decomposerEEEEE10hipError_tT0_T1_T2_jT3_P12ihipStream_tbPNSt15iterator_traitsISC_E10value_typeEPNSI_ISD_E10value_typeEPSE_NS1_7vsmem_tEENKUlT_SC_SD_SE_E_clIS7_S7_S7_S7_EESB_SR_SC_SD_SE_EUlSR_E0_NS1_11comp_targetILNS1_3genE8ELNS1_11target_archE1030ELNS1_3gpuE2ELNS1_3repE0EEENS1_38merge_mergepath_config_static_selectorELNS0_4arch9wavefront6targetE1EEEvSD_
	.globl	_ZN7rocprim17ROCPRIM_400000_NS6detail17trampoline_kernelINS0_14default_configENS1_38merge_sort_block_merge_config_selectorIiiEEZZNS1_27merge_sort_block_merge_implIS3_PiS7_jNS1_19radix_merge_compareILb0ELb0EiNS0_19identity_decomposerEEEEE10hipError_tT0_T1_T2_jT3_P12ihipStream_tbPNSt15iterator_traitsISC_E10value_typeEPNSI_ISD_E10value_typeEPSE_NS1_7vsmem_tEENKUlT_SC_SD_SE_E_clIS7_S7_S7_S7_EESB_SR_SC_SD_SE_EUlSR_E0_NS1_11comp_targetILNS1_3genE8ELNS1_11target_archE1030ELNS1_3gpuE2ELNS1_3repE0EEENS1_38merge_mergepath_config_static_selectorELNS0_4arch9wavefront6targetE1EEEvSD_
	.p2align	8
	.type	_ZN7rocprim17ROCPRIM_400000_NS6detail17trampoline_kernelINS0_14default_configENS1_38merge_sort_block_merge_config_selectorIiiEEZZNS1_27merge_sort_block_merge_implIS3_PiS7_jNS1_19radix_merge_compareILb0ELb0EiNS0_19identity_decomposerEEEEE10hipError_tT0_T1_T2_jT3_P12ihipStream_tbPNSt15iterator_traitsISC_E10value_typeEPNSI_ISD_E10value_typeEPSE_NS1_7vsmem_tEENKUlT_SC_SD_SE_E_clIS7_S7_S7_S7_EESB_SR_SC_SD_SE_EUlSR_E0_NS1_11comp_targetILNS1_3genE8ELNS1_11target_archE1030ELNS1_3gpuE2ELNS1_3repE0EEENS1_38merge_mergepath_config_static_selectorELNS0_4arch9wavefront6targetE1EEEvSD_,@function
_ZN7rocprim17ROCPRIM_400000_NS6detail17trampoline_kernelINS0_14default_configENS1_38merge_sort_block_merge_config_selectorIiiEEZZNS1_27merge_sort_block_merge_implIS3_PiS7_jNS1_19radix_merge_compareILb0ELb0EiNS0_19identity_decomposerEEEEE10hipError_tT0_T1_T2_jT3_P12ihipStream_tbPNSt15iterator_traitsISC_E10value_typeEPNSI_ISD_E10value_typeEPSE_NS1_7vsmem_tEENKUlT_SC_SD_SE_E_clIS7_S7_S7_S7_EESB_SR_SC_SD_SE_EUlSR_E0_NS1_11comp_targetILNS1_3genE8ELNS1_11target_archE1030ELNS1_3gpuE2ELNS1_3repE0EEENS1_38merge_mergepath_config_static_selectorELNS0_4arch9wavefront6targetE1EEEvSD_: ; @_ZN7rocprim17ROCPRIM_400000_NS6detail17trampoline_kernelINS0_14default_configENS1_38merge_sort_block_merge_config_selectorIiiEEZZNS1_27merge_sort_block_merge_implIS3_PiS7_jNS1_19radix_merge_compareILb0ELb0EiNS0_19identity_decomposerEEEEE10hipError_tT0_T1_T2_jT3_P12ihipStream_tbPNSt15iterator_traitsISC_E10value_typeEPNSI_ISD_E10value_typeEPSE_NS1_7vsmem_tEENKUlT_SC_SD_SE_E_clIS7_S7_S7_S7_EESB_SR_SC_SD_SE_EUlSR_E0_NS1_11comp_targetILNS1_3genE8ELNS1_11target_archE1030ELNS1_3gpuE2ELNS1_3repE0EEENS1_38merge_mergepath_config_static_selectorELNS0_4arch9wavefront6targetE1EEEvSD_
; %bb.0:
	.section	.rodata,"a",@progbits
	.p2align	6, 0x0
	.amdhsa_kernel _ZN7rocprim17ROCPRIM_400000_NS6detail17trampoline_kernelINS0_14default_configENS1_38merge_sort_block_merge_config_selectorIiiEEZZNS1_27merge_sort_block_merge_implIS3_PiS7_jNS1_19radix_merge_compareILb0ELb0EiNS0_19identity_decomposerEEEEE10hipError_tT0_T1_T2_jT3_P12ihipStream_tbPNSt15iterator_traitsISC_E10value_typeEPNSI_ISD_E10value_typeEPSE_NS1_7vsmem_tEENKUlT_SC_SD_SE_E_clIS7_S7_S7_S7_EESB_SR_SC_SD_SE_EUlSR_E0_NS1_11comp_targetILNS1_3genE8ELNS1_11target_archE1030ELNS1_3gpuE2ELNS1_3repE0EEENS1_38merge_mergepath_config_static_selectorELNS0_4arch9wavefront6targetE1EEEvSD_
		.amdhsa_group_segment_fixed_size 0
		.amdhsa_private_segment_fixed_size 0
		.amdhsa_kernarg_size 64
		.amdhsa_user_sgpr_count 6
		.amdhsa_user_sgpr_private_segment_buffer 1
		.amdhsa_user_sgpr_dispatch_ptr 0
		.amdhsa_user_sgpr_queue_ptr 0
		.amdhsa_user_sgpr_kernarg_segment_ptr 1
		.amdhsa_user_sgpr_dispatch_id 0
		.amdhsa_user_sgpr_flat_scratch_init 0
		.amdhsa_user_sgpr_kernarg_preload_length 0
		.amdhsa_user_sgpr_kernarg_preload_offset 0
		.amdhsa_user_sgpr_private_segment_size 0
		.amdhsa_uses_dynamic_stack 0
		.amdhsa_system_sgpr_private_segment_wavefront_offset 0
		.amdhsa_system_sgpr_workgroup_id_x 1
		.amdhsa_system_sgpr_workgroup_id_y 0
		.amdhsa_system_sgpr_workgroup_id_z 0
		.amdhsa_system_sgpr_workgroup_info 0
		.amdhsa_system_vgpr_workitem_id 0
		.amdhsa_next_free_vgpr 1
		.amdhsa_next_free_sgpr 0
		.amdhsa_accum_offset 4
		.amdhsa_reserve_vcc 0
		.amdhsa_reserve_flat_scratch 0
		.amdhsa_float_round_mode_32 0
		.amdhsa_float_round_mode_16_64 0
		.amdhsa_float_denorm_mode_32 3
		.amdhsa_float_denorm_mode_16_64 3
		.amdhsa_dx10_clamp 1
		.amdhsa_ieee_mode 1
		.amdhsa_fp16_overflow 0
		.amdhsa_tg_split 0
		.amdhsa_exception_fp_ieee_invalid_op 0
		.amdhsa_exception_fp_denorm_src 0
		.amdhsa_exception_fp_ieee_div_zero 0
		.amdhsa_exception_fp_ieee_overflow 0
		.amdhsa_exception_fp_ieee_underflow 0
		.amdhsa_exception_fp_ieee_inexact 0
		.amdhsa_exception_int_div_zero 0
	.end_amdhsa_kernel
	.section	.text._ZN7rocprim17ROCPRIM_400000_NS6detail17trampoline_kernelINS0_14default_configENS1_38merge_sort_block_merge_config_selectorIiiEEZZNS1_27merge_sort_block_merge_implIS3_PiS7_jNS1_19radix_merge_compareILb0ELb0EiNS0_19identity_decomposerEEEEE10hipError_tT0_T1_T2_jT3_P12ihipStream_tbPNSt15iterator_traitsISC_E10value_typeEPNSI_ISD_E10value_typeEPSE_NS1_7vsmem_tEENKUlT_SC_SD_SE_E_clIS7_S7_S7_S7_EESB_SR_SC_SD_SE_EUlSR_E0_NS1_11comp_targetILNS1_3genE8ELNS1_11target_archE1030ELNS1_3gpuE2ELNS1_3repE0EEENS1_38merge_mergepath_config_static_selectorELNS0_4arch9wavefront6targetE1EEEvSD_,"axG",@progbits,_ZN7rocprim17ROCPRIM_400000_NS6detail17trampoline_kernelINS0_14default_configENS1_38merge_sort_block_merge_config_selectorIiiEEZZNS1_27merge_sort_block_merge_implIS3_PiS7_jNS1_19radix_merge_compareILb0ELb0EiNS0_19identity_decomposerEEEEE10hipError_tT0_T1_T2_jT3_P12ihipStream_tbPNSt15iterator_traitsISC_E10value_typeEPNSI_ISD_E10value_typeEPSE_NS1_7vsmem_tEENKUlT_SC_SD_SE_E_clIS7_S7_S7_S7_EESB_SR_SC_SD_SE_EUlSR_E0_NS1_11comp_targetILNS1_3genE8ELNS1_11target_archE1030ELNS1_3gpuE2ELNS1_3repE0EEENS1_38merge_mergepath_config_static_selectorELNS0_4arch9wavefront6targetE1EEEvSD_,comdat
.Lfunc_end316:
	.size	_ZN7rocprim17ROCPRIM_400000_NS6detail17trampoline_kernelINS0_14default_configENS1_38merge_sort_block_merge_config_selectorIiiEEZZNS1_27merge_sort_block_merge_implIS3_PiS7_jNS1_19radix_merge_compareILb0ELb0EiNS0_19identity_decomposerEEEEE10hipError_tT0_T1_T2_jT3_P12ihipStream_tbPNSt15iterator_traitsISC_E10value_typeEPNSI_ISD_E10value_typeEPSE_NS1_7vsmem_tEENKUlT_SC_SD_SE_E_clIS7_S7_S7_S7_EESB_SR_SC_SD_SE_EUlSR_E0_NS1_11comp_targetILNS1_3genE8ELNS1_11target_archE1030ELNS1_3gpuE2ELNS1_3repE0EEENS1_38merge_mergepath_config_static_selectorELNS0_4arch9wavefront6targetE1EEEvSD_, .Lfunc_end316-_ZN7rocprim17ROCPRIM_400000_NS6detail17trampoline_kernelINS0_14default_configENS1_38merge_sort_block_merge_config_selectorIiiEEZZNS1_27merge_sort_block_merge_implIS3_PiS7_jNS1_19radix_merge_compareILb0ELb0EiNS0_19identity_decomposerEEEEE10hipError_tT0_T1_T2_jT3_P12ihipStream_tbPNSt15iterator_traitsISC_E10value_typeEPNSI_ISD_E10value_typeEPSE_NS1_7vsmem_tEENKUlT_SC_SD_SE_E_clIS7_S7_S7_S7_EESB_SR_SC_SD_SE_EUlSR_E0_NS1_11comp_targetILNS1_3genE8ELNS1_11target_archE1030ELNS1_3gpuE2ELNS1_3repE0EEENS1_38merge_mergepath_config_static_selectorELNS0_4arch9wavefront6targetE1EEEvSD_
                                        ; -- End function
	.section	.AMDGPU.csdata,"",@progbits
; Kernel info:
; codeLenInByte = 0
; NumSgprs: 4
; NumVgprs: 0
; NumAgprs: 0
; TotalNumVgprs: 0
; ScratchSize: 0
; MemoryBound: 0
; FloatMode: 240
; IeeeMode: 1
; LDSByteSize: 0 bytes/workgroup (compile time only)
; SGPRBlocks: 0
; VGPRBlocks: 0
; NumSGPRsForWavesPerEU: 4
; NumVGPRsForWavesPerEU: 1
; AccumOffset: 4
; Occupancy: 8
; WaveLimiterHint : 0
; COMPUTE_PGM_RSRC2:SCRATCH_EN: 0
; COMPUTE_PGM_RSRC2:USER_SGPR: 6
; COMPUTE_PGM_RSRC2:TRAP_HANDLER: 0
; COMPUTE_PGM_RSRC2:TGID_X_EN: 1
; COMPUTE_PGM_RSRC2:TGID_Y_EN: 0
; COMPUTE_PGM_RSRC2:TGID_Z_EN: 0
; COMPUTE_PGM_RSRC2:TIDIG_COMP_CNT: 0
; COMPUTE_PGM_RSRC3_GFX90A:ACCUM_OFFSET: 0
; COMPUTE_PGM_RSRC3_GFX90A:TG_SPLIT: 0
	.section	.text._ZN7rocprim17ROCPRIM_400000_NS6detail17trampoline_kernelINS0_14default_configENS1_38merge_sort_block_merge_config_selectorIiiEEZZNS1_27merge_sort_block_merge_implIS3_PiS7_jNS1_19radix_merge_compareILb0ELb0EiNS0_19identity_decomposerEEEEE10hipError_tT0_T1_T2_jT3_P12ihipStream_tbPNSt15iterator_traitsISC_E10value_typeEPNSI_ISD_E10value_typeEPSE_NS1_7vsmem_tEENKUlT_SC_SD_SE_E_clIS7_S7_S7_S7_EESB_SR_SC_SD_SE_EUlSR_E1_NS1_11comp_targetILNS1_3genE0ELNS1_11target_archE4294967295ELNS1_3gpuE0ELNS1_3repE0EEENS1_36merge_oddeven_config_static_selectorELNS0_4arch9wavefront6targetE1EEEvSD_,"axG",@progbits,_ZN7rocprim17ROCPRIM_400000_NS6detail17trampoline_kernelINS0_14default_configENS1_38merge_sort_block_merge_config_selectorIiiEEZZNS1_27merge_sort_block_merge_implIS3_PiS7_jNS1_19radix_merge_compareILb0ELb0EiNS0_19identity_decomposerEEEEE10hipError_tT0_T1_T2_jT3_P12ihipStream_tbPNSt15iterator_traitsISC_E10value_typeEPNSI_ISD_E10value_typeEPSE_NS1_7vsmem_tEENKUlT_SC_SD_SE_E_clIS7_S7_S7_S7_EESB_SR_SC_SD_SE_EUlSR_E1_NS1_11comp_targetILNS1_3genE0ELNS1_11target_archE4294967295ELNS1_3gpuE0ELNS1_3repE0EEENS1_36merge_oddeven_config_static_selectorELNS0_4arch9wavefront6targetE1EEEvSD_,comdat
	.protected	_ZN7rocprim17ROCPRIM_400000_NS6detail17trampoline_kernelINS0_14default_configENS1_38merge_sort_block_merge_config_selectorIiiEEZZNS1_27merge_sort_block_merge_implIS3_PiS7_jNS1_19radix_merge_compareILb0ELb0EiNS0_19identity_decomposerEEEEE10hipError_tT0_T1_T2_jT3_P12ihipStream_tbPNSt15iterator_traitsISC_E10value_typeEPNSI_ISD_E10value_typeEPSE_NS1_7vsmem_tEENKUlT_SC_SD_SE_E_clIS7_S7_S7_S7_EESB_SR_SC_SD_SE_EUlSR_E1_NS1_11comp_targetILNS1_3genE0ELNS1_11target_archE4294967295ELNS1_3gpuE0ELNS1_3repE0EEENS1_36merge_oddeven_config_static_selectorELNS0_4arch9wavefront6targetE1EEEvSD_ ; -- Begin function _ZN7rocprim17ROCPRIM_400000_NS6detail17trampoline_kernelINS0_14default_configENS1_38merge_sort_block_merge_config_selectorIiiEEZZNS1_27merge_sort_block_merge_implIS3_PiS7_jNS1_19radix_merge_compareILb0ELb0EiNS0_19identity_decomposerEEEEE10hipError_tT0_T1_T2_jT3_P12ihipStream_tbPNSt15iterator_traitsISC_E10value_typeEPNSI_ISD_E10value_typeEPSE_NS1_7vsmem_tEENKUlT_SC_SD_SE_E_clIS7_S7_S7_S7_EESB_SR_SC_SD_SE_EUlSR_E1_NS1_11comp_targetILNS1_3genE0ELNS1_11target_archE4294967295ELNS1_3gpuE0ELNS1_3repE0EEENS1_36merge_oddeven_config_static_selectorELNS0_4arch9wavefront6targetE1EEEvSD_
	.globl	_ZN7rocprim17ROCPRIM_400000_NS6detail17trampoline_kernelINS0_14default_configENS1_38merge_sort_block_merge_config_selectorIiiEEZZNS1_27merge_sort_block_merge_implIS3_PiS7_jNS1_19radix_merge_compareILb0ELb0EiNS0_19identity_decomposerEEEEE10hipError_tT0_T1_T2_jT3_P12ihipStream_tbPNSt15iterator_traitsISC_E10value_typeEPNSI_ISD_E10value_typeEPSE_NS1_7vsmem_tEENKUlT_SC_SD_SE_E_clIS7_S7_S7_S7_EESB_SR_SC_SD_SE_EUlSR_E1_NS1_11comp_targetILNS1_3genE0ELNS1_11target_archE4294967295ELNS1_3gpuE0ELNS1_3repE0EEENS1_36merge_oddeven_config_static_selectorELNS0_4arch9wavefront6targetE1EEEvSD_
	.p2align	8
	.type	_ZN7rocprim17ROCPRIM_400000_NS6detail17trampoline_kernelINS0_14default_configENS1_38merge_sort_block_merge_config_selectorIiiEEZZNS1_27merge_sort_block_merge_implIS3_PiS7_jNS1_19radix_merge_compareILb0ELb0EiNS0_19identity_decomposerEEEEE10hipError_tT0_T1_T2_jT3_P12ihipStream_tbPNSt15iterator_traitsISC_E10value_typeEPNSI_ISD_E10value_typeEPSE_NS1_7vsmem_tEENKUlT_SC_SD_SE_E_clIS7_S7_S7_S7_EESB_SR_SC_SD_SE_EUlSR_E1_NS1_11comp_targetILNS1_3genE0ELNS1_11target_archE4294967295ELNS1_3gpuE0ELNS1_3repE0EEENS1_36merge_oddeven_config_static_selectorELNS0_4arch9wavefront6targetE1EEEvSD_,@function
_ZN7rocprim17ROCPRIM_400000_NS6detail17trampoline_kernelINS0_14default_configENS1_38merge_sort_block_merge_config_selectorIiiEEZZNS1_27merge_sort_block_merge_implIS3_PiS7_jNS1_19radix_merge_compareILb0ELb0EiNS0_19identity_decomposerEEEEE10hipError_tT0_T1_T2_jT3_P12ihipStream_tbPNSt15iterator_traitsISC_E10value_typeEPNSI_ISD_E10value_typeEPSE_NS1_7vsmem_tEENKUlT_SC_SD_SE_E_clIS7_S7_S7_S7_EESB_SR_SC_SD_SE_EUlSR_E1_NS1_11comp_targetILNS1_3genE0ELNS1_11target_archE4294967295ELNS1_3gpuE0ELNS1_3repE0EEENS1_36merge_oddeven_config_static_selectorELNS0_4arch9wavefront6targetE1EEEvSD_: ; @_ZN7rocprim17ROCPRIM_400000_NS6detail17trampoline_kernelINS0_14default_configENS1_38merge_sort_block_merge_config_selectorIiiEEZZNS1_27merge_sort_block_merge_implIS3_PiS7_jNS1_19radix_merge_compareILb0ELb0EiNS0_19identity_decomposerEEEEE10hipError_tT0_T1_T2_jT3_P12ihipStream_tbPNSt15iterator_traitsISC_E10value_typeEPNSI_ISD_E10value_typeEPSE_NS1_7vsmem_tEENKUlT_SC_SD_SE_E_clIS7_S7_S7_S7_EESB_SR_SC_SD_SE_EUlSR_E1_NS1_11comp_targetILNS1_3genE0ELNS1_11target_archE4294967295ELNS1_3gpuE0ELNS1_3repE0EEENS1_36merge_oddeven_config_static_selectorELNS0_4arch9wavefront6targetE1EEEvSD_
; %bb.0:
	.section	.rodata,"a",@progbits
	.p2align	6, 0x0
	.amdhsa_kernel _ZN7rocprim17ROCPRIM_400000_NS6detail17trampoline_kernelINS0_14default_configENS1_38merge_sort_block_merge_config_selectorIiiEEZZNS1_27merge_sort_block_merge_implIS3_PiS7_jNS1_19radix_merge_compareILb0ELb0EiNS0_19identity_decomposerEEEEE10hipError_tT0_T1_T2_jT3_P12ihipStream_tbPNSt15iterator_traitsISC_E10value_typeEPNSI_ISD_E10value_typeEPSE_NS1_7vsmem_tEENKUlT_SC_SD_SE_E_clIS7_S7_S7_S7_EESB_SR_SC_SD_SE_EUlSR_E1_NS1_11comp_targetILNS1_3genE0ELNS1_11target_archE4294967295ELNS1_3gpuE0ELNS1_3repE0EEENS1_36merge_oddeven_config_static_selectorELNS0_4arch9wavefront6targetE1EEEvSD_
		.amdhsa_group_segment_fixed_size 0
		.amdhsa_private_segment_fixed_size 0
		.amdhsa_kernarg_size 48
		.amdhsa_user_sgpr_count 6
		.amdhsa_user_sgpr_private_segment_buffer 1
		.amdhsa_user_sgpr_dispatch_ptr 0
		.amdhsa_user_sgpr_queue_ptr 0
		.amdhsa_user_sgpr_kernarg_segment_ptr 1
		.amdhsa_user_sgpr_dispatch_id 0
		.amdhsa_user_sgpr_flat_scratch_init 0
		.amdhsa_user_sgpr_kernarg_preload_length 0
		.amdhsa_user_sgpr_kernarg_preload_offset 0
		.amdhsa_user_sgpr_private_segment_size 0
		.amdhsa_uses_dynamic_stack 0
		.amdhsa_system_sgpr_private_segment_wavefront_offset 0
		.amdhsa_system_sgpr_workgroup_id_x 1
		.amdhsa_system_sgpr_workgroup_id_y 0
		.amdhsa_system_sgpr_workgroup_id_z 0
		.amdhsa_system_sgpr_workgroup_info 0
		.amdhsa_system_vgpr_workitem_id 0
		.amdhsa_next_free_vgpr 1
		.amdhsa_next_free_sgpr 0
		.amdhsa_accum_offset 4
		.amdhsa_reserve_vcc 0
		.amdhsa_reserve_flat_scratch 0
		.amdhsa_float_round_mode_32 0
		.amdhsa_float_round_mode_16_64 0
		.amdhsa_float_denorm_mode_32 3
		.amdhsa_float_denorm_mode_16_64 3
		.amdhsa_dx10_clamp 1
		.amdhsa_ieee_mode 1
		.amdhsa_fp16_overflow 0
		.amdhsa_tg_split 0
		.amdhsa_exception_fp_ieee_invalid_op 0
		.amdhsa_exception_fp_denorm_src 0
		.amdhsa_exception_fp_ieee_div_zero 0
		.amdhsa_exception_fp_ieee_overflow 0
		.amdhsa_exception_fp_ieee_underflow 0
		.amdhsa_exception_fp_ieee_inexact 0
		.amdhsa_exception_int_div_zero 0
	.end_amdhsa_kernel
	.section	.text._ZN7rocprim17ROCPRIM_400000_NS6detail17trampoline_kernelINS0_14default_configENS1_38merge_sort_block_merge_config_selectorIiiEEZZNS1_27merge_sort_block_merge_implIS3_PiS7_jNS1_19radix_merge_compareILb0ELb0EiNS0_19identity_decomposerEEEEE10hipError_tT0_T1_T2_jT3_P12ihipStream_tbPNSt15iterator_traitsISC_E10value_typeEPNSI_ISD_E10value_typeEPSE_NS1_7vsmem_tEENKUlT_SC_SD_SE_E_clIS7_S7_S7_S7_EESB_SR_SC_SD_SE_EUlSR_E1_NS1_11comp_targetILNS1_3genE0ELNS1_11target_archE4294967295ELNS1_3gpuE0ELNS1_3repE0EEENS1_36merge_oddeven_config_static_selectorELNS0_4arch9wavefront6targetE1EEEvSD_,"axG",@progbits,_ZN7rocprim17ROCPRIM_400000_NS6detail17trampoline_kernelINS0_14default_configENS1_38merge_sort_block_merge_config_selectorIiiEEZZNS1_27merge_sort_block_merge_implIS3_PiS7_jNS1_19radix_merge_compareILb0ELb0EiNS0_19identity_decomposerEEEEE10hipError_tT0_T1_T2_jT3_P12ihipStream_tbPNSt15iterator_traitsISC_E10value_typeEPNSI_ISD_E10value_typeEPSE_NS1_7vsmem_tEENKUlT_SC_SD_SE_E_clIS7_S7_S7_S7_EESB_SR_SC_SD_SE_EUlSR_E1_NS1_11comp_targetILNS1_3genE0ELNS1_11target_archE4294967295ELNS1_3gpuE0ELNS1_3repE0EEENS1_36merge_oddeven_config_static_selectorELNS0_4arch9wavefront6targetE1EEEvSD_,comdat
.Lfunc_end317:
	.size	_ZN7rocprim17ROCPRIM_400000_NS6detail17trampoline_kernelINS0_14default_configENS1_38merge_sort_block_merge_config_selectorIiiEEZZNS1_27merge_sort_block_merge_implIS3_PiS7_jNS1_19radix_merge_compareILb0ELb0EiNS0_19identity_decomposerEEEEE10hipError_tT0_T1_T2_jT3_P12ihipStream_tbPNSt15iterator_traitsISC_E10value_typeEPNSI_ISD_E10value_typeEPSE_NS1_7vsmem_tEENKUlT_SC_SD_SE_E_clIS7_S7_S7_S7_EESB_SR_SC_SD_SE_EUlSR_E1_NS1_11comp_targetILNS1_3genE0ELNS1_11target_archE4294967295ELNS1_3gpuE0ELNS1_3repE0EEENS1_36merge_oddeven_config_static_selectorELNS0_4arch9wavefront6targetE1EEEvSD_, .Lfunc_end317-_ZN7rocprim17ROCPRIM_400000_NS6detail17trampoline_kernelINS0_14default_configENS1_38merge_sort_block_merge_config_selectorIiiEEZZNS1_27merge_sort_block_merge_implIS3_PiS7_jNS1_19radix_merge_compareILb0ELb0EiNS0_19identity_decomposerEEEEE10hipError_tT0_T1_T2_jT3_P12ihipStream_tbPNSt15iterator_traitsISC_E10value_typeEPNSI_ISD_E10value_typeEPSE_NS1_7vsmem_tEENKUlT_SC_SD_SE_E_clIS7_S7_S7_S7_EESB_SR_SC_SD_SE_EUlSR_E1_NS1_11comp_targetILNS1_3genE0ELNS1_11target_archE4294967295ELNS1_3gpuE0ELNS1_3repE0EEENS1_36merge_oddeven_config_static_selectorELNS0_4arch9wavefront6targetE1EEEvSD_
                                        ; -- End function
	.section	.AMDGPU.csdata,"",@progbits
; Kernel info:
; codeLenInByte = 0
; NumSgprs: 4
; NumVgprs: 0
; NumAgprs: 0
; TotalNumVgprs: 0
; ScratchSize: 0
; MemoryBound: 0
; FloatMode: 240
; IeeeMode: 1
; LDSByteSize: 0 bytes/workgroup (compile time only)
; SGPRBlocks: 0
; VGPRBlocks: 0
; NumSGPRsForWavesPerEU: 4
; NumVGPRsForWavesPerEU: 1
; AccumOffset: 4
; Occupancy: 8
; WaveLimiterHint : 0
; COMPUTE_PGM_RSRC2:SCRATCH_EN: 0
; COMPUTE_PGM_RSRC2:USER_SGPR: 6
; COMPUTE_PGM_RSRC2:TRAP_HANDLER: 0
; COMPUTE_PGM_RSRC2:TGID_X_EN: 1
; COMPUTE_PGM_RSRC2:TGID_Y_EN: 0
; COMPUTE_PGM_RSRC2:TGID_Z_EN: 0
; COMPUTE_PGM_RSRC2:TIDIG_COMP_CNT: 0
; COMPUTE_PGM_RSRC3_GFX90A:ACCUM_OFFSET: 0
; COMPUTE_PGM_RSRC3_GFX90A:TG_SPLIT: 0
	.section	.text._ZN7rocprim17ROCPRIM_400000_NS6detail17trampoline_kernelINS0_14default_configENS1_38merge_sort_block_merge_config_selectorIiiEEZZNS1_27merge_sort_block_merge_implIS3_PiS7_jNS1_19radix_merge_compareILb0ELb0EiNS0_19identity_decomposerEEEEE10hipError_tT0_T1_T2_jT3_P12ihipStream_tbPNSt15iterator_traitsISC_E10value_typeEPNSI_ISD_E10value_typeEPSE_NS1_7vsmem_tEENKUlT_SC_SD_SE_E_clIS7_S7_S7_S7_EESB_SR_SC_SD_SE_EUlSR_E1_NS1_11comp_targetILNS1_3genE10ELNS1_11target_archE1201ELNS1_3gpuE5ELNS1_3repE0EEENS1_36merge_oddeven_config_static_selectorELNS0_4arch9wavefront6targetE1EEEvSD_,"axG",@progbits,_ZN7rocprim17ROCPRIM_400000_NS6detail17trampoline_kernelINS0_14default_configENS1_38merge_sort_block_merge_config_selectorIiiEEZZNS1_27merge_sort_block_merge_implIS3_PiS7_jNS1_19radix_merge_compareILb0ELb0EiNS0_19identity_decomposerEEEEE10hipError_tT0_T1_T2_jT3_P12ihipStream_tbPNSt15iterator_traitsISC_E10value_typeEPNSI_ISD_E10value_typeEPSE_NS1_7vsmem_tEENKUlT_SC_SD_SE_E_clIS7_S7_S7_S7_EESB_SR_SC_SD_SE_EUlSR_E1_NS1_11comp_targetILNS1_3genE10ELNS1_11target_archE1201ELNS1_3gpuE5ELNS1_3repE0EEENS1_36merge_oddeven_config_static_selectorELNS0_4arch9wavefront6targetE1EEEvSD_,comdat
	.protected	_ZN7rocprim17ROCPRIM_400000_NS6detail17trampoline_kernelINS0_14default_configENS1_38merge_sort_block_merge_config_selectorIiiEEZZNS1_27merge_sort_block_merge_implIS3_PiS7_jNS1_19radix_merge_compareILb0ELb0EiNS0_19identity_decomposerEEEEE10hipError_tT0_T1_T2_jT3_P12ihipStream_tbPNSt15iterator_traitsISC_E10value_typeEPNSI_ISD_E10value_typeEPSE_NS1_7vsmem_tEENKUlT_SC_SD_SE_E_clIS7_S7_S7_S7_EESB_SR_SC_SD_SE_EUlSR_E1_NS1_11comp_targetILNS1_3genE10ELNS1_11target_archE1201ELNS1_3gpuE5ELNS1_3repE0EEENS1_36merge_oddeven_config_static_selectorELNS0_4arch9wavefront6targetE1EEEvSD_ ; -- Begin function _ZN7rocprim17ROCPRIM_400000_NS6detail17trampoline_kernelINS0_14default_configENS1_38merge_sort_block_merge_config_selectorIiiEEZZNS1_27merge_sort_block_merge_implIS3_PiS7_jNS1_19radix_merge_compareILb0ELb0EiNS0_19identity_decomposerEEEEE10hipError_tT0_T1_T2_jT3_P12ihipStream_tbPNSt15iterator_traitsISC_E10value_typeEPNSI_ISD_E10value_typeEPSE_NS1_7vsmem_tEENKUlT_SC_SD_SE_E_clIS7_S7_S7_S7_EESB_SR_SC_SD_SE_EUlSR_E1_NS1_11comp_targetILNS1_3genE10ELNS1_11target_archE1201ELNS1_3gpuE5ELNS1_3repE0EEENS1_36merge_oddeven_config_static_selectorELNS0_4arch9wavefront6targetE1EEEvSD_
	.globl	_ZN7rocprim17ROCPRIM_400000_NS6detail17trampoline_kernelINS0_14default_configENS1_38merge_sort_block_merge_config_selectorIiiEEZZNS1_27merge_sort_block_merge_implIS3_PiS7_jNS1_19radix_merge_compareILb0ELb0EiNS0_19identity_decomposerEEEEE10hipError_tT0_T1_T2_jT3_P12ihipStream_tbPNSt15iterator_traitsISC_E10value_typeEPNSI_ISD_E10value_typeEPSE_NS1_7vsmem_tEENKUlT_SC_SD_SE_E_clIS7_S7_S7_S7_EESB_SR_SC_SD_SE_EUlSR_E1_NS1_11comp_targetILNS1_3genE10ELNS1_11target_archE1201ELNS1_3gpuE5ELNS1_3repE0EEENS1_36merge_oddeven_config_static_selectorELNS0_4arch9wavefront6targetE1EEEvSD_
	.p2align	8
	.type	_ZN7rocprim17ROCPRIM_400000_NS6detail17trampoline_kernelINS0_14default_configENS1_38merge_sort_block_merge_config_selectorIiiEEZZNS1_27merge_sort_block_merge_implIS3_PiS7_jNS1_19radix_merge_compareILb0ELb0EiNS0_19identity_decomposerEEEEE10hipError_tT0_T1_T2_jT3_P12ihipStream_tbPNSt15iterator_traitsISC_E10value_typeEPNSI_ISD_E10value_typeEPSE_NS1_7vsmem_tEENKUlT_SC_SD_SE_E_clIS7_S7_S7_S7_EESB_SR_SC_SD_SE_EUlSR_E1_NS1_11comp_targetILNS1_3genE10ELNS1_11target_archE1201ELNS1_3gpuE5ELNS1_3repE0EEENS1_36merge_oddeven_config_static_selectorELNS0_4arch9wavefront6targetE1EEEvSD_,@function
_ZN7rocprim17ROCPRIM_400000_NS6detail17trampoline_kernelINS0_14default_configENS1_38merge_sort_block_merge_config_selectorIiiEEZZNS1_27merge_sort_block_merge_implIS3_PiS7_jNS1_19radix_merge_compareILb0ELb0EiNS0_19identity_decomposerEEEEE10hipError_tT0_T1_T2_jT3_P12ihipStream_tbPNSt15iterator_traitsISC_E10value_typeEPNSI_ISD_E10value_typeEPSE_NS1_7vsmem_tEENKUlT_SC_SD_SE_E_clIS7_S7_S7_S7_EESB_SR_SC_SD_SE_EUlSR_E1_NS1_11comp_targetILNS1_3genE10ELNS1_11target_archE1201ELNS1_3gpuE5ELNS1_3repE0EEENS1_36merge_oddeven_config_static_selectorELNS0_4arch9wavefront6targetE1EEEvSD_: ; @_ZN7rocprim17ROCPRIM_400000_NS6detail17trampoline_kernelINS0_14default_configENS1_38merge_sort_block_merge_config_selectorIiiEEZZNS1_27merge_sort_block_merge_implIS3_PiS7_jNS1_19radix_merge_compareILb0ELb0EiNS0_19identity_decomposerEEEEE10hipError_tT0_T1_T2_jT3_P12ihipStream_tbPNSt15iterator_traitsISC_E10value_typeEPNSI_ISD_E10value_typeEPSE_NS1_7vsmem_tEENKUlT_SC_SD_SE_E_clIS7_S7_S7_S7_EESB_SR_SC_SD_SE_EUlSR_E1_NS1_11comp_targetILNS1_3genE10ELNS1_11target_archE1201ELNS1_3gpuE5ELNS1_3repE0EEENS1_36merge_oddeven_config_static_selectorELNS0_4arch9wavefront6targetE1EEEvSD_
; %bb.0:
	.section	.rodata,"a",@progbits
	.p2align	6, 0x0
	.amdhsa_kernel _ZN7rocprim17ROCPRIM_400000_NS6detail17trampoline_kernelINS0_14default_configENS1_38merge_sort_block_merge_config_selectorIiiEEZZNS1_27merge_sort_block_merge_implIS3_PiS7_jNS1_19radix_merge_compareILb0ELb0EiNS0_19identity_decomposerEEEEE10hipError_tT0_T1_T2_jT3_P12ihipStream_tbPNSt15iterator_traitsISC_E10value_typeEPNSI_ISD_E10value_typeEPSE_NS1_7vsmem_tEENKUlT_SC_SD_SE_E_clIS7_S7_S7_S7_EESB_SR_SC_SD_SE_EUlSR_E1_NS1_11comp_targetILNS1_3genE10ELNS1_11target_archE1201ELNS1_3gpuE5ELNS1_3repE0EEENS1_36merge_oddeven_config_static_selectorELNS0_4arch9wavefront6targetE1EEEvSD_
		.amdhsa_group_segment_fixed_size 0
		.amdhsa_private_segment_fixed_size 0
		.amdhsa_kernarg_size 48
		.amdhsa_user_sgpr_count 6
		.amdhsa_user_sgpr_private_segment_buffer 1
		.amdhsa_user_sgpr_dispatch_ptr 0
		.amdhsa_user_sgpr_queue_ptr 0
		.amdhsa_user_sgpr_kernarg_segment_ptr 1
		.amdhsa_user_sgpr_dispatch_id 0
		.amdhsa_user_sgpr_flat_scratch_init 0
		.amdhsa_user_sgpr_kernarg_preload_length 0
		.amdhsa_user_sgpr_kernarg_preload_offset 0
		.amdhsa_user_sgpr_private_segment_size 0
		.amdhsa_uses_dynamic_stack 0
		.amdhsa_system_sgpr_private_segment_wavefront_offset 0
		.amdhsa_system_sgpr_workgroup_id_x 1
		.amdhsa_system_sgpr_workgroup_id_y 0
		.amdhsa_system_sgpr_workgroup_id_z 0
		.amdhsa_system_sgpr_workgroup_info 0
		.amdhsa_system_vgpr_workitem_id 0
		.amdhsa_next_free_vgpr 1
		.amdhsa_next_free_sgpr 0
		.amdhsa_accum_offset 4
		.amdhsa_reserve_vcc 0
		.amdhsa_reserve_flat_scratch 0
		.amdhsa_float_round_mode_32 0
		.amdhsa_float_round_mode_16_64 0
		.amdhsa_float_denorm_mode_32 3
		.amdhsa_float_denorm_mode_16_64 3
		.amdhsa_dx10_clamp 1
		.amdhsa_ieee_mode 1
		.amdhsa_fp16_overflow 0
		.amdhsa_tg_split 0
		.amdhsa_exception_fp_ieee_invalid_op 0
		.amdhsa_exception_fp_denorm_src 0
		.amdhsa_exception_fp_ieee_div_zero 0
		.amdhsa_exception_fp_ieee_overflow 0
		.amdhsa_exception_fp_ieee_underflow 0
		.amdhsa_exception_fp_ieee_inexact 0
		.amdhsa_exception_int_div_zero 0
	.end_amdhsa_kernel
	.section	.text._ZN7rocprim17ROCPRIM_400000_NS6detail17trampoline_kernelINS0_14default_configENS1_38merge_sort_block_merge_config_selectorIiiEEZZNS1_27merge_sort_block_merge_implIS3_PiS7_jNS1_19radix_merge_compareILb0ELb0EiNS0_19identity_decomposerEEEEE10hipError_tT0_T1_T2_jT3_P12ihipStream_tbPNSt15iterator_traitsISC_E10value_typeEPNSI_ISD_E10value_typeEPSE_NS1_7vsmem_tEENKUlT_SC_SD_SE_E_clIS7_S7_S7_S7_EESB_SR_SC_SD_SE_EUlSR_E1_NS1_11comp_targetILNS1_3genE10ELNS1_11target_archE1201ELNS1_3gpuE5ELNS1_3repE0EEENS1_36merge_oddeven_config_static_selectorELNS0_4arch9wavefront6targetE1EEEvSD_,"axG",@progbits,_ZN7rocprim17ROCPRIM_400000_NS6detail17trampoline_kernelINS0_14default_configENS1_38merge_sort_block_merge_config_selectorIiiEEZZNS1_27merge_sort_block_merge_implIS3_PiS7_jNS1_19radix_merge_compareILb0ELb0EiNS0_19identity_decomposerEEEEE10hipError_tT0_T1_T2_jT3_P12ihipStream_tbPNSt15iterator_traitsISC_E10value_typeEPNSI_ISD_E10value_typeEPSE_NS1_7vsmem_tEENKUlT_SC_SD_SE_E_clIS7_S7_S7_S7_EESB_SR_SC_SD_SE_EUlSR_E1_NS1_11comp_targetILNS1_3genE10ELNS1_11target_archE1201ELNS1_3gpuE5ELNS1_3repE0EEENS1_36merge_oddeven_config_static_selectorELNS0_4arch9wavefront6targetE1EEEvSD_,comdat
.Lfunc_end318:
	.size	_ZN7rocprim17ROCPRIM_400000_NS6detail17trampoline_kernelINS0_14default_configENS1_38merge_sort_block_merge_config_selectorIiiEEZZNS1_27merge_sort_block_merge_implIS3_PiS7_jNS1_19radix_merge_compareILb0ELb0EiNS0_19identity_decomposerEEEEE10hipError_tT0_T1_T2_jT3_P12ihipStream_tbPNSt15iterator_traitsISC_E10value_typeEPNSI_ISD_E10value_typeEPSE_NS1_7vsmem_tEENKUlT_SC_SD_SE_E_clIS7_S7_S7_S7_EESB_SR_SC_SD_SE_EUlSR_E1_NS1_11comp_targetILNS1_3genE10ELNS1_11target_archE1201ELNS1_3gpuE5ELNS1_3repE0EEENS1_36merge_oddeven_config_static_selectorELNS0_4arch9wavefront6targetE1EEEvSD_, .Lfunc_end318-_ZN7rocprim17ROCPRIM_400000_NS6detail17trampoline_kernelINS0_14default_configENS1_38merge_sort_block_merge_config_selectorIiiEEZZNS1_27merge_sort_block_merge_implIS3_PiS7_jNS1_19radix_merge_compareILb0ELb0EiNS0_19identity_decomposerEEEEE10hipError_tT0_T1_T2_jT3_P12ihipStream_tbPNSt15iterator_traitsISC_E10value_typeEPNSI_ISD_E10value_typeEPSE_NS1_7vsmem_tEENKUlT_SC_SD_SE_E_clIS7_S7_S7_S7_EESB_SR_SC_SD_SE_EUlSR_E1_NS1_11comp_targetILNS1_3genE10ELNS1_11target_archE1201ELNS1_3gpuE5ELNS1_3repE0EEENS1_36merge_oddeven_config_static_selectorELNS0_4arch9wavefront6targetE1EEEvSD_
                                        ; -- End function
	.section	.AMDGPU.csdata,"",@progbits
; Kernel info:
; codeLenInByte = 0
; NumSgprs: 4
; NumVgprs: 0
; NumAgprs: 0
; TotalNumVgprs: 0
; ScratchSize: 0
; MemoryBound: 0
; FloatMode: 240
; IeeeMode: 1
; LDSByteSize: 0 bytes/workgroup (compile time only)
; SGPRBlocks: 0
; VGPRBlocks: 0
; NumSGPRsForWavesPerEU: 4
; NumVGPRsForWavesPerEU: 1
; AccumOffset: 4
; Occupancy: 8
; WaveLimiterHint : 0
; COMPUTE_PGM_RSRC2:SCRATCH_EN: 0
; COMPUTE_PGM_RSRC2:USER_SGPR: 6
; COMPUTE_PGM_RSRC2:TRAP_HANDLER: 0
; COMPUTE_PGM_RSRC2:TGID_X_EN: 1
; COMPUTE_PGM_RSRC2:TGID_Y_EN: 0
; COMPUTE_PGM_RSRC2:TGID_Z_EN: 0
; COMPUTE_PGM_RSRC2:TIDIG_COMP_CNT: 0
; COMPUTE_PGM_RSRC3_GFX90A:ACCUM_OFFSET: 0
; COMPUTE_PGM_RSRC3_GFX90A:TG_SPLIT: 0
	.section	.text._ZN7rocprim17ROCPRIM_400000_NS6detail17trampoline_kernelINS0_14default_configENS1_38merge_sort_block_merge_config_selectorIiiEEZZNS1_27merge_sort_block_merge_implIS3_PiS7_jNS1_19radix_merge_compareILb0ELb0EiNS0_19identity_decomposerEEEEE10hipError_tT0_T1_T2_jT3_P12ihipStream_tbPNSt15iterator_traitsISC_E10value_typeEPNSI_ISD_E10value_typeEPSE_NS1_7vsmem_tEENKUlT_SC_SD_SE_E_clIS7_S7_S7_S7_EESB_SR_SC_SD_SE_EUlSR_E1_NS1_11comp_targetILNS1_3genE5ELNS1_11target_archE942ELNS1_3gpuE9ELNS1_3repE0EEENS1_36merge_oddeven_config_static_selectorELNS0_4arch9wavefront6targetE1EEEvSD_,"axG",@progbits,_ZN7rocprim17ROCPRIM_400000_NS6detail17trampoline_kernelINS0_14default_configENS1_38merge_sort_block_merge_config_selectorIiiEEZZNS1_27merge_sort_block_merge_implIS3_PiS7_jNS1_19radix_merge_compareILb0ELb0EiNS0_19identity_decomposerEEEEE10hipError_tT0_T1_T2_jT3_P12ihipStream_tbPNSt15iterator_traitsISC_E10value_typeEPNSI_ISD_E10value_typeEPSE_NS1_7vsmem_tEENKUlT_SC_SD_SE_E_clIS7_S7_S7_S7_EESB_SR_SC_SD_SE_EUlSR_E1_NS1_11comp_targetILNS1_3genE5ELNS1_11target_archE942ELNS1_3gpuE9ELNS1_3repE0EEENS1_36merge_oddeven_config_static_selectorELNS0_4arch9wavefront6targetE1EEEvSD_,comdat
	.protected	_ZN7rocprim17ROCPRIM_400000_NS6detail17trampoline_kernelINS0_14default_configENS1_38merge_sort_block_merge_config_selectorIiiEEZZNS1_27merge_sort_block_merge_implIS3_PiS7_jNS1_19radix_merge_compareILb0ELb0EiNS0_19identity_decomposerEEEEE10hipError_tT0_T1_T2_jT3_P12ihipStream_tbPNSt15iterator_traitsISC_E10value_typeEPNSI_ISD_E10value_typeEPSE_NS1_7vsmem_tEENKUlT_SC_SD_SE_E_clIS7_S7_S7_S7_EESB_SR_SC_SD_SE_EUlSR_E1_NS1_11comp_targetILNS1_3genE5ELNS1_11target_archE942ELNS1_3gpuE9ELNS1_3repE0EEENS1_36merge_oddeven_config_static_selectorELNS0_4arch9wavefront6targetE1EEEvSD_ ; -- Begin function _ZN7rocprim17ROCPRIM_400000_NS6detail17trampoline_kernelINS0_14default_configENS1_38merge_sort_block_merge_config_selectorIiiEEZZNS1_27merge_sort_block_merge_implIS3_PiS7_jNS1_19radix_merge_compareILb0ELb0EiNS0_19identity_decomposerEEEEE10hipError_tT0_T1_T2_jT3_P12ihipStream_tbPNSt15iterator_traitsISC_E10value_typeEPNSI_ISD_E10value_typeEPSE_NS1_7vsmem_tEENKUlT_SC_SD_SE_E_clIS7_S7_S7_S7_EESB_SR_SC_SD_SE_EUlSR_E1_NS1_11comp_targetILNS1_3genE5ELNS1_11target_archE942ELNS1_3gpuE9ELNS1_3repE0EEENS1_36merge_oddeven_config_static_selectorELNS0_4arch9wavefront6targetE1EEEvSD_
	.globl	_ZN7rocprim17ROCPRIM_400000_NS6detail17trampoline_kernelINS0_14default_configENS1_38merge_sort_block_merge_config_selectorIiiEEZZNS1_27merge_sort_block_merge_implIS3_PiS7_jNS1_19radix_merge_compareILb0ELb0EiNS0_19identity_decomposerEEEEE10hipError_tT0_T1_T2_jT3_P12ihipStream_tbPNSt15iterator_traitsISC_E10value_typeEPNSI_ISD_E10value_typeEPSE_NS1_7vsmem_tEENKUlT_SC_SD_SE_E_clIS7_S7_S7_S7_EESB_SR_SC_SD_SE_EUlSR_E1_NS1_11comp_targetILNS1_3genE5ELNS1_11target_archE942ELNS1_3gpuE9ELNS1_3repE0EEENS1_36merge_oddeven_config_static_selectorELNS0_4arch9wavefront6targetE1EEEvSD_
	.p2align	8
	.type	_ZN7rocprim17ROCPRIM_400000_NS6detail17trampoline_kernelINS0_14default_configENS1_38merge_sort_block_merge_config_selectorIiiEEZZNS1_27merge_sort_block_merge_implIS3_PiS7_jNS1_19radix_merge_compareILb0ELb0EiNS0_19identity_decomposerEEEEE10hipError_tT0_T1_T2_jT3_P12ihipStream_tbPNSt15iterator_traitsISC_E10value_typeEPNSI_ISD_E10value_typeEPSE_NS1_7vsmem_tEENKUlT_SC_SD_SE_E_clIS7_S7_S7_S7_EESB_SR_SC_SD_SE_EUlSR_E1_NS1_11comp_targetILNS1_3genE5ELNS1_11target_archE942ELNS1_3gpuE9ELNS1_3repE0EEENS1_36merge_oddeven_config_static_selectorELNS0_4arch9wavefront6targetE1EEEvSD_,@function
_ZN7rocprim17ROCPRIM_400000_NS6detail17trampoline_kernelINS0_14default_configENS1_38merge_sort_block_merge_config_selectorIiiEEZZNS1_27merge_sort_block_merge_implIS3_PiS7_jNS1_19radix_merge_compareILb0ELb0EiNS0_19identity_decomposerEEEEE10hipError_tT0_T1_T2_jT3_P12ihipStream_tbPNSt15iterator_traitsISC_E10value_typeEPNSI_ISD_E10value_typeEPSE_NS1_7vsmem_tEENKUlT_SC_SD_SE_E_clIS7_S7_S7_S7_EESB_SR_SC_SD_SE_EUlSR_E1_NS1_11comp_targetILNS1_3genE5ELNS1_11target_archE942ELNS1_3gpuE9ELNS1_3repE0EEENS1_36merge_oddeven_config_static_selectorELNS0_4arch9wavefront6targetE1EEEvSD_: ; @_ZN7rocprim17ROCPRIM_400000_NS6detail17trampoline_kernelINS0_14default_configENS1_38merge_sort_block_merge_config_selectorIiiEEZZNS1_27merge_sort_block_merge_implIS3_PiS7_jNS1_19radix_merge_compareILb0ELb0EiNS0_19identity_decomposerEEEEE10hipError_tT0_T1_T2_jT3_P12ihipStream_tbPNSt15iterator_traitsISC_E10value_typeEPNSI_ISD_E10value_typeEPSE_NS1_7vsmem_tEENKUlT_SC_SD_SE_E_clIS7_S7_S7_S7_EESB_SR_SC_SD_SE_EUlSR_E1_NS1_11comp_targetILNS1_3genE5ELNS1_11target_archE942ELNS1_3gpuE9ELNS1_3repE0EEENS1_36merge_oddeven_config_static_selectorELNS0_4arch9wavefront6targetE1EEEvSD_
; %bb.0:
	.section	.rodata,"a",@progbits
	.p2align	6, 0x0
	.amdhsa_kernel _ZN7rocprim17ROCPRIM_400000_NS6detail17trampoline_kernelINS0_14default_configENS1_38merge_sort_block_merge_config_selectorIiiEEZZNS1_27merge_sort_block_merge_implIS3_PiS7_jNS1_19radix_merge_compareILb0ELb0EiNS0_19identity_decomposerEEEEE10hipError_tT0_T1_T2_jT3_P12ihipStream_tbPNSt15iterator_traitsISC_E10value_typeEPNSI_ISD_E10value_typeEPSE_NS1_7vsmem_tEENKUlT_SC_SD_SE_E_clIS7_S7_S7_S7_EESB_SR_SC_SD_SE_EUlSR_E1_NS1_11comp_targetILNS1_3genE5ELNS1_11target_archE942ELNS1_3gpuE9ELNS1_3repE0EEENS1_36merge_oddeven_config_static_selectorELNS0_4arch9wavefront6targetE1EEEvSD_
		.amdhsa_group_segment_fixed_size 0
		.amdhsa_private_segment_fixed_size 0
		.amdhsa_kernarg_size 48
		.amdhsa_user_sgpr_count 6
		.amdhsa_user_sgpr_private_segment_buffer 1
		.amdhsa_user_sgpr_dispatch_ptr 0
		.amdhsa_user_sgpr_queue_ptr 0
		.amdhsa_user_sgpr_kernarg_segment_ptr 1
		.amdhsa_user_sgpr_dispatch_id 0
		.amdhsa_user_sgpr_flat_scratch_init 0
		.amdhsa_user_sgpr_kernarg_preload_length 0
		.amdhsa_user_sgpr_kernarg_preload_offset 0
		.amdhsa_user_sgpr_private_segment_size 0
		.amdhsa_uses_dynamic_stack 0
		.amdhsa_system_sgpr_private_segment_wavefront_offset 0
		.amdhsa_system_sgpr_workgroup_id_x 1
		.amdhsa_system_sgpr_workgroup_id_y 0
		.amdhsa_system_sgpr_workgroup_id_z 0
		.amdhsa_system_sgpr_workgroup_info 0
		.amdhsa_system_vgpr_workitem_id 0
		.amdhsa_next_free_vgpr 1
		.amdhsa_next_free_sgpr 0
		.amdhsa_accum_offset 4
		.amdhsa_reserve_vcc 0
		.amdhsa_reserve_flat_scratch 0
		.amdhsa_float_round_mode_32 0
		.amdhsa_float_round_mode_16_64 0
		.amdhsa_float_denorm_mode_32 3
		.amdhsa_float_denorm_mode_16_64 3
		.amdhsa_dx10_clamp 1
		.amdhsa_ieee_mode 1
		.amdhsa_fp16_overflow 0
		.amdhsa_tg_split 0
		.amdhsa_exception_fp_ieee_invalid_op 0
		.amdhsa_exception_fp_denorm_src 0
		.amdhsa_exception_fp_ieee_div_zero 0
		.amdhsa_exception_fp_ieee_overflow 0
		.amdhsa_exception_fp_ieee_underflow 0
		.amdhsa_exception_fp_ieee_inexact 0
		.amdhsa_exception_int_div_zero 0
	.end_amdhsa_kernel
	.section	.text._ZN7rocprim17ROCPRIM_400000_NS6detail17trampoline_kernelINS0_14default_configENS1_38merge_sort_block_merge_config_selectorIiiEEZZNS1_27merge_sort_block_merge_implIS3_PiS7_jNS1_19radix_merge_compareILb0ELb0EiNS0_19identity_decomposerEEEEE10hipError_tT0_T1_T2_jT3_P12ihipStream_tbPNSt15iterator_traitsISC_E10value_typeEPNSI_ISD_E10value_typeEPSE_NS1_7vsmem_tEENKUlT_SC_SD_SE_E_clIS7_S7_S7_S7_EESB_SR_SC_SD_SE_EUlSR_E1_NS1_11comp_targetILNS1_3genE5ELNS1_11target_archE942ELNS1_3gpuE9ELNS1_3repE0EEENS1_36merge_oddeven_config_static_selectorELNS0_4arch9wavefront6targetE1EEEvSD_,"axG",@progbits,_ZN7rocprim17ROCPRIM_400000_NS6detail17trampoline_kernelINS0_14default_configENS1_38merge_sort_block_merge_config_selectorIiiEEZZNS1_27merge_sort_block_merge_implIS3_PiS7_jNS1_19radix_merge_compareILb0ELb0EiNS0_19identity_decomposerEEEEE10hipError_tT0_T1_T2_jT3_P12ihipStream_tbPNSt15iterator_traitsISC_E10value_typeEPNSI_ISD_E10value_typeEPSE_NS1_7vsmem_tEENKUlT_SC_SD_SE_E_clIS7_S7_S7_S7_EESB_SR_SC_SD_SE_EUlSR_E1_NS1_11comp_targetILNS1_3genE5ELNS1_11target_archE942ELNS1_3gpuE9ELNS1_3repE0EEENS1_36merge_oddeven_config_static_selectorELNS0_4arch9wavefront6targetE1EEEvSD_,comdat
.Lfunc_end319:
	.size	_ZN7rocprim17ROCPRIM_400000_NS6detail17trampoline_kernelINS0_14default_configENS1_38merge_sort_block_merge_config_selectorIiiEEZZNS1_27merge_sort_block_merge_implIS3_PiS7_jNS1_19radix_merge_compareILb0ELb0EiNS0_19identity_decomposerEEEEE10hipError_tT0_T1_T2_jT3_P12ihipStream_tbPNSt15iterator_traitsISC_E10value_typeEPNSI_ISD_E10value_typeEPSE_NS1_7vsmem_tEENKUlT_SC_SD_SE_E_clIS7_S7_S7_S7_EESB_SR_SC_SD_SE_EUlSR_E1_NS1_11comp_targetILNS1_3genE5ELNS1_11target_archE942ELNS1_3gpuE9ELNS1_3repE0EEENS1_36merge_oddeven_config_static_selectorELNS0_4arch9wavefront6targetE1EEEvSD_, .Lfunc_end319-_ZN7rocprim17ROCPRIM_400000_NS6detail17trampoline_kernelINS0_14default_configENS1_38merge_sort_block_merge_config_selectorIiiEEZZNS1_27merge_sort_block_merge_implIS3_PiS7_jNS1_19radix_merge_compareILb0ELb0EiNS0_19identity_decomposerEEEEE10hipError_tT0_T1_T2_jT3_P12ihipStream_tbPNSt15iterator_traitsISC_E10value_typeEPNSI_ISD_E10value_typeEPSE_NS1_7vsmem_tEENKUlT_SC_SD_SE_E_clIS7_S7_S7_S7_EESB_SR_SC_SD_SE_EUlSR_E1_NS1_11comp_targetILNS1_3genE5ELNS1_11target_archE942ELNS1_3gpuE9ELNS1_3repE0EEENS1_36merge_oddeven_config_static_selectorELNS0_4arch9wavefront6targetE1EEEvSD_
                                        ; -- End function
	.section	.AMDGPU.csdata,"",@progbits
; Kernel info:
; codeLenInByte = 0
; NumSgprs: 4
; NumVgprs: 0
; NumAgprs: 0
; TotalNumVgprs: 0
; ScratchSize: 0
; MemoryBound: 0
; FloatMode: 240
; IeeeMode: 1
; LDSByteSize: 0 bytes/workgroup (compile time only)
; SGPRBlocks: 0
; VGPRBlocks: 0
; NumSGPRsForWavesPerEU: 4
; NumVGPRsForWavesPerEU: 1
; AccumOffset: 4
; Occupancy: 8
; WaveLimiterHint : 0
; COMPUTE_PGM_RSRC2:SCRATCH_EN: 0
; COMPUTE_PGM_RSRC2:USER_SGPR: 6
; COMPUTE_PGM_RSRC2:TRAP_HANDLER: 0
; COMPUTE_PGM_RSRC2:TGID_X_EN: 1
; COMPUTE_PGM_RSRC2:TGID_Y_EN: 0
; COMPUTE_PGM_RSRC2:TGID_Z_EN: 0
; COMPUTE_PGM_RSRC2:TIDIG_COMP_CNT: 0
; COMPUTE_PGM_RSRC3_GFX90A:ACCUM_OFFSET: 0
; COMPUTE_PGM_RSRC3_GFX90A:TG_SPLIT: 0
	.section	.text._ZN7rocprim17ROCPRIM_400000_NS6detail17trampoline_kernelINS0_14default_configENS1_38merge_sort_block_merge_config_selectorIiiEEZZNS1_27merge_sort_block_merge_implIS3_PiS7_jNS1_19radix_merge_compareILb0ELb0EiNS0_19identity_decomposerEEEEE10hipError_tT0_T1_T2_jT3_P12ihipStream_tbPNSt15iterator_traitsISC_E10value_typeEPNSI_ISD_E10value_typeEPSE_NS1_7vsmem_tEENKUlT_SC_SD_SE_E_clIS7_S7_S7_S7_EESB_SR_SC_SD_SE_EUlSR_E1_NS1_11comp_targetILNS1_3genE4ELNS1_11target_archE910ELNS1_3gpuE8ELNS1_3repE0EEENS1_36merge_oddeven_config_static_selectorELNS0_4arch9wavefront6targetE1EEEvSD_,"axG",@progbits,_ZN7rocprim17ROCPRIM_400000_NS6detail17trampoline_kernelINS0_14default_configENS1_38merge_sort_block_merge_config_selectorIiiEEZZNS1_27merge_sort_block_merge_implIS3_PiS7_jNS1_19radix_merge_compareILb0ELb0EiNS0_19identity_decomposerEEEEE10hipError_tT0_T1_T2_jT3_P12ihipStream_tbPNSt15iterator_traitsISC_E10value_typeEPNSI_ISD_E10value_typeEPSE_NS1_7vsmem_tEENKUlT_SC_SD_SE_E_clIS7_S7_S7_S7_EESB_SR_SC_SD_SE_EUlSR_E1_NS1_11comp_targetILNS1_3genE4ELNS1_11target_archE910ELNS1_3gpuE8ELNS1_3repE0EEENS1_36merge_oddeven_config_static_selectorELNS0_4arch9wavefront6targetE1EEEvSD_,comdat
	.protected	_ZN7rocprim17ROCPRIM_400000_NS6detail17trampoline_kernelINS0_14default_configENS1_38merge_sort_block_merge_config_selectorIiiEEZZNS1_27merge_sort_block_merge_implIS3_PiS7_jNS1_19radix_merge_compareILb0ELb0EiNS0_19identity_decomposerEEEEE10hipError_tT0_T1_T2_jT3_P12ihipStream_tbPNSt15iterator_traitsISC_E10value_typeEPNSI_ISD_E10value_typeEPSE_NS1_7vsmem_tEENKUlT_SC_SD_SE_E_clIS7_S7_S7_S7_EESB_SR_SC_SD_SE_EUlSR_E1_NS1_11comp_targetILNS1_3genE4ELNS1_11target_archE910ELNS1_3gpuE8ELNS1_3repE0EEENS1_36merge_oddeven_config_static_selectorELNS0_4arch9wavefront6targetE1EEEvSD_ ; -- Begin function _ZN7rocprim17ROCPRIM_400000_NS6detail17trampoline_kernelINS0_14default_configENS1_38merge_sort_block_merge_config_selectorIiiEEZZNS1_27merge_sort_block_merge_implIS3_PiS7_jNS1_19radix_merge_compareILb0ELb0EiNS0_19identity_decomposerEEEEE10hipError_tT0_T1_T2_jT3_P12ihipStream_tbPNSt15iterator_traitsISC_E10value_typeEPNSI_ISD_E10value_typeEPSE_NS1_7vsmem_tEENKUlT_SC_SD_SE_E_clIS7_S7_S7_S7_EESB_SR_SC_SD_SE_EUlSR_E1_NS1_11comp_targetILNS1_3genE4ELNS1_11target_archE910ELNS1_3gpuE8ELNS1_3repE0EEENS1_36merge_oddeven_config_static_selectorELNS0_4arch9wavefront6targetE1EEEvSD_
	.globl	_ZN7rocprim17ROCPRIM_400000_NS6detail17trampoline_kernelINS0_14default_configENS1_38merge_sort_block_merge_config_selectorIiiEEZZNS1_27merge_sort_block_merge_implIS3_PiS7_jNS1_19radix_merge_compareILb0ELb0EiNS0_19identity_decomposerEEEEE10hipError_tT0_T1_T2_jT3_P12ihipStream_tbPNSt15iterator_traitsISC_E10value_typeEPNSI_ISD_E10value_typeEPSE_NS1_7vsmem_tEENKUlT_SC_SD_SE_E_clIS7_S7_S7_S7_EESB_SR_SC_SD_SE_EUlSR_E1_NS1_11comp_targetILNS1_3genE4ELNS1_11target_archE910ELNS1_3gpuE8ELNS1_3repE0EEENS1_36merge_oddeven_config_static_selectorELNS0_4arch9wavefront6targetE1EEEvSD_
	.p2align	8
	.type	_ZN7rocprim17ROCPRIM_400000_NS6detail17trampoline_kernelINS0_14default_configENS1_38merge_sort_block_merge_config_selectorIiiEEZZNS1_27merge_sort_block_merge_implIS3_PiS7_jNS1_19radix_merge_compareILb0ELb0EiNS0_19identity_decomposerEEEEE10hipError_tT0_T1_T2_jT3_P12ihipStream_tbPNSt15iterator_traitsISC_E10value_typeEPNSI_ISD_E10value_typeEPSE_NS1_7vsmem_tEENKUlT_SC_SD_SE_E_clIS7_S7_S7_S7_EESB_SR_SC_SD_SE_EUlSR_E1_NS1_11comp_targetILNS1_3genE4ELNS1_11target_archE910ELNS1_3gpuE8ELNS1_3repE0EEENS1_36merge_oddeven_config_static_selectorELNS0_4arch9wavefront6targetE1EEEvSD_,@function
_ZN7rocprim17ROCPRIM_400000_NS6detail17trampoline_kernelINS0_14default_configENS1_38merge_sort_block_merge_config_selectorIiiEEZZNS1_27merge_sort_block_merge_implIS3_PiS7_jNS1_19radix_merge_compareILb0ELb0EiNS0_19identity_decomposerEEEEE10hipError_tT0_T1_T2_jT3_P12ihipStream_tbPNSt15iterator_traitsISC_E10value_typeEPNSI_ISD_E10value_typeEPSE_NS1_7vsmem_tEENKUlT_SC_SD_SE_E_clIS7_S7_S7_S7_EESB_SR_SC_SD_SE_EUlSR_E1_NS1_11comp_targetILNS1_3genE4ELNS1_11target_archE910ELNS1_3gpuE8ELNS1_3repE0EEENS1_36merge_oddeven_config_static_selectorELNS0_4arch9wavefront6targetE1EEEvSD_: ; @_ZN7rocprim17ROCPRIM_400000_NS6detail17trampoline_kernelINS0_14default_configENS1_38merge_sort_block_merge_config_selectorIiiEEZZNS1_27merge_sort_block_merge_implIS3_PiS7_jNS1_19radix_merge_compareILb0ELb0EiNS0_19identity_decomposerEEEEE10hipError_tT0_T1_T2_jT3_P12ihipStream_tbPNSt15iterator_traitsISC_E10value_typeEPNSI_ISD_E10value_typeEPSE_NS1_7vsmem_tEENKUlT_SC_SD_SE_E_clIS7_S7_S7_S7_EESB_SR_SC_SD_SE_EUlSR_E1_NS1_11comp_targetILNS1_3genE4ELNS1_11target_archE910ELNS1_3gpuE8ELNS1_3repE0EEENS1_36merge_oddeven_config_static_selectorELNS0_4arch9wavefront6targetE1EEEvSD_
; %bb.0:
	s_load_dword s20, s[4:5], 0x20
	s_waitcnt lgkmcnt(0)
	s_lshr_b32 s2, s20, 8
	s_cmp_lg_u32 s6, s2
	s_cselect_b64 s[0:1], -1, 0
	s_cmp_eq_u32 s6, s2
	s_cselect_b64 s[16:17], -1, 0
	s_lshl_b32 s18, s6, 8
	s_sub_i32 s2, s20, s18
	v_cmp_gt_u32_e64 s[2:3], s2, v0
	s_or_b64 s[0:1], s[0:1], s[2:3]
	s_and_saveexec_b64 s[8:9], s[0:1]
	s_cbranch_execz .LBB320_26
; %bb.1:
	s_load_dwordx8 s[8:15], s[4:5], 0x0
	s_mov_b32 s19, 0
	s_lshl_b64 s[0:1], s[18:19], 2
	v_lshlrev_b32_e32 v1, 2, v0
	s_load_dword s21, s[4:5], 0x24
	s_waitcnt lgkmcnt(0)
	s_add_u32 s22, s8, s0
	s_addc_u32 s23, s9, s1
	s_add_u32 s0, s12, s0
	s_addc_u32 s1, s13, s1
	global_load_dword v4, v1, s[0:1]
	global_load_dword v5, v1, s[22:23]
	s_lshr_b32 s0, s21, 8
	s_sub_i32 s1, 0, s0
	s_and_b32 s1, s6, s1
	s_and_b32 s0, s1, s0
	s_lshl_b32 s22, s1, 8
	s_sub_i32 s6, 0, s21
	s_cmp_eq_u32 s0, 0
	s_cselect_b64 s[0:1], -1, 0
	s_and_b64 s[4:5], s[0:1], exec
	s_cselect_b32 s19, s21, s6
	s_add_i32 s19, s19, s22
	s_cmp_lt_u32 s19, s20
	v_add_u32_e32 v2, s18, v0
	s_cbranch_scc1 .LBB320_6
; %bb.2:
	s_and_b64 vcc, exec, s[16:17]
	s_cbranch_vccz .LBB320_7
; %bb.3:
	v_cmp_gt_u32_e32 vcc, s20, v2
	s_mov_b64 s[6:7], 0
	s_mov_b64 s[4:5], 0
                                        ; implicit-def: $vgpr0_vgpr1
	s_and_saveexec_b64 s[12:13], vcc
	s_cbranch_execz .LBB320_5
; %bb.4:
	v_mov_b32_e32 v3, 0
	v_lshlrev_b64 v[6:7], 2, v[2:3]
	v_mov_b32_e32 v1, s15
	v_add_co_u32_e32 v0, vcc, s14, v6
	v_addc_co_u32_e32 v1, vcc, v1, v7, vcc
	v_mov_b32_e32 v3, s11
	v_add_co_u32_e32 v6, vcc, s10, v6
	s_mov_b64 s[4:5], exec
	v_addc_co_u32_e32 v7, vcc, v3, v7, vcc
	s_waitcnt vmcnt(0)
	global_store_dword v[6:7], v5, off
.LBB320_5:
	s_or_b64 exec, exec, s[12:13]
	s_and_b64 vcc, exec, s[6:7]
	s_cbranch_vccnz .LBB320_8
	s_branch .LBB320_9
.LBB320_6:
	s_mov_b64 s[4:5], 0
                                        ; implicit-def: $vgpr0_vgpr1
	s_cbranch_execnz .LBB320_10
	s_branch .LBB320_24
.LBB320_7:
	s_mov_b64 s[4:5], 0
                                        ; implicit-def: $vgpr0_vgpr1
	s_cbranch_execz .LBB320_9
.LBB320_8:
	v_mov_b32_e32 v3, 0
	v_lshlrev_b64 v[0:1], 2, v[2:3]
	v_mov_b32_e32 v3, s11
	v_add_co_u32_e32 v6, vcc, s10, v0
	v_addc_co_u32_e32 v7, vcc, v3, v1, vcc
	v_mov_b32_e32 v3, s15
	v_add_co_u32_e32 v0, vcc, s14, v0
	v_addc_co_u32_e32 v1, vcc, v3, v1, vcc
	s_or_b64 s[4:5], s[4:5], exec
	s_waitcnt vmcnt(0)
	global_store_dword v[6:7], v5, off
.LBB320_9:
	s_branch .LBB320_24
.LBB320_10:
	s_min_u32 s12, s19, s20
	s_add_i32 s6, s12, s21
	s_min_u32 s13, s6, s20
	s_min_u32 s6, s22, s12
	s_add_i32 s22, s22, s12
	v_subrev_u32_e32 v0, s22, v2
	v_add_u32_e32 v2, s6, v0
	s_and_b64 vcc, exec, s[16:17]
	s_cbranch_vccz .LBB320_18
; %bb.11:
                                        ; implicit-def: $vgpr0_vgpr1
	s_and_saveexec_b64 s[6:7], s[2:3]
	s_cbranch_execz .LBB320_17
; %bb.12:
	s_cmp_ge_u32 s19, s13
	v_mov_b32_e32 v3, s12
	s_cbranch_scc1 .LBB320_16
; %bb.13:
	s_mov_b64 s[2:3], 0
	v_mov_b32_e32 v6, s13
	v_mov_b32_e32 v3, s12
	;; [unrolled: 1-line block ×4, first 2 shown]
.LBB320_14:                             ; =>This Inner Loop Header: Depth=1
	v_add_u32_e32 v0, v3, v6
	v_lshrrev_b32_e32 v0, 1, v0
	v_lshlrev_b64 v[8:9], 2, v[0:1]
	v_add_co_u32_e32 v8, vcc, s8, v8
	v_addc_co_u32_e32 v9, vcc, v7, v9, vcc
	global_load_dword v8, v[8:9], off
	v_add_u32_e32 v9, 1, v0
	s_waitcnt vmcnt(0)
	v_cmp_gt_i32_e32 vcc, v5, v8
	v_cndmask_b32_e64 v10, 0, 1, vcc
	v_cmp_le_i32_e32 vcc, v8, v5
	v_cndmask_b32_e64 v8, 0, 1, vcc
	v_cndmask_b32_e64 v8, v8, v10, s[0:1]
	v_and_b32_e32 v8, 1, v8
	v_cmp_eq_u32_e32 vcc, 1, v8
	v_cndmask_b32_e32 v6, v0, v6, vcc
	v_cndmask_b32_e32 v3, v3, v9, vcc
	v_cmp_ge_u32_e32 vcc, v3, v6
	s_or_b64 s[2:3], vcc, s[2:3]
	s_andn2_b64 exec, exec, s[2:3]
	s_cbranch_execnz .LBB320_14
; %bb.15:
	s_or_b64 exec, exec, s[2:3]
.LBB320_16:
	v_add_u32_e32 v0, v3, v2
	v_mov_b32_e32 v1, 0
	v_lshlrev_b64 v[0:1], 2, v[0:1]
	v_mov_b32_e32 v3, s11
	v_add_co_u32_e32 v6, vcc, s10, v0
	v_addc_co_u32_e32 v7, vcc, v3, v1, vcc
	v_mov_b32_e32 v3, s15
	v_add_co_u32_e32 v0, vcc, s14, v0
	s_waitcnt vmcnt(0)
	global_store_dword v[6:7], v5, off
	v_addc_co_u32_e32 v1, vcc, v3, v1, vcc
	s_or_b64 s[4:5], s[4:5], exec
.LBB320_17:
	s_or_b64 exec, exec, s[6:7]
	s_branch .LBB320_24
.LBB320_18:
                                        ; implicit-def: $vgpr0_vgpr1
	s_cbranch_execz .LBB320_24
; %bb.19:
	s_cmp_ge_u32 s19, s13
	v_mov_b32_e32 v3, s12
	s_cbranch_scc1 .LBB320_23
; %bb.20:
	s_mov_b64 s[2:3], 0
	v_mov_b32_e32 v6, s13
	v_mov_b32_e32 v3, s12
	;; [unrolled: 1-line block ×4, first 2 shown]
.LBB320_21:                             ; =>This Inner Loop Header: Depth=1
	v_add_u32_e32 v0, v3, v6
	v_lshrrev_b32_e32 v0, 1, v0
	v_lshlrev_b64 v[8:9], 2, v[0:1]
	v_add_co_u32_e32 v8, vcc, s8, v8
	v_addc_co_u32_e32 v9, vcc, v7, v9, vcc
	global_load_dword v8, v[8:9], off
	v_add_u32_e32 v9, 1, v0
	s_waitcnt vmcnt(0)
	v_cmp_gt_i32_e32 vcc, v5, v8
	v_cndmask_b32_e64 v10, 0, 1, vcc
	v_cmp_le_i32_e32 vcc, v8, v5
	v_cndmask_b32_e64 v8, 0, 1, vcc
	v_cndmask_b32_e64 v8, v8, v10, s[0:1]
	v_and_b32_e32 v8, 1, v8
	v_cmp_eq_u32_e32 vcc, 1, v8
	v_cndmask_b32_e32 v6, v0, v6, vcc
	v_cndmask_b32_e32 v3, v3, v9, vcc
	v_cmp_ge_u32_e32 vcc, v3, v6
	s_or_b64 s[2:3], vcc, s[2:3]
	s_andn2_b64 exec, exec, s[2:3]
	s_cbranch_execnz .LBB320_21
; %bb.22:
	s_or_b64 exec, exec, s[2:3]
.LBB320_23:
	v_add_u32_e32 v0, v3, v2
	v_mov_b32_e32 v1, 0
	v_lshlrev_b64 v[0:1], 2, v[0:1]
	v_mov_b32_e32 v3, s11
	v_add_co_u32_e32 v2, vcc, s10, v0
	v_addc_co_u32_e32 v3, vcc, v3, v1, vcc
	s_waitcnt vmcnt(0)
	global_store_dword v[2:3], v5, off
	v_mov_b32_e32 v2, s15
	v_add_co_u32_e32 v0, vcc, s14, v0
	v_addc_co_u32_e32 v1, vcc, v2, v1, vcc
	s_mov_b64 s[4:5], -1
.LBB320_24:
	s_and_b64 exec, exec, s[4:5]
	s_cbranch_execz .LBB320_26
; %bb.25:
	s_waitcnt vmcnt(1)
	global_store_dword v[0:1], v4, off
.LBB320_26:
	s_endpgm
	.section	.rodata,"a",@progbits
	.p2align	6, 0x0
	.amdhsa_kernel _ZN7rocprim17ROCPRIM_400000_NS6detail17trampoline_kernelINS0_14default_configENS1_38merge_sort_block_merge_config_selectorIiiEEZZNS1_27merge_sort_block_merge_implIS3_PiS7_jNS1_19radix_merge_compareILb0ELb0EiNS0_19identity_decomposerEEEEE10hipError_tT0_T1_T2_jT3_P12ihipStream_tbPNSt15iterator_traitsISC_E10value_typeEPNSI_ISD_E10value_typeEPSE_NS1_7vsmem_tEENKUlT_SC_SD_SE_E_clIS7_S7_S7_S7_EESB_SR_SC_SD_SE_EUlSR_E1_NS1_11comp_targetILNS1_3genE4ELNS1_11target_archE910ELNS1_3gpuE8ELNS1_3repE0EEENS1_36merge_oddeven_config_static_selectorELNS0_4arch9wavefront6targetE1EEEvSD_
		.amdhsa_group_segment_fixed_size 0
		.amdhsa_private_segment_fixed_size 0
		.amdhsa_kernarg_size 48
		.amdhsa_user_sgpr_count 6
		.amdhsa_user_sgpr_private_segment_buffer 1
		.amdhsa_user_sgpr_dispatch_ptr 0
		.amdhsa_user_sgpr_queue_ptr 0
		.amdhsa_user_sgpr_kernarg_segment_ptr 1
		.amdhsa_user_sgpr_dispatch_id 0
		.amdhsa_user_sgpr_flat_scratch_init 0
		.amdhsa_user_sgpr_kernarg_preload_length 0
		.amdhsa_user_sgpr_kernarg_preload_offset 0
		.amdhsa_user_sgpr_private_segment_size 0
		.amdhsa_uses_dynamic_stack 0
		.amdhsa_system_sgpr_private_segment_wavefront_offset 0
		.amdhsa_system_sgpr_workgroup_id_x 1
		.amdhsa_system_sgpr_workgroup_id_y 0
		.amdhsa_system_sgpr_workgroup_id_z 0
		.amdhsa_system_sgpr_workgroup_info 0
		.amdhsa_system_vgpr_workitem_id 0
		.amdhsa_next_free_vgpr 11
		.amdhsa_next_free_sgpr 24
		.amdhsa_accum_offset 12
		.amdhsa_reserve_vcc 1
		.amdhsa_reserve_flat_scratch 0
		.amdhsa_float_round_mode_32 0
		.amdhsa_float_round_mode_16_64 0
		.amdhsa_float_denorm_mode_32 3
		.amdhsa_float_denorm_mode_16_64 3
		.amdhsa_dx10_clamp 1
		.amdhsa_ieee_mode 1
		.amdhsa_fp16_overflow 0
		.amdhsa_tg_split 0
		.amdhsa_exception_fp_ieee_invalid_op 0
		.amdhsa_exception_fp_denorm_src 0
		.amdhsa_exception_fp_ieee_div_zero 0
		.amdhsa_exception_fp_ieee_overflow 0
		.amdhsa_exception_fp_ieee_underflow 0
		.amdhsa_exception_fp_ieee_inexact 0
		.amdhsa_exception_int_div_zero 0
	.end_amdhsa_kernel
	.section	.text._ZN7rocprim17ROCPRIM_400000_NS6detail17trampoline_kernelINS0_14default_configENS1_38merge_sort_block_merge_config_selectorIiiEEZZNS1_27merge_sort_block_merge_implIS3_PiS7_jNS1_19radix_merge_compareILb0ELb0EiNS0_19identity_decomposerEEEEE10hipError_tT0_T1_T2_jT3_P12ihipStream_tbPNSt15iterator_traitsISC_E10value_typeEPNSI_ISD_E10value_typeEPSE_NS1_7vsmem_tEENKUlT_SC_SD_SE_E_clIS7_S7_S7_S7_EESB_SR_SC_SD_SE_EUlSR_E1_NS1_11comp_targetILNS1_3genE4ELNS1_11target_archE910ELNS1_3gpuE8ELNS1_3repE0EEENS1_36merge_oddeven_config_static_selectorELNS0_4arch9wavefront6targetE1EEEvSD_,"axG",@progbits,_ZN7rocprim17ROCPRIM_400000_NS6detail17trampoline_kernelINS0_14default_configENS1_38merge_sort_block_merge_config_selectorIiiEEZZNS1_27merge_sort_block_merge_implIS3_PiS7_jNS1_19radix_merge_compareILb0ELb0EiNS0_19identity_decomposerEEEEE10hipError_tT0_T1_T2_jT3_P12ihipStream_tbPNSt15iterator_traitsISC_E10value_typeEPNSI_ISD_E10value_typeEPSE_NS1_7vsmem_tEENKUlT_SC_SD_SE_E_clIS7_S7_S7_S7_EESB_SR_SC_SD_SE_EUlSR_E1_NS1_11comp_targetILNS1_3genE4ELNS1_11target_archE910ELNS1_3gpuE8ELNS1_3repE0EEENS1_36merge_oddeven_config_static_selectorELNS0_4arch9wavefront6targetE1EEEvSD_,comdat
.Lfunc_end320:
	.size	_ZN7rocprim17ROCPRIM_400000_NS6detail17trampoline_kernelINS0_14default_configENS1_38merge_sort_block_merge_config_selectorIiiEEZZNS1_27merge_sort_block_merge_implIS3_PiS7_jNS1_19radix_merge_compareILb0ELb0EiNS0_19identity_decomposerEEEEE10hipError_tT0_T1_T2_jT3_P12ihipStream_tbPNSt15iterator_traitsISC_E10value_typeEPNSI_ISD_E10value_typeEPSE_NS1_7vsmem_tEENKUlT_SC_SD_SE_E_clIS7_S7_S7_S7_EESB_SR_SC_SD_SE_EUlSR_E1_NS1_11comp_targetILNS1_3genE4ELNS1_11target_archE910ELNS1_3gpuE8ELNS1_3repE0EEENS1_36merge_oddeven_config_static_selectorELNS0_4arch9wavefront6targetE1EEEvSD_, .Lfunc_end320-_ZN7rocprim17ROCPRIM_400000_NS6detail17trampoline_kernelINS0_14default_configENS1_38merge_sort_block_merge_config_selectorIiiEEZZNS1_27merge_sort_block_merge_implIS3_PiS7_jNS1_19radix_merge_compareILb0ELb0EiNS0_19identity_decomposerEEEEE10hipError_tT0_T1_T2_jT3_P12ihipStream_tbPNSt15iterator_traitsISC_E10value_typeEPNSI_ISD_E10value_typeEPSE_NS1_7vsmem_tEENKUlT_SC_SD_SE_E_clIS7_S7_S7_S7_EESB_SR_SC_SD_SE_EUlSR_E1_NS1_11comp_targetILNS1_3genE4ELNS1_11target_archE910ELNS1_3gpuE8ELNS1_3repE0EEENS1_36merge_oddeven_config_static_selectorELNS0_4arch9wavefront6targetE1EEEvSD_
                                        ; -- End function
	.section	.AMDGPU.csdata,"",@progbits
; Kernel info:
; codeLenInByte = 824
; NumSgprs: 28
; NumVgprs: 11
; NumAgprs: 0
; TotalNumVgprs: 11
; ScratchSize: 0
; MemoryBound: 0
; FloatMode: 240
; IeeeMode: 1
; LDSByteSize: 0 bytes/workgroup (compile time only)
; SGPRBlocks: 3
; VGPRBlocks: 1
; NumSGPRsForWavesPerEU: 28
; NumVGPRsForWavesPerEU: 11
; AccumOffset: 12
; Occupancy: 8
; WaveLimiterHint : 0
; COMPUTE_PGM_RSRC2:SCRATCH_EN: 0
; COMPUTE_PGM_RSRC2:USER_SGPR: 6
; COMPUTE_PGM_RSRC2:TRAP_HANDLER: 0
; COMPUTE_PGM_RSRC2:TGID_X_EN: 1
; COMPUTE_PGM_RSRC2:TGID_Y_EN: 0
; COMPUTE_PGM_RSRC2:TGID_Z_EN: 0
; COMPUTE_PGM_RSRC2:TIDIG_COMP_CNT: 0
; COMPUTE_PGM_RSRC3_GFX90A:ACCUM_OFFSET: 2
; COMPUTE_PGM_RSRC3_GFX90A:TG_SPLIT: 0
	.section	.text._ZN7rocprim17ROCPRIM_400000_NS6detail17trampoline_kernelINS0_14default_configENS1_38merge_sort_block_merge_config_selectorIiiEEZZNS1_27merge_sort_block_merge_implIS3_PiS7_jNS1_19radix_merge_compareILb0ELb0EiNS0_19identity_decomposerEEEEE10hipError_tT0_T1_T2_jT3_P12ihipStream_tbPNSt15iterator_traitsISC_E10value_typeEPNSI_ISD_E10value_typeEPSE_NS1_7vsmem_tEENKUlT_SC_SD_SE_E_clIS7_S7_S7_S7_EESB_SR_SC_SD_SE_EUlSR_E1_NS1_11comp_targetILNS1_3genE3ELNS1_11target_archE908ELNS1_3gpuE7ELNS1_3repE0EEENS1_36merge_oddeven_config_static_selectorELNS0_4arch9wavefront6targetE1EEEvSD_,"axG",@progbits,_ZN7rocprim17ROCPRIM_400000_NS6detail17trampoline_kernelINS0_14default_configENS1_38merge_sort_block_merge_config_selectorIiiEEZZNS1_27merge_sort_block_merge_implIS3_PiS7_jNS1_19radix_merge_compareILb0ELb0EiNS0_19identity_decomposerEEEEE10hipError_tT0_T1_T2_jT3_P12ihipStream_tbPNSt15iterator_traitsISC_E10value_typeEPNSI_ISD_E10value_typeEPSE_NS1_7vsmem_tEENKUlT_SC_SD_SE_E_clIS7_S7_S7_S7_EESB_SR_SC_SD_SE_EUlSR_E1_NS1_11comp_targetILNS1_3genE3ELNS1_11target_archE908ELNS1_3gpuE7ELNS1_3repE0EEENS1_36merge_oddeven_config_static_selectorELNS0_4arch9wavefront6targetE1EEEvSD_,comdat
	.protected	_ZN7rocprim17ROCPRIM_400000_NS6detail17trampoline_kernelINS0_14default_configENS1_38merge_sort_block_merge_config_selectorIiiEEZZNS1_27merge_sort_block_merge_implIS3_PiS7_jNS1_19radix_merge_compareILb0ELb0EiNS0_19identity_decomposerEEEEE10hipError_tT0_T1_T2_jT3_P12ihipStream_tbPNSt15iterator_traitsISC_E10value_typeEPNSI_ISD_E10value_typeEPSE_NS1_7vsmem_tEENKUlT_SC_SD_SE_E_clIS7_S7_S7_S7_EESB_SR_SC_SD_SE_EUlSR_E1_NS1_11comp_targetILNS1_3genE3ELNS1_11target_archE908ELNS1_3gpuE7ELNS1_3repE0EEENS1_36merge_oddeven_config_static_selectorELNS0_4arch9wavefront6targetE1EEEvSD_ ; -- Begin function _ZN7rocprim17ROCPRIM_400000_NS6detail17trampoline_kernelINS0_14default_configENS1_38merge_sort_block_merge_config_selectorIiiEEZZNS1_27merge_sort_block_merge_implIS3_PiS7_jNS1_19radix_merge_compareILb0ELb0EiNS0_19identity_decomposerEEEEE10hipError_tT0_T1_T2_jT3_P12ihipStream_tbPNSt15iterator_traitsISC_E10value_typeEPNSI_ISD_E10value_typeEPSE_NS1_7vsmem_tEENKUlT_SC_SD_SE_E_clIS7_S7_S7_S7_EESB_SR_SC_SD_SE_EUlSR_E1_NS1_11comp_targetILNS1_3genE3ELNS1_11target_archE908ELNS1_3gpuE7ELNS1_3repE0EEENS1_36merge_oddeven_config_static_selectorELNS0_4arch9wavefront6targetE1EEEvSD_
	.globl	_ZN7rocprim17ROCPRIM_400000_NS6detail17trampoline_kernelINS0_14default_configENS1_38merge_sort_block_merge_config_selectorIiiEEZZNS1_27merge_sort_block_merge_implIS3_PiS7_jNS1_19radix_merge_compareILb0ELb0EiNS0_19identity_decomposerEEEEE10hipError_tT0_T1_T2_jT3_P12ihipStream_tbPNSt15iterator_traitsISC_E10value_typeEPNSI_ISD_E10value_typeEPSE_NS1_7vsmem_tEENKUlT_SC_SD_SE_E_clIS7_S7_S7_S7_EESB_SR_SC_SD_SE_EUlSR_E1_NS1_11comp_targetILNS1_3genE3ELNS1_11target_archE908ELNS1_3gpuE7ELNS1_3repE0EEENS1_36merge_oddeven_config_static_selectorELNS0_4arch9wavefront6targetE1EEEvSD_
	.p2align	8
	.type	_ZN7rocprim17ROCPRIM_400000_NS6detail17trampoline_kernelINS0_14default_configENS1_38merge_sort_block_merge_config_selectorIiiEEZZNS1_27merge_sort_block_merge_implIS3_PiS7_jNS1_19radix_merge_compareILb0ELb0EiNS0_19identity_decomposerEEEEE10hipError_tT0_T1_T2_jT3_P12ihipStream_tbPNSt15iterator_traitsISC_E10value_typeEPNSI_ISD_E10value_typeEPSE_NS1_7vsmem_tEENKUlT_SC_SD_SE_E_clIS7_S7_S7_S7_EESB_SR_SC_SD_SE_EUlSR_E1_NS1_11comp_targetILNS1_3genE3ELNS1_11target_archE908ELNS1_3gpuE7ELNS1_3repE0EEENS1_36merge_oddeven_config_static_selectorELNS0_4arch9wavefront6targetE1EEEvSD_,@function
_ZN7rocprim17ROCPRIM_400000_NS6detail17trampoline_kernelINS0_14default_configENS1_38merge_sort_block_merge_config_selectorIiiEEZZNS1_27merge_sort_block_merge_implIS3_PiS7_jNS1_19radix_merge_compareILb0ELb0EiNS0_19identity_decomposerEEEEE10hipError_tT0_T1_T2_jT3_P12ihipStream_tbPNSt15iterator_traitsISC_E10value_typeEPNSI_ISD_E10value_typeEPSE_NS1_7vsmem_tEENKUlT_SC_SD_SE_E_clIS7_S7_S7_S7_EESB_SR_SC_SD_SE_EUlSR_E1_NS1_11comp_targetILNS1_3genE3ELNS1_11target_archE908ELNS1_3gpuE7ELNS1_3repE0EEENS1_36merge_oddeven_config_static_selectorELNS0_4arch9wavefront6targetE1EEEvSD_: ; @_ZN7rocprim17ROCPRIM_400000_NS6detail17trampoline_kernelINS0_14default_configENS1_38merge_sort_block_merge_config_selectorIiiEEZZNS1_27merge_sort_block_merge_implIS3_PiS7_jNS1_19radix_merge_compareILb0ELb0EiNS0_19identity_decomposerEEEEE10hipError_tT0_T1_T2_jT3_P12ihipStream_tbPNSt15iterator_traitsISC_E10value_typeEPNSI_ISD_E10value_typeEPSE_NS1_7vsmem_tEENKUlT_SC_SD_SE_E_clIS7_S7_S7_S7_EESB_SR_SC_SD_SE_EUlSR_E1_NS1_11comp_targetILNS1_3genE3ELNS1_11target_archE908ELNS1_3gpuE7ELNS1_3repE0EEENS1_36merge_oddeven_config_static_selectorELNS0_4arch9wavefront6targetE1EEEvSD_
; %bb.0:
	.section	.rodata,"a",@progbits
	.p2align	6, 0x0
	.amdhsa_kernel _ZN7rocprim17ROCPRIM_400000_NS6detail17trampoline_kernelINS0_14default_configENS1_38merge_sort_block_merge_config_selectorIiiEEZZNS1_27merge_sort_block_merge_implIS3_PiS7_jNS1_19radix_merge_compareILb0ELb0EiNS0_19identity_decomposerEEEEE10hipError_tT0_T1_T2_jT3_P12ihipStream_tbPNSt15iterator_traitsISC_E10value_typeEPNSI_ISD_E10value_typeEPSE_NS1_7vsmem_tEENKUlT_SC_SD_SE_E_clIS7_S7_S7_S7_EESB_SR_SC_SD_SE_EUlSR_E1_NS1_11comp_targetILNS1_3genE3ELNS1_11target_archE908ELNS1_3gpuE7ELNS1_3repE0EEENS1_36merge_oddeven_config_static_selectorELNS0_4arch9wavefront6targetE1EEEvSD_
		.amdhsa_group_segment_fixed_size 0
		.amdhsa_private_segment_fixed_size 0
		.amdhsa_kernarg_size 48
		.amdhsa_user_sgpr_count 6
		.amdhsa_user_sgpr_private_segment_buffer 1
		.amdhsa_user_sgpr_dispatch_ptr 0
		.amdhsa_user_sgpr_queue_ptr 0
		.amdhsa_user_sgpr_kernarg_segment_ptr 1
		.amdhsa_user_sgpr_dispatch_id 0
		.amdhsa_user_sgpr_flat_scratch_init 0
		.amdhsa_user_sgpr_kernarg_preload_length 0
		.amdhsa_user_sgpr_kernarg_preload_offset 0
		.amdhsa_user_sgpr_private_segment_size 0
		.amdhsa_uses_dynamic_stack 0
		.amdhsa_system_sgpr_private_segment_wavefront_offset 0
		.amdhsa_system_sgpr_workgroup_id_x 1
		.amdhsa_system_sgpr_workgroup_id_y 0
		.amdhsa_system_sgpr_workgroup_id_z 0
		.amdhsa_system_sgpr_workgroup_info 0
		.amdhsa_system_vgpr_workitem_id 0
		.amdhsa_next_free_vgpr 1
		.amdhsa_next_free_sgpr 0
		.amdhsa_accum_offset 4
		.amdhsa_reserve_vcc 0
		.amdhsa_reserve_flat_scratch 0
		.amdhsa_float_round_mode_32 0
		.amdhsa_float_round_mode_16_64 0
		.amdhsa_float_denorm_mode_32 3
		.amdhsa_float_denorm_mode_16_64 3
		.amdhsa_dx10_clamp 1
		.amdhsa_ieee_mode 1
		.amdhsa_fp16_overflow 0
		.amdhsa_tg_split 0
		.amdhsa_exception_fp_ieee_invalid_op 0
		.amdhsa_exception_fp_denorm_src 0
		.amdhsa_exception_fp_ieee_div_zero 0
		.amdhsa_exception_fp_ieee_overflow 0
		.amdhsa_exception_fp_ieee_underflow 0
		.amdhsa_exception_fp_ieee_inexact 0
		.amdhsa_exception_int_div_zero 0
	.end_amdhsa_kernel
	.section	.text._ZN7rocprim17ROCPRIM_400000_NS6detail17trampoline_kernelINS0_14default_configENS1_38merge_sort_block_merge_config_selectorIiiEEZZNS1_27merge_sort_block_merge_implIS3_PiS7_jNS1_19radix_merge_compareILb0ELb0EiNS0_19identity_decomposerEEEEE10hipError_tT0_T1_T2_jT3_P12ihipStream_tbPNSt15iterator_traitsISC_E10value_typeEPNSI_ISD_E10value_typeEPSE_NS1_7vsmem_tEENKUlT_SC_SD_SE_E_clIS7_S7_S7_S7_EESB_SR_SC_SD_SE_EUlSR_E1_NS1_11comp_targetILNS1_3genE3ELNS1_11target_archE908ELNS1_3gpuE7ELNS1_3repE0EEENS1_36merge_oddeven_config_static_selectorELNS0_4arch9wavefront6targetE1EEEvSD_,"axG",@progbits,_ZN7rocprim17ROCPRIM_400000_NS6detail17trampoline_kernelINS0_14default_configENS1_38merge_sort_block_merge_config_selectorIiiEEZZNS1_27merge_sort_block_merge_implIS3_PiS7_jNS1_19radix_merge_compareILb0ELb0EiNS0_19identity_decomposerEEEEE10hipError_tT0_T1_T2_jT3_P12ihipStream_tbPNSt15iterator_traitsISC_E10value_typeEPNSI_ISD_E10value_typeEPSE_NS1_7vsmem_tEENKUlT_SC_SD_SE_E_clIS7_S7_S7_S7_EESB_SR_SC_SD_SE_EUlSR_E1_NS1_11comp_targetILNS1_3genE3ELNS1_11target_archE908ELNS1_3gpuE7ELNS1_3repE0EEENS1_36merge_oddeven_config_static_selectorELNS0_4arch9wavefront6targetE1EEEvSD_,comdat
.Lfunc_end321:
	.size	_ZN7rocprim17ROCPRIM_400000_NS6detail17trampoline_kernelINS0_14default_configENS1_38merge_sort_block_merge_config_selectorIiiEEZZNS1_27merge_sort_block_merge_implIS3_PiS7_jNS1_19radix_merge_compareILb0ELb0EiNS0_19identity_decomposerEEEEE10hipError_tT0_T1_T2_jT3_P12ihipStream_tbPNSt15iterator_traitsISC_E10value_typeEPNSI_ISD_E10value_typeEPSE_NS1_7vsmem_tEENKUlT_SC_SD_SE_E_clIS7_S7_S7_S7_EESB_SR_SC_SD_SE_EUlSR_E1_NS1_11comp_targetILNS1_3genE3ELNS1_11target_archE908ELNS1_3gpuE7ELNS1_3repE0EEENS1_36merge_oddeven_config_static_selectorELNS0_4arch9wavefront6targetE1EEEvSD_, .Lfunc_end321-_ZN7rocprim17ROCPRIM_400000_NS6detail17trampoline_kernelINS0_14default_configENS1_38merge_sort_block_merge_config_selectorIiiEEZZNS1_27merge_sort_block_merge_implIS3_PiS7_jNS1_19radix_merge_compareILb0ELb0EiNS0_19identity_decomposerEEEEE10hipError_tT0_T1_T2_jT3_P12ihipStream_tbPNSt15iterator_traitsISC_E10value_typeEPNSI_ISD_E10value_typeEPSE_NS1_7vsmem_tEENKUlT_SC_SD_SE_E_clIS7_S7_S7_S7_EESB_SR_SC_SD_SE_EUlSR_E1_NS1_11comp_targetILNS1_3genE3ELNS1_11target_archE908ELNS1_3gpuE7ELNS1_3repE0EEENS1_36merge_oddeven_config_static_selectorELNS0_4arch9wavefront6targetE1EEEvSD_
                                        ; -- End function
	.section	.AMDGPU.csdata,"",@progbits
; Kernel info:
; codeLenInByte = 0
; NumSgprs: 4
; NumVgprs: 0
; NumAgprs: 0
; TotalNumVgprs: 0
; ScratchSize: 0
; MemoryBound: 0
; FloatMode: 240
; IeeeMode: 1
; LDSByteSize: 0 bytes/workgroup (compile time only)
; SGPRBlocks: 0
; VGPRBlocks: 0
; NumSGPRsForWavesPerEU: 4
; NumVGPRsForWavesPerEU: 1
; AccumOffset: 4
; Occupancy: 8
; WaveLimiterHint : 0
; COMPUTE_PGM_RSRC2:SCRATCH_EN: 0
; COMPUTE_PGM_RSRC2:USER_SGPR: 6
; COMPUTE_PGM_RSRC2:TRAP_HANDLER: 0
; COMPUTE_PGM_RSRC2:TGID_X_EN: 1
; COMPUTE_PGM_RSRC2:TGID_Y_EN: 0
; COMPUTE_PGM_RSRC2:TGID_Z_EN: 0
; COMPUTE_PGM_RSRC2:TIDIG_COMP_CNT: 0
; COMPUTE_PGM_RSRC3_GFX90A:ACCUM_OFFSET: 0
; COMPUTE_PGM_RSRC3_GFX90A:TG_SPLIT: 0
	.section	.text._ZN7rocprim17ROCPRIM_400000_NS6detail17trampoline_kernelINS0_14default_configENS1_38merge_sort_block_merge_config_selectorIiiEEZZNS1_27merge_sort_block_merge_implIS3_PiS7_jNS1_19radix_merge_compareILb0ELb0EiNS0_19identity_decomposerEEEEE10hipError_tT0_T1_T2_jT3_P12ihipStream_tbPNSt15iterator_traitsISC_E10value_typeEPNSI_ISD_E10value_typeEPSE_NS1_7vsmem_tEENKUlT_SC_SD_SE_E_clIS7_S7_S7_S7_EESB_SR_SC_SD_SE_EUlSR_E1_NS1_11comp_targetILNS1_3genE2ELNS1_11target_archE906ELNS1_3gpuE6ELNS1_3repE0EEENS1_36merge_oddeven_config_static_selectorELNS0_4arch9wavefront6targetE1EEEvSD_,"axG",@progbits,_ZN7rocprim17ROCPRIM_400000_NS6detail17trampoline_kernelINS0_14default_configENS1_38merge_sort_block_merge_config_selectorIiiEEZZNS1_27merge_sort_block_merge_implIS3_PiS7_jNS1_19radix_merge_compareILb0ELb0EiNS0_19identity_decomposerEEEEE10hipError_tT0_T1_T2_jT3_P12ihipStream_tbPNSt15iterator_traitsISC_E10value_typeEPNSI_ISD_E10value_typeEPSE_NS1_7vsmem_tEENKUlT_SC_SD_SE_E_clIS7_S7_S7_S7_EESB_SR_SC_SD_SE_EUlSR_E1_NS1_11comp_targetILNS1_3genE2ELNS1_11target_archE906ELNS1_3gpuE6ELNS1_3repE0EEENS1_36merge_oddeven_config_static_selectorELNS0_4arch9wavefront6targetE1EEEvSD_,comdat
	.protected	_ZN7rocprim17ROCPRIM_400000_NS6detail17trampoline_kernelINS0_14default_configENS1_38merge_sort_block_merge_config_selectorIiiEEZZNS1_27merge_sort_block_merge_implIS3_PiS7_jNS1_19radix_merge_compareILb0ELb0EiNS0_19identity_decomposerEEEEE10hipError_tT0_T1_T2_jT3_P12ihipStream_tbPNSt15iterator_traitsISC_E10value_typeEPNSI_ISD_E10value_typeEPSE_NS1_7vsmem_tEENKUlT_SC_SD_SE_E_clIS7_S7_S7_S7_EESB_SR_SC_SD_SE_EUlSR_E1_NS1_11comp_targetILNS1_3genE2ELNS1_11target_archE906ELNS1_3gpuE6ELNS1_3repE0EEENS1_36merge_oddeven_config_static_selectorELNS0_4arch9wavefront6targetE1EEEvSD_ ; -- Begin function _ZN7rocprim17ROCPRIM_400000_NS6detail17trampoline_kernelINS0_14default_configENS1_38merge_sort_block_merge_config_selectorIiiEEZZNS1_27merge_sort_block_merge_implIS3_PiS7_jNS1_19radix_merge_compareILb0ELb0EiNS0_19identity_decomposerEEEEE10hipError_tT0_T1_T2_jT3_P12ihipStream_tbPNSt15iterator_traitsISC_E10value_typeEPNSI_ISD_E10value_typeEPSE_NS1_7vsmem_tEENKUlT_SC_SD_SE_E_clIS7_S7_S7_S7_EESB_SR_SC_SD_SE_EUlSR_E1_NS1_11comp_targetILNS1_3genE2ELNS1_11target_archE906ELNS1_3gpuE6ELNS1_3repE0EEENS1_36merge_oddeven_config_static_selectorELNS0_4arch9wavefront6targetE1EEEvSD_
	.globl	_ZN7rocprim17ROCPRIM_400000_NS6detail17trampoline_kernelINS0_14default_configENS1_38merge_sort_block_merge_config_selectorIiiEEZZNS1_27merge_sort_block_merge_implIS3_PiS7_jNS1_19radix_merge_compareILb0ELb0EiNS0_19identity_decomposerEEEEE10hipError_tT0_T1_T2_jT3_P12ihipStream_tbPNSt15iterator_traitsISC_E10value_typeEPNSI_ISD_E10value_typeEPSE_NS1_7vsmem_tEENKUlT_SC_SD_SE_E_clIS7_S7_S7_S7_EESB_SR_SC_SD_SE_EUlSR_E1_NS1_11comp_targetILNS1_3genE2ELNS1_11target_archE906ELNS1_3gpuE6ELNS1_3repE0EEENS1_36merge_oddeven_config_static_selectorELNS0_4arch9wavefront6targetE1EEEvSD_
	.p2align	8
	.type	_ZN7rocprim17ROCPRIM_400000_NS6detail17trampoline_kernelINS0_14default_configENS1_38merge_sort_block_merge_config_selectorIiiEEZZNS1_27merge_sort_block_merge_implIS3_PiS7_jNS1_19radix_merge_compareILb0ELb0EiNS0_19identity_decomposerEEEEE10hipError_tT0_T1_T2_jT3_P12ihipStream_tbPNSt15iterator_traitsISC_E10value_typeEPNSI_ISD_E10value_typeEPSE_NS1_7vsmem_tEENKUlT_SC_SD_SE_E_clIS7_S7_S7_S7_EESB_SR_SC_SD_SE_EUlSR_E1_NS1_11comp_targetILNS1_3genE2ELNS1_11target_archE906ELNS1_3gpuE6ELNS1_3repE0EEENS1_36merge_oddeven_config_static_selectorELNS0_4arch9wavefront6targetE1EEEvSD_,@function
_ZN7rocprim17ROCPRIM_400000_NS6detail17trampoline_kernelINS0_14default_configENS1_38merge_sort_block_merge_config_selectorIiiEEZZNS1_27merge_sort_block_merge_implIS3_PiS7_jNS1_19radix_merge_compareILb0ELb0EiNS0_19identity_decomposerEEEEE10hipError_tT0_T1_T2_jT3_P12ihipStream_tbPNSt15iterator_traitsISC_E10value_typeEPNSI_ISD_E10value_typeEPSE_NS1_7vsmem_tEENKUlT_SC_SD_SE_E_clIS7_S7_S7_S7_EESB_SR_SC_SD_SE_EUlSR_E1_NS1_11comp_targetILNS1_3genE2ELNS1_11target_archE906ELNS1_3gpuE6ELNS1_3repE0EEENS1_36merge_oddeven_config_static_selectorELNS0_4arch9wavefront6targetE1EEEvSD_: ; @_ZN7rocprim17ROCPRIM_400000_NS6detail17trampoline_kernelINS0_14default_configENS1_38merge_sort_block_merge_config_selectorIiiEEZZNS1_27merge_sort_block_merge_implIS3_PiS7_jNS1_19radix_merge_compareILb0ELb0EiNS0_19identity_decomposerEEEEE10hipError_tT0_T1_T2_jT3_P12ihipStream_tbPNSt15iterator_traitsISC_E10value_typeEPNSI_ISD_E10value_typeEPSE_NS1_7vsmem_tEENKUlT_SC_SD_SE_E_clIS7_S7_S7_S7_EESB_SR_SC_SD_SE_EUlSR_E1_NS1_11comp_targetILNS1_3genE2ELNS1_11target_archE906ELNS1_3gpuE6ELNS1_3repE0EEENS1_36merge_oddeven_config_static_selectorELNS0_4arch9wavefront6targetE1EEEvSD_
; %bb.0:
	.section	.rodata,"a",@progbits
	.p2align	6, 0x0
	.amdhsa_kernel _ZN7rocprim17ROCPRIM_400000_NS6detail17trampoline_kernelINS0_14default_configENS1_38merge_sort_block_merge_config_selectorIiiEEZZNS1_27merge_sort_block_merge_implIS3_PiS7_jNS1_19radix_merge_compareILb0ELb0EiNS0_19identity_decomposerEEEEE10hipError_tT0_T1_T2_jT3_P12ihipStream_tbPNSt15iterator_traitsISC_E10value_typeEPNSI_ISD_E10value_typeEPSE_NS1_7vsmem_tEENKUlT_SC_SD_SE_E_clIS7_S7_S7_S7_EESB_SR_SC_SD_SE_EUlSR_E1_NS1_11comp_targetILNS1_3genE2ELNS1_11target_archE906ELNS1_3gpuE6ELNS1_3repE0EEENS1_36merge_oddeven_config_static_selectorELNS0_4arch9wavefront6targetE1EEEvSD_
		.amdhsa_group_segment_fixed_size 0
		.amdhsa_private_segment_fixed_size 0
		.amdhsa_kernarg_size 48
		.amdhsa_user_sgpr_count 6
		.amdhsa_user_sgpr_private_segment_buffer 1
		.amdhsa_user_sgpr_dispatch_ptr 0
		.amdhsa_user_sgpr_queue_ptr 0
		.amdhsa_user_sgpr_kernarg_segment_ptr 1
		.amdhsa_user_sgpr_dispatch_id 0
		.amdhsa_user_sgpr_flat_scratch_init 0
		.amdhsa_user_sgpr_kernarg_preload_length 0
		.amdhsa_user_sgpr_kernarg_preload_offset 0
		.amdhsa_user_sgpr_private_segment_size 0
		.amdhsa_uses_dynamic_stack 0
		.amdhsa_system_sgpr_private_segment_wavefront_offset 0
		.amdhsa_system_sgpr_workgroup_id_x 1
		.amdhsa_system_sgpr_workgroup_id_y 0
		.amdhsa_system_sgpr_workgroup_id_z 0
		.amdhsa_system_sgpr_workgroup_info 0
		.amdhsa_system_vgpr_workitem_id 0
		.amdhsa_next_free_vgpr 1
		.amdhsa_next_free_sgpr 0
		.amdhsa_accum_offset 4
		.amdhsa_reserve_vcc 0
		.amdhsa_reserve_flat_scratch 0
		.amdhsa_float_round_mode_32 0
		.amdhsa_float_round_mode_16_64 0
		.amdhsa_float_denorm_mode_32 3
		.amdhsa_float_denorm_mode_16_64 3
		.amdhsa_dx10_clamp 1
		.amdhsa_ieee_mode 1
		.amdhsa_fp16_overflow 0
		.amdhsa_tg_split 0
		.amdhsa_exception_fp_ieee_invalid_op 0
		.amdhsa_exception_fp_denorm_src 0
		.amdhsa_exception_fp_ieee_div_zero 0
		.amdhsa_exception_fp_ieee_overflow 0
		.amdhsa_exception_fp_ieee_underflow 0
		.amdhsa_exception_fp_ieee_inexact 0
		.amdhsa_exception_int_div_zero 0
	.end_amdhsa_kernel
	.section	.text._ZN7rocprim17ROCPRIM_400000_NS6detail17trampoline_kernelINS0_14default_configENS1_38merge_sort_block_merge_config_selectorIiiEEZZNS1_27merge_sort_block_merge_implIS3_PiS7_jNS1_19radix_merge_compareILb0ELb0EiNS0_19identity_decomposerEEEEE10hipError_tT0_T1_T2_jT3_P12ihipStream_tbPNSt15iterator_traitsISC_E10value_typeEPNSI_ISD_E10value_typeEPSE_NS1_7vsmem_tEENKUlT_SC_SD_SE_E_clIS7_S7_S7_S7_EESB_SR_SC_SD_SE_EUlSR_E1_NS1_11comp_targetILNS1_3genE2ELNS1_11target_archE906ELNS1_3gpuE6ELNS1_3repE0EEENS1_36merge_oddeven_config_static_selectorELNS0_4arch9wavefront6targetE1EEEvSD_,"axG",@progbits,_ZN7rocprim17ROCPRIM_400000_NS6detail17trampoline_kernelINS0_14default_configENS1_38merge_sort_block_merge_config_selectorIiiEEZZNS1_27merge_sort_block_merge_implIS3_PiS7_jNS1_19radix_merge_compareILb0ELb0EiNS0_19identity_decomposerEEEEE10hipError_tT0_T1_T2_jT3_P12ihipStream_tbPNSt15iterator_traitsISC_E10value_typeEPNSI_ISD_E10value_typeEPSE_NS1_7vsmem_tEENKUlT_SC_SD_SE_E_clIS7_S7_S7_S7_EESB_SR_SC_SD_SE_EUlSR_E1_NS1_11comp_targetILNS1_3genE2ELNS1_11target_archE906ELNS1_3gpuE6ELNS1_3repE0EEENS1_36merge_oddeven_config_static_selectorELNS0_4arch9wavefront6targetE1EEEvSD_,comdat
.Lfunc_end322:
	.size	_ZN7rocprim17ROCPRIM_400000_NS6detail17trampoline_kernelINS0_14default_configENS1_38merge_sort_block_merge_config_selectorIiiEEZZNS1_27merge_sort_block_merge_implIS3_PiS7_jNS1_19radix_merge_compareILb0ELb0EiNS0_19identity_decomposerEEEEE10hipError_tT0_T1_T2_jT3_P12ihipStream_tbPNSt15iterator_traitsISC_E10value_typeEPNSI_ISD_E10value_typeEPSE_NS1_7vsmem_tEENKUlT_SC_SD_SE_E_clIS7_S7_S7_S7_EESB_SR_SC_SD_SE_EUlSR_E1_NS1_11comp_targetILNS1_3genE2ELNS1_11target_archE906ELNS1_3gpuE6ELNS1_3repE0EEENS1_36merge_oddeven_config_static_selectorELNS0_4arch9wavefront6targetE1EEEvSD_, .Lfunc_end322-_ZN7rocprim17ROCPRIM_400000_NS6detail17trampoline_kernelINS0_14default_configENS1_38merge_sort_block_merge_config_selectorIiiEEZZNS1_27merge_sort_block_merge_implIS3_PiS7_jNS1_19radix_merge_compareILb0ELb0EiNS0_19identity_decomposerEEEEE10hipError_tT0_T1_T2_jT3_P12ihipStream_tbPNSt15iterator_traitsISC_E10value_typeEPNSI_ISD_E10value_typeEPSE_NS1_7vsmem_tEENKUlT_SC_SD_SE_E_clIS7_S7_S7_S7_EESB_SR_SC_SD_SE_EUlSR_E1_NS1_11comp_targetILNS1_3genE2ELNS1_11target_archE906ELNS1_3gpuE6ELNS1_3repE0EEENS1_36merge_oddeven_config_static_selectorELNS0_4arch9wavefront6targetE1EEEvSD_
                                        ; -- End function
	.section	.AMDGPU.csdata,"",@progbits
; Kernel info:
; codeLenInByte = 0
; NumSgprs: 4
; NumVgprs: 0
; NumAgprs: 0
; TotalNumVgprs: 0
; ScratchSize: 0
; MemoryBound: 0
; FloatMode: 240
; IeeeMode: 1
; LDSByteSize: 0 bytes/workgroup (compile time only)
; SGPRBlocks: 0
; VGPRBlocks: 0
; NumSGPRsForWavesPerEU: 4
; NumVGPRsForWavesPerEU: 1
; AccumOffset: 4
; Occupancy: 8
; WaveLimiterHint : 0
; COMPUTE_PGM_RSRC2:SCRATCH_EN: 0
; COMPUTE_PGM_RSRC2:USER_SGPR: 6
; COMPUTE_PGM_RSRC2:TRAP_HANDLER: 0
; COMPUTE_PGM_RSRC2:TGID_X_EN: 1
; COMPUTE_PGM_RSRC2:TGID_Y_EN: 0
; COMPUTE_PGM_RSRC2:TGID_Z_EN: 0
; COMPUTE_PGM_RSRC2:TIDIG_COMP_CNT: 0
; COMPUTE_PGM_RSRC3_GFX90A:ACCUM_OFFSET: 0
; COMPUTE_PGM_RSRC3_GFX90A:TG_SPLIT: 0
	.section	.text._ZN7rocprim17ROCPRIM_400000_NS6detail17trampoline_kernelINS0_14default_configENS1_38merge_sort_block_merge_config_selectorIiiEEZZNS1_27merge_sort_block_merge_implIS3_PiS7_jNS1_19radix_merge_compareILb0ELb0EiNS0_19identity_decomposerEEEEE10hipError_tT0_T1_T2_jT3_P12ihipStream_tbPNSt15iterator_traitsISC_E10value_typeEPNSI_ISD_E10value_typeEPSE_NS1_7vsmem_tEENKUlT_SC_SD_SE_E_clIS7_S7_S7_S7_EESB_SR_SC_SD_SE_EUlSR_E1_NS1_11comp_targetILNS1_3genE9ELNS1_11target_archE1100ELNS1_3gpuE3ELNS1_3repE0EEENS1_36merge_oddeven_config_static_selectorELNS0_4arch9wavefront6targetE1EEEvSD_,"axG",@progbits,_ZN7rocprim17ROCPRIM_400000_NS6detail17trampoline_kernelINS0_14default_configENS1_38merge_sort_block_merge_config_selectorIiiEEZZNS1_27merge_sort_block_merge_implIS3_PiS7_jNS1_19radix_merge_compareILb0ELb0EiNS0_19identity_decomposerEEEEE10hipError_tT0_T1_T2_jT3_P12ihipStream_tbPNSt15iterator_traitsISC_E10value_typeEPNSI_ISD_E10value_typeEPSE_NS1_7vsmem_tEENKUlT_SC_SD_SE_E_clIS7_S7_S7_S7_EESB_SR_SC_SD_SE_EUlSR_E1_NS1_11comp_targetILNS1_3genE9ELNS1_11target_archE1100ELNS1_3gpuE3ELNS1_3repE0EEENS1_36merge_oddeven_config_static_selectorELNS0_4arch9wavefront6targetE1EEEvSD_,comdat
	.protected	_ZN7rocprim17ROCPRIM_400000_NS6detail17trampoline_kernelINS0_14default_configENS1_38merge_sort_block_merge_config_selectorIiiEEZZNS1_27merge_sort_block_merge_implIS3_PiS7_jNS1_19radix_merge_compareILb0ELb0EiNS0_19identity_decomposerEEEEE10hipError_tT0_T1_T2_jT3_P12ihipStream_tbPNSt15iterator_traitsISC_E10value_typeEPNSI_ISD_E10value_typeEPSE_NS1_7vsmem_tEENKUlT_SC_SD_SE_E_clIS7_S7_S7_S7_EESB_SR_SC_SD_SE_EUlSR_E1_NS1_11comp_targetILNS1_3genE9ELNS1_11target_archE1100ELNS1_3gpuE3ELNS1_3repE0EEENS1_36merge_oddeven_config_static_selectorELNS0_4arch9wavefront6targetE1EEEvSD_ ; -- Begin function _ZN7rocprim17ROCPRIM_400000_NS6detail17trampoline_kernelINS0_14default_configENS1_38merge_sort_block_merge_config_selectorIiiEEZZNS1_27merge_sort_block_merge_implIS3_PiS7_jNS1_19radix_merge_compareILb0ELb0EiNS0_19identity_decomposerEEEEE10hipError_tT0_T1_T2_jT3_P12ihipStream_tbPNSt15iterator_traitsISC_E10value_typeEPNSI_ISD_E10value_typeEPSE_NS1_7vsmem_tEENKUlT_SC_SD_SE_E_clIS7_S7_S7_S7_EESB_SR_SC_SD_SE_EUlSR_E1_NS1_11comp_targetILNS1_3genE9ELNS1_11target_archE1100ELNS1_3gpuE3ELNS1_3repE0EEENS1_36merge_oddeven_config_static_selectorELNS0_4arch9wavefront6targetE1EEEvSD_
	.globl	_ZN7rocprim17ROCPRIM_400000_NS6detail17trampoline_kernelINS0_14default_configENS1_38merge_sort_block_merge_config_selectorIiiEEZZNS1_27merge_sort_block_merge_implIS3_PiS7_jNS1_19radix_merge_compareILb0ELb0EiNS0_19identity_decomposerEEEEE10hipError_tT0_T1_T2_jT3_P12ihipStream_tbPNSt15iterator_traitsISC_E10value_typeEPNSI_ISD_E10value_typeEPSE_NS1_7vsmem_tEENKUlT_SC_SD_SE_E_clIS7_S7_S7_S7_EESB_SR_SC_SD_SE_EUlSR_E1_NS1_11comp_targetILNS1_3genE9ELNS1_11target_archE1100ELNS1_3gpuE3ELNS1_3repE0EEENS1_36merge_oddeven_config_static_selectorELNS0_4arch9wavefront6targetE1EEEvSD_
	.p2align	8
	.type	_ZN7rocprim17ROCPRIM_400000_NS6detail17trampoline_kernelINS0_14default_configENS1_38merge_sort_block_merge_config_selectorIiiEEZZNS1_27merge_sort_block_merge_implIS3_PiS7_jNS1_19radix_merge_compareILb0ELb0EiNS0_19identity_decomposerEEEEE10hipError_tT0_T1_T2_jT3_P12ihipStream_tbPNSt15iterator_traitsISC_E10value_typeEPNSI_ISD_E10value_typeEPSE_NS1_7vsmem_tEENKUlT_SC_SD_SE_E_clIS7_S7_S7_S7_EESB_SR_SC_SD_SE_EUlSR_E1_NS1_11comp_targetILNS1_3genE9ELNS1_11target_archE1100ELNS1_3gpuE3ELNS1_3repE0EEENS1_36merge_oddeven_config_static_selectorELNS0_4arch9wavefront6targetE1EEEvSD_,@function
_ZN7rocprim17ROCPRIM_400000_NS6detail17trampoline_kernelINS0_14default_configENS1_38merge_sort_block_merge_config_selectorIiiEEZZNS1_27merge_sort_block_merge_implIS3_PiS7_jNS1_19radix_merge_compareILb0ELb0EiNS0_19identity_decomposerEEEEE10hipError_tT0_T1_T2_jT3_P12ihipStream_tbPNSt15iterator_traitsISC_E10value_typeEPNSI_ISD_E10value_typeEPSE_NS1_7vsmem_tEENKUlT_SC_SD_SE_E_clIS7_S7_S7_S7_EESB_SR_SC_SD_SE_EUlSR_E1_NS1_11comp_targetILNS1_3genE9ELNS1_11target_archE1100ELNS1_3gpuE3ELNS1_3repE0EEENS1_36merge_oddeven_config_static_selectorELNS0_4arch9wavefront6targetE1EEEvSD_: ; @_ZN7rocprim17ROCPRIM_400000_NS6detail17trampoline_kernelINS0_14default_configENS1_38merge_sort_block_merge_config_selectorIiiEEZZNS1_27merge_sort_block_merge_implIS3_PiS7_jNS1_19radix_merge_compareILb0ELb0EiNS0_19identity_decomposerEEEEE10hipError_tT0_T1_T2_jT3_P12ihipStream_tbPNSt15iterator_traitsISC_E10value_typeEPNSI_ISD_E10value_typeEPSE_NS1_7vsmem_tEENKUlT_SC_SD_SE_E_clIS7_S7_S7_S7_EESB_SR_SC_SD_SE_EUlSR_E1_NS1_11comp_targetILNS1_3genE9ELNS1_11target_archE1100ELNS1_3gpuE3ELNS1_3repE0EEENS1_36merge_oddeven_config_static_selectorELNS0_4arch9wavefront6targetE1EEEvSD_
; %bb.0:
	.section	.rodata,"a",@progbits
	.p2align	6, 0x0
	.amdhsa_kernel _ZN7rocprim17ROCPRIM_400000_NS6detail17trampoline_kernelINS0_14default_configENS1_38merge_sort_block_merge_config_selectorIiiEEZZNS1_27merge_sort_block_merge_implIS3_PiS7_jNS1_19radix_merge_compareILb0ELb0EiNS0_19identity_decomposerEEEEE10hipError_tT0_T1_T2_jT3_P12ihipStream_tbPNSt15iterator_traitsISC_E10value_typeEPNSI_ISD_E10value_typeEPSE_NS1_7vsmem_tEENKUlT_SC_SD_SE_E_clIS7_S7_S7_S7_EESB_SR_SC_SD_SE_EUlSR_E1_NS1_11comp_targetILNS1_3genE9ELNS1_11target_archE1100ELNS1_3gpuE3ELNS1_3repE0EEENS1_36merge_oddeven_config_static_selectorELNS0_4arch9wavefront6targetE1EEEvSD_
		.amdhsa_group_segment_fixed_size 0
		.amdhsa_private_segment_fixed_size 0
		.amdhsa_kernarg_size 48
		.amdhsa_user_sgpr_count 6
		.amdhsa_user_sgpr_private_segment_buffer 1
		.amdhsa_user_sgpr_dispatch_ptr 0
		.amdhsa_user_sgpr_queue_ptr 0
		.amdhsa_user_sgpr_kernarg_segment_ptr 1
		.amdhsa_user_sgpr_dispatch_id 0
		.amdhsa_user_sgpr_flat_scratch_init 0
		.amdhsa_user_sgpr_kernarg_preload_length 0
		.amdhsa_user_sgpr_kernarg_preload_offset 0
		.amdhsa_user_sgpr_private_segment_size 0
		.amdhsa_uses_dynamic_stack 0
		.amdhsa_system_sgpr_private_segment_wavefront_offset 0
		.amdhsa_system_sgpr_workgroup_id_x 1
		.amdhsa_system_sgpr_workgroup_id_y 0
		.amdhsa_system_sgpr_workgroup_id_z 0
		.amdhsa_system_sgpr_workgroup_info 0
		.amdhsa_system_vgpr_workitem_id 0
		.amdhsa_next_free_vgpr 1
		.amdhsa_next_free_sgpr 0
		.amdhsa_accum_offset 4
		.amdhsa_reserve_vcc 0
		.amdhsa_reserve_flat_scratch 0
		.amdhsa_float_round_mode_32 0
		.amdhsa_float_round_mode_16_64 0
		.amdhsa_float_denorm_mode_32 3
		.amdhsa_float_denorm_mode_16_64 3
		.amdhsa_dx10_clamp 1
		.amdhsa_ieee_mode 1
		.amdhsa_fp16_overflow 0
		.amdhsa_tg_split 0
		.amdhsa_exception_fp_ieee_invalid_op 0
		.amdhsa_exception_fp_denorm_src 0
		.amdhsa_exception_fp_ieee_div_zero 0
		.amdhsa_exception_fp_ieee_overflow 0
		.amdhsa_exception_fp_ieee_underflow 0
		.amdhsa_exception_fp_ieee_inexact 0
		.amdhsa_exception_int_div_zero 0
	.end_amdhsa_kernel
	.section	.text._ZN7rocprim17ROCPRIM_400000_NS6detail17trampoline_kernelINS0_14default_configENS1_38merge_sort_block_merge_config_selectorIiiEEZZNS1_27merge_sort_block_merge_implIS3_PiS7_jNS1_19radix_merge_compareILb0ELb0EiNS0_19identity_decomposerEEEEE10hipError_tT0_T1_T2_jT3_P12ihipStream_tbPNSt15iterator_traitsISC_E10value_typeEPNSI_ISD_E10value_typeEPSE_NS1_7vsmem_tEENKUlT_SC_SD_SE_E_clIS7_S7_S7_S7_EESB_SR_SC_SD_SE_EUlSR_E1_NS1_11comp_targetILNS1_3genE9ELNS1_11target_archE1100ELNS1_3gpuE3ELNS1_3repE0EEENS1_36merge_oddeven_config_static_selectorELNS0_4arch9wavefront6targetE1EEEvSD_,"axG",@progbits,_ZN7rocprim17ROCPRIM_400000_NS6detail17trampoline_kernelINS0_14default_configENS1_38merge_sort_block_merge_config_selectorIiiEEZZNS1_27merge_sort_block_merge_implIS3_PiS7_jNS1_19radix_merge_compareILb0ELb0EiNS0_19identity_decomposerEEEEE10hipError_tT0_T1_T2_jT3_P12ihipStream_tbPNSt15iterator_traitsISC_E10value_typeEPNSI_ISD_E10value_typeEPSE_NS1_7vsmem_tEENKUlT_SC_SD_SE_E_clIS7_S7_S7_S7_EESB_SR_SC_SD_SE_EUlSR_E1_NS1_11comp_targetILNS1_3genE9ELNS1_11target_archE1100ELNS1_3gpuE3ELNS1_3repE0EEENS1_36merge_oddeven_config_static_selectorELNS0_4arch9wavefront6targetE1EEEvSD_,comdat
.Lfunc_end323:
	.size	_ZN7rocprim17ROCPRIM_400000_NS6detail17trampoline_kernelINS0_14default_configENS1_38merge_sort_block_merge_config_selectorIiiEEZZNS1_27merge_sort_block_merge_implIS3_PiS7_jNS1_19radix_merge_compareILb0ELb0EiNS0_19identity_decomposerEEEEE10hipError_tT0_T1_T2_jT3_P12ihipStream_tbPNSt15iterator_traitsISC_E10value_typeEPNSI_ISD_E10value_typeEPSE_NS1_7vsmem_tEENKUlT_SC_SD_SE_E_clIS7_S7_S7_S7_EESB_SR_SC_SD_SE_EUlSR_E1_NS1_11comp_targetILNS1_3genE9ELNS1_11target_archE1100ELNS1_3gpuE3ELNS1_3repE0EEENS1_36merge_oddeven_config_static_selectorELNS0_4arch9wavefront6targetE1EEEvSD_, .Lfunc_end323-_ZN7rocprim17ROCPRIM_400000_NS6detail17trampoline_kernelINS0_14default_configENS1_38merge_sort_block_merge_config_selectorIiiEEZZNS1_27merge_sort_block_merge_implIS3_PiS7_jNS1_19radix_merge_compareILb0ELb0EiNS0_19identity_decomposerEEEEE10hipError_tT0_T1_T2_jT3_P12ihipStream_tbPNSt15iterator_traitsISC_E10value_typeEPNSI_ISD_E10value_typeEPSE_NS1_7vsmem_tEENKUlT_SC_SD_SE_E_clIS7_S7_S7_S7_EESB_SR_SC_SD_SE_EUlSR_E1_NS1_11comp_targetILNS1_3genE9ELNS1_11target_archE1100ELNS1_3gpuE3ELNS1_3repE0EEENS1_36merge_oddeven_config_static_selectorELNS0_4arch9wavefront6targetE1EEEvSD_
                                        ; -- End function
	.section	.AMDGPU.csdata,"",@progbits
; Kernel info:
; codeLenInByte = 0
; NumSgprs: 4
; NumVgprs: 0
; NumAgprs: 0
; TotalNumVgprs: 0
; ScratchSize: 0
; MemoryBound: 0
; FloatMode: 240
; IeeeMode: 1
; LDSByteSize: 0 bytes/workgroup (compile time only)
; SGPRBlocks: 0
; VGPRBlocks: 0
; NumSGPRsForWavesPerEU: 4
; NumVGPRsForWavesPerEU: 1
; AccumOffset: 4
; Occupancy: 8
; WaveLimiterHint : 0
; COMPUTE_PGM_RSRC2:SCRATCH_EN: 0
; COMPUTE_PGM_RSRC2:USER_SGPR: 6
; COMPUTE_PGM_RSRC2:TRAP_HANDLER: 0
; COMPUTE_PGM_RSRC2:TGID_X_EN: 1
; COMPUTE_PGM_RSRC2:TGID_Y_EN: 0
; COMPUTE_PGM_RSRC2:TGID_Z_EN: 0
; COMPUTE_PGM_RSRC2:TIDIG_COMP_CNT: 0
; COMPUTE_PGM_RSRC3_GFX90A:ACCUM_OFFSET: 0
; COMPUTE_PGM_RSRC3_GFX90A:TG_SPLIT: 0
	.section	.text._ZN7rocprim17ROCPRIM_400000_NS6detail17trampoline_kernelINS0_14default_configENS1_38merge_sort_block_merge_config_selectorIiiEEZZNS1_27merge_sort_block_merge_implIS3_PiS7_jNS1_19radix_merge_compareILb0ELb0EiNS0_19identity_decomposerEEEEE10hipError_tT0_T1_T2_jT3_P12ihipStream_tbPNSt15iterator_traitsISC_E10value_typeEPNSI_ISD_E10value_typeEPSE_NS1_7vsmem_tEENKUlT_SC_SD_SE_E_clIS7_S7_S7_S7_EESB_SR_SC_SD_SE_EUlSR_E1_NS1_11comp_targetILNS1_3genE8ELNS1_11target_archE1030ELNS1_3gpuE2ELNS1_3repE0EEENS1_36merge_oddeven_config_static_selectorELNS0_4arch9wavefront6targetE1EEEvSD_,"axG",@progbits,_ZN7rocprim17ROCPRIM_400000_NS6detail17trampoline_kernelINS0_14default_configENS1_38merge_sort_block_merge_config_selectorIiiEEZZNS1_27merge_sort_block_merge_implIS3_PiS7_jNS1_19radix_merge_compareILb0ELb0EiNS0_19identity_decomposerEEEEE10hipError_tT0_T1_T2_jT3_P12ihipStream_tbPNSt15iterator_traitsISC_E10value_typeEPNSI_ISD_E10value_typeEPSE_NS1_7vsmem_tEENKUlT_SC_SD_SE_E_clIS7_S7_S7_S7_EESB_SR_SC_SD_SE_EUlSR_E1_NS1_11comp_targetILNS1_3genE8ELNS1_11target_archE1030ELNS1_3gpuE2ELNS1_3repE0EEENS1_36merge_oddeven_config_static_selectorELNS0_4arch9wavefront6targetE1EEEvSD_,comdat
	.protected	_ZN7rocprim17ROCPRIM_400000_NS6detail17trampoline_kernelINS0_14default_configENS1_38merge_sort_block_merge_config_selectorIiiEEZZNS1_27merge_sort_block_merge_implIS3_PiS7_jNS1_19radix_merge_compareILb0ELb0EiNS0_19identity_decomposerEEEEE10hipError_tT0_T1_T2_jT3_P12ihipStream_tbPNSt15iterator_traitsISC_E10value_typeEPNSI_ISD_E10value_typeEPSE_NS1_7vsmem_tEENKUlT_SC_SD_SE_E_clIS7_S7_S7_S7_EESB_SR_SC_SD_SE_EUlSR_E1_NS1_11comp_targetILNS1_3genE8ELNS1_11target_archE1030ELNS1_3gpuE2ELNS1_3repE0EEENS1_36merge_oddeven_config_static_selectorELNS0_4arch9wavefront6targetE1EEEvSD_ ; -- Begin function _ZN7rocprim17ROCPRIM_400000_NS6detail17trampoline_kernelINS0_14default_configENS1_38merge_sort_block_merge_config_selectorIiiEEZZNS1_27merge_sort_block_merge_implIS3_PiS7_jNS1_19radix_merge_compareILb0ELb0EiNS0_19identity_decomposerEEEEE10hipError_tT0_T1_T2_jT3_P12ihipStream_tbPNSt15iterator_traitsISC_E10value_typeEPNSI_ISD_E10value_typeEPSE_NS1_7vsmem_tEENKUlT_SC_SD_SE_E_clIS7_S7_S7_S7_EESB_SR_SC_SD_SE_EUlSR_E1_NS1_11comp_targetILNS1_3genE8ELNS1_11target_archE1030ELNS1_3gpuE2ELNS1_3repE0EEENS1_36merge_oddeven_config_static_selectorELNS0_4arch9wavefront6targetE1EEEvSD_
	.globl	_ZN7rocprim17ROCPRIM_400000_NS6detail17trampoline_kernelINS0_14default_configENS1_38merge_sort_block_merge_config_selectorIiiEEZZNS1_27merge_sort_block_merge_implIS3_PiS7_jNS1_19radix_merge_compareILb0ELb0EiNS0_19identity_decomposerEEEEE10hipError_tT0_T1_T2_jT3_P12ihipStream_tbPNSt15iterator_traitsISC_E10value_typeEPNSI_ISD_E10value_typeEPSE_NS1_7vsmem_tEENKUlT_SC_SD_SE_E_clIS7_S7_S7_S7_EESB_SR_SC_SD_SE_EUlSR_E1_NS1_11comp_targetILNS1_3genE8ELNS1_11target_archE1030ELNS1_3gpuE2ELNS1_3repE0EEENS1_36merge_oddeven_config_static_selectorELNS0_4arch9wavefront6targetE1EEEvSD_
	.p2align	8
	.type	_ZN7rocprim17ROCPRIM_400000_NS6detail17trampoline_kernelINS0_14default_configENS1_38merge_sort_block_merge_config_selectorIiiEEZZNS1_27merge_sort_block_merge_implIS3_PiS7_jNS1_19radix_merge_compareILb0ELb0EiNS0_19identity_decomposerEEEEE10hipError_tT0_T1_T2_jT3_P12ihipStream_tbPNSt15iterator_traitsISC_E10value_typeEPNSI_ISD_E10value_typeEPSE_NS1_7vsmem_tEENKUlT_SC_SD_SE_E_clIS7_S7_S7_S7_EESB_SR_SC_SD_SE_EUlSR_E1_NS1_11comp_targetILNS1_3genE8ELNS1_11target_archE1030ELNS1_3gpuE2ELNS1_3repE0EEENS1_36merge_oddeven_config_static_selectorELNS0_4arch9wavefront6targetE1EEEvSD_,@function
_ZN7rocprim17ROCPRIM_400000_NS6detail17trampoline_kernelINS0_14default_configENS1_38merge_sort_block_merge_config_selectorIiiEEZZNS1_27merge_sort_block_merge_implIS3_PiS7_jNS1_19radix_merge_compareILb0ELb0EiNS0_19identity_decomposerEEEEE10hipError_tT0_T1_T2_jT3_P12ihipStream_tbPNSt15iterator_traitsISC_E10value_typeEPNSI_ISD_E10value_typeEPSE_NS1_7vsmem_tEENKUlT_SC_SD_SE_E_clIS7_S7_S7_S7_EESB_SR_SC_SD_SE_EUlSR_E1_NS1_11comp_targetILNS1_3genE8ELNS1_11target_archE1030ELNS1_3gpuE2ELNS1_3repE0EEENS1_36merge_oddeven_config_static_selectorELNS0_4arch9wavefront6targetE1EEEvSD_: ; @_ZN7rocprim17ROCPRIM_400000_NS6detail17trampoline_kernelINS0_14default_configENS1_38merge_sort_block_merge_config_selectorIiiEEZZNS1_27merge_sort_block_merge_implIS3_PiS7_jNS1_19radix_merge_compareILb0ELb0EiNS0_19identity_decomposerEEEEE10hipError_tT0_T1_T2_jT3_P12ihipStream_tbPNSt15iterator_traitsISC_E10value_typeEPNSI_ISD_E10value_typeEPSE_NS1_7vsmem_tEENKUlT_SC_SD_SE_E_clIS7_S7_S7_S7_EESB_SR_SC_SD_SE_EUlSR_E1_NS1_11comp_targetILNS1_3genE8ELNS1_11target_archE1030ELNS1_3gpuE2ELNS1_3repE0EEENS1_36merge_oddeven_config_static_selectorELNS0_4arch9wavefront6targetE1EEEvSD_
; %bb.0:
	.section	.rodata,"a",@progbits
	.p2align	6, 0x0
	.amdhsa_kernel _ZN7rocprim17ROCPRIM_400000_NS6detail17trampoline_kernelINS0_14default_configENS1_38merge_sort_block_merge_config_selectorIiiEEZZNS1_27merge_sort_block_merge_implIS3_PiS7_jNS1_19radix_merge_compareILb0ELb0EiNS0_19identity_decomposerEEEEE10hipError_tT0_T1_T2_jT3_P12ihipStream_tbPNSt15iterator_traitsISC_E10value_typeEPNSI_ISD_E10value_typeEPSE_NS1_7vsmem_tEENKUlT_SC_SD_SE_E_clIS7_S7_S7_S7_EESB_SR_SC_SD_SE_EUlSR_E1_NS1_11comp_targetILNS1_3genE8ELNS1_11target_archE1030ELNS1_3gpuE2ELNS1_3repE0EEENS1_36merge_oddeven_config_static_selectorELNS0_4arch9wavefront6targetE1EEEvSD_
		.amdhsa_group_segment_fixed_size 0
		.amdhsa_private_segment_fixed_size 0
		.amdhsa_kernarg_size 48
		.amdhsa_user_sgpr_count 6
		.amdhsa_user_sgpr_private_segment_buffer 1
		.amdhsa_user_sgpr_dispatch_ptr 0
		.amdhsa_user_sgpr_queue_ptr 0
		.amdhsa_user_sgpr_kernarg_segment_ptr 1
		.amdhsa_user_sgpr_dispatch_id 0
		.amdhsa_user_sgpr_flat_scratch_init 0
		.amdhsa_user_sgpr_kernarg_preload_length 0
		.amdhsa_user_sgpr_kernarg_preload_offset 0
		.amdhsa_user_sgpr_private_segment_size 0
		.amdhsa_uses_dynamic_stack 0
		.amdhsa_system_sgpr_private_segment_wavefront_offset 0
		.amdhsa_system_sgpr_workgroup_id_x 1
		.amdhsa_system_sgpr_workgroup_id_y 0
		.amdhsa_system_sgpr_workgroup_id_z 0
		.amdhsa_system_sgpr_workgroup_info 0
		.amdhsa_system_vgpr_workitem_id 0
		.amdhsa_next_free_vgpr 1
		.amdhsa_next_free_sgpr 0
		.amdhsa_accum_offset 4
		.amdhsa_reserve_vcc 0
		.amdhsa_reserve_flat_scratch 0
		.amdhsa_float_round_mode_32 0
		.amdhsa_float_round_mode_16_64 0
		.amdhsa_float_denorm_mode_32 3
		.amdhsa_float_denorm_mode_16_64 3
		.amdhsa_dx10_clamp 1
		.amdhsa_ieee_mode 1
		.amdhsa_fp16_overflow 0
		.amdhsa_tg_split 0
		.amdhsa_exception_fp_ieee_invalid_op 0
		.amdhsa_exception_fp_denorm_src 0
		.amdhsa_exception_fp_ieee_div_zero 0
		.amdhsa_exception_fp_ieee_overflow 0
		.amdhsa_exception_fp_ieee_underflow 0
		.amdhsa_exception_fp_ieee_inexact 0
		.amdhsa_exception_int_div_zero 0
	.end_amdhsa_kernel
	.section	.text._ZN7rocprim17ROCPRIM_400000_NS6detail17trampoline_kernelINS0_14default_configENS1_38merge_sort_block_merge_config_selectorIiiEEZZNS1_27merge_sort_block_merge_implIS3_PiS7_jNS1_19radix_merge_compareILb0ELb0EiNS0_19identity_decomposerEEEEE10hipError_tT0_T1_T2_jT3_P12ihipStream_tbPNSt15iterator_traitsISC_E10value_typeEPNSI_ISD_E10value_typeEPSE_NS1_7vsmem_tEENKUlT_SC_SD_SE_E_clIS7_S7_S7_S7_EESB_SR_SC_SD_SE_EUlSR_E1_NS1_11comp_targetILNS1_3genE8ELNS1_11target_archE1030ELNS1_3gpuE2ELNS1_3repE0EEENS1_36merge_oddeven_config_static_selectorELNS0_4arch9wavefront6targetE1EEEvSD_,"axG",@progbits,_ZN7rocprim17ROCPRIM_400000_NS6detail17trampoline_kernelINS0_14default_configENS1_38merge_sort_block_merge_config_selectorIiiEEZZNS1_27merge_sort_block_merge_implIS3_PiS7_jNS1_19radix_merge_compareILb0ELb0EiNS0_19identity_decomposerEEEEE10hipError_tT0_T1_T2_jT3_P12ihipStream_tbPNSt15iterator_traitsISC_E10value_typeEPNSI_ISD_E10value_typeEPSE_NS1_7vsmem_tEENKUlT_SC_SD_SE_E_clIS7_S7_S7_S7_EESB_SR_SC_SD_SE_EUlSR_E1_NS1_11comp_targetILNS1_3genE8ELNS1_11target_archE1030ELNS1_3gpuE2ELNS1_3repE0EEENS1_36merge_oddeven_config_static_selectorELNS0_4arch9wavefront6targetE1EEEvSD_,comdat
.Lfunc_end324:
	.size	_ZN7rocprim17ROCPRIM_400000_NS6detail17trampoline_kernelINS0_14default_configENS1_38merge_sort_block_merge_config_selectorIiiEEZZNS1_27merge_sort_block_merge_implIS3_PiS7_jNS1_19radix_merge_compareILb0ELb0EiNS0_19identity_decomposerEEEEE10hipError_tT0_T1_T2_jT3_P12ihipStream_tbPNSt15iterator_traitsISC_E10value_typeEPNSI_ISD_E10value_typeEPSE_NS1_7vsmem_tEENKUlT_SC_SD_SE_E_clIS7_S7_S7_S7_EESB_SR_SC_SD_SE_EUlSR_E1_NS1_11comp_targetILNS1_3genE8ELNS1_11target_archE1030ELNS1_3gpuE2ELNS1_3repE0EEENS1_36merge_oddeven_config_static_selectorELNS0_4arch9wavefront6targetE1EEEvSD_, .Lfunc_end324-_ZN7rocprim17ROCPRIM_400000_NS6detail17trampoline_kernelINS0_14default_configENS1_38merge_sort_block_merge_config_selectorIiiEEZZNS1_27merge_sort_block_merge_implIS3_PiS7_jNS1_19radix_merge_compareILb0ELb0EiNS0_19identity_decomposerEEEEE10hipError_tT0_T1_T2_jT3_P12ihipStream_tbPNSt15iterator_traitsISC_E10value_typeEPNSI_ISD_E10value_typeEPSE_NS1_7vsmem_tEENKUlT_SC_SD_SE_E_clIS7_S7_S7_S7_EESB_SR_SC_SD_SE_EUlSR_E1_NS1_11comp_targetILNS1_3genE8ELNS1_11target_archE1030ELNS1_3gpuE2ELNS1_3repE0EEENS1_36merge_oddeven_config_static_selectorELNS0_4arch9wavefront6targetE1EEEvSD_
                                        ; -- End function
	.section	.AMDGPU.csdata,"",@progbits
; Kernel info:
; codeLenInByte = 0
; NumSgprs: 4
; NumVgprs: 0
; NumAgprs: 0
; TotalNumVgprs: 0
; ScratchSize: 0
; MemoryBound: 0
; FloatMode: 240
; IeeeMode: 1
; LDSByteSize: 0 bytes/workgroup (compile time only)
; SGPRBlocks: 0
; VGPRBlocks: 0
; NumSGPRsForWavesPerEU: 4
; NumVGPRsForWavesPerEU: 1
; AccumOffset: 4
; Occupancy: 8
; WaveLimiterHint : 0
; COMPUTE_PGM_RSRC2:SCRATCH_EN: 0
; COMPUTE_PGM_RSRC2:USER_SGPR: 6
; COMPUTE_PGM_RSRC2:TRAP_HANDLER: 0
; COMPUTE_PGM_RSRC2:TGID_X_EN: 1
; COMPUTE_PGM_RSRC2:TGID_Y_EN: 0
; COMPUTE_PGM_RSRC2:TGID_Z_EN: 0
; COMPUTE_PGM_RSRC2:TIDIG_COMP_CNT: 0
; COMPUTE_PGM_RSRC3_GFX90A:ACCUM_OFFSET: 0
; COMPUTE_PGM_RSRC3_GFX90A:TG_SPLIT: 0
	.section	.text._ZN7rocprim17ROCPRIM_400000_NS6detail17trampoline_kernelINS0_14default_configENS1_38merge_sort_block_merge_config_selectorIiiEEZZNS1_27merge_sort_block_merge_implIS3_PiS7_jNS1_19radix_merge_compareILb0ELb1EiNS0_19identity_decomposerEEEEE10hipError_tT0_T1_T2_jT3_P12ihipStream_tbPNSt15iterator_traitsISC_E10value_typeEPNSI_ISD_E10value_typeEPSE_NS1_7vsmem_tEENKUlT_SC_SD_SE_E_clIS7_S7_S7_S7_EESB_SR_SC_SD_SE_EUlSR_E_NS1_11comp_targetILNS1_3genE0ELNS1_11target_archE4294967295ELNS1_3gpuE0ELNS1_3repE0EEENS1_48merge_mergepath_partition_config_static_selectorELNS0_4arch9wavefront6targetE1EEEvSD_,"axG",@progbits,_ZN7rocprim17ROCPRIM_400000_NS6detail17trampoline_kernelINS0_14default_configENS1_38merge_sort_block_merge_config_selectorIiiEEZZNS1_27merge_sort_block_merge_implIS3_PiS7_jNS1_19radix_merge_compareILb0ELb1EiNS0_19identity_decomposerEEEEE10hipError_tT0_T1_T2_jT3_P12ihipStream_tbPNSt15iterator_traitsISC_E10value_typeEPNSI_ISD_E10value_typeEPSE_NS1_7vsmem_tEENKUlT_SC_SD_SE_E_clIS7_S7_S7_S7_EESB_SR_SC_SD_SE_EUlSR_E_NS1_11comp_targetILNS1_3genE0ELNS1_11target_archE4294967295ELNS1_3gpuE0ELNS1_3repE0EEENS1_48merge_mergepath_partition_config_static_selectorELNS0_4arch9wavefront6targetE1EEEvSD_,comdat
	.protected	_ZN7rocprim17ROCPRIM_400000_NS6detail17trampoline_kernelINS0_14default_configENS1_38merge_sort_block_merge_config_selectorIiiEEZZNS1_27merge_sort_block_merge_implIS3_PiS7_jNS1_19radix_merge_compareILb0ELb1EiNS0_19identity_decomposerEEEEE10hipError_tT0_T1_T2_jT3_P12ihipStream_tbPNSt15iterator_traitsISC_E10value_typeEPNSI_ISD_E10value_typeEPSE_NS1_7vsmem_tEENKUlT_SC_SD_SE_E_clIS7_S7_S7_S7_EESB_SR_SC_SD_SE_EUlSR_E_NS1_11comp_targetILNS1_3genE0ELNS1_11target_archE4294967295ELNS1_3gpuE0ELNS1_3repE0EEENS1_48merge_mergepath_partition_config_static_selectorELNS0_4arch9wavefront6targetE1EEEvSD_ ; -- Begin function _ZN7rocprim17ROCPRIM_400000_NS6detail17trampoline_kernelINS0_14default_configENS1_38merge_sort_block_merge_config_selectorIiiEEZZNS1_27merge_sort_block_merge_implIS3_PiS7_jNS1_19radix_merge_compareILb0ELb1EiNS0_19identity_decomposerEEEEE10hipError_tT0_T1_T2_jT3_P12ihipStream_tbPNSt15iterator_traitsISC_E10value_typeEPNSI_ISD_E10value_typeEPSE_NS1_7vsmem_tEENKUlT_SC_SD_SE_E_clIS7_S7_S7_S7_EESB_SR_SC_SD_SE_EUlSR_E_NS1_11comp_targetILNS1_3genE0ELNS1_11target_archE4294967295ELNS1_3gpuE0ELNS1_3repE0EEENS1_48merge_mergepath_partition_config_static_selectorELNS0_4arch9wavefront6targetE1EEEvSD_
	.globl	_ZN7rocprim17ROCPRIM_400000_NS6detail17trampoline_kernelINS0_14default_configENS1_38merge_sort_block_merge_config_selectorIiiEEZZNS1_27merge_sort_block_merge_implIS3_PiS7_jNS1_19radix_merge_compareILb0ELb1EiNS0_19identity_decomposerEEEEE10hipError_tT0_T1_T2_jT3_P12ihipStream_tbPNSt15iterator_traitsISC_E10value_typeEPNSI_ISD_E10value_typeEPSE_NS1_7vsmem_tEENKUlT_SC_SD_SE_E_clIS7_S7_S7_S7_EESB_SR_SC_SD_SE_EUlSR_E_NS1_11comp_targetILNS1_3genE0ELNS1_11target_archE4294967295ELNS1_3gpuE0ELNS1_3repE0EEENS1_48merge_mergepath_partition_config_static_selectorELNS0_4arch9wavefront6targetE1EEEvSD_
	.p2align	8
	.type	_ZN7rocprim17ROCPRIM_400000_NS6detail17trampoline_kernelINS0_14default_configENS1_38merge_sort_block_merge_config_selectorIiiEEZZNS1_27merge_sort_block_merge_implIS3_PiS7_jNS1_19radix_merge_compareILb0ELb1EiNS0_19identity_decomposerEEEEE10hipError_tT0_T1_T2_jT3_P12ihipStream_tbPNSt15iterator_traitsISC_E10value_typeEPNSI_ISD_E10value_typeEPSE_NS1_7vsmem_tEENKUlT_SC_SD_SE_E_clIS7_S7_S7_S7_EESB_SR_SC_SD_SE_EUlSR_E_NS1_11comp_targetILNS1_3genE0ELNS1_11target_archE4294967295ELNS1_3gpuE0ELNS1_3repE0EEENS1_48merge_mergepath_partition_config_static_selectorELNS0_4arch9wavefront6targetE1EEEvSD_,@function
_ZN7rocprim17ROCPRIM_400000_NS6detail17trampoline_kernelINS0_14default_configENS1_38merge_sort_block_merge_config_selectorIiiEEZZNS1_27merge_sort_block_merge_implIS3_PiS7_jNS1_19radix_merge_compareILb0ELb1EiNS0_19identity_decomposerEEEEE10hipError_tT0_T1_T2_jT3_P12ihipStream_tbPNSt15iterator_traitsISC_E10value_typeEPNSI_ISD_E10value_typeEPSE_NS1_7vsmem_tEENKUlT_SC_SD_SE_E_clIS7_S7_S7_S7_EESB_SR_SC_SD_SE_EUlSR_E_NS1_11comp_targetILNS1_3genE0ELNS1_11target_archE4294967295ELNS1_3gpuE0ELNS1_3repE0EEENS1_48merge_mergepath_partition_config_static_selectorELNS0_4arch9wavefront6targetE1EEEvSD_: ; @_ZN7rocprim17ROCPRIM_400000_NS6detail17trampoline_kernelINS0_14default_configENS1_38merge_sort_block_merge_config_selectorIiiEEZZNS1_27merge_sort_block_merge_implIS3_PiS7_jNS1_19radix_merge_compareILb0ELb1EiNS0_19identity_decomposerEEEEE10hipError_tT0_T1_T2_jT3_P12ihipStream_tbPNSt15iterator_traitsISC_E10value_typeEPNSI_ISD_E10value_typeEPSE_NS1_7vsmem_tEENKUlT_SC_SD_SE_E_clIS7_S7_S7_S7_EESB_SR_SC_SD_SE_EUlSR_E_NS1_11comp_targetILNS1_3genE0ELNS1_11target_archE4294967295ELNS1_3gpuE0ELNS1_3repE0EEENS1_48merge_mergepath_partition_config_static_selectorELNS0_4arch9wavefront6targetE1EEEvSD_
; %bb.0:
	.section	.rodata,"a",@progbits
	.p2align	6, 0x0
	.amdhsa_kernel _ZN7rocprim17ROCPRIM_400000_NS6detail17trampoline_kernelINS0_14default_configENS1_38merge_sort_block_merge_config_selectorIiiEEZZNS1_27merge_sort_block_merge_implIS3_PiS7_jNS1_19radix_merge_compareILb0ELb1EiNS0_19identity_decomposerEEEEE10hipError_tT0_T1_T2_jT3_P12ihipStream_tbPNSt15iterator_traitsISC_E10value_typeEPNSI_ISD_E10value_typeEPSE_NS1_7vsmem_tEENKUlT_SC_SD_SE_E_clIS7_S7_S7_S7_EESB_SR_SC_SD_SE_EUlSR_E_NS1_11comp_targetILNS1_3genE0ELNS1_11target_archE4294967295ELNS1_3gpuE0ELNS1_3repE0EEENS1_48merge_mergepath_partition_config_static_selectorELNS0_4arch9wavefront6targetE1EEEvSD_
		.amdhsa_group_segment_fixed_size 0
		.amdhsa_private_segment_fixed_size 0
		.amdhsa_kernarg_size 40
		.amdhsa_user_sgpr_count 6
		.amdhsa_user_sgpr_private_segment_buffer 1
		.amdhsa_user_sgpr_dispatch_ptr 0
		.amdhsa_user_sgpr_queue_ptr 0
		.amdhsa_user_sgpr_kernarg_segment_ptr 1
		.amdhsa_user_sgpr_dispatch_id 0
		.amdhsa_user_sgpr_flat_scratch_init 0
		.amdhsa_user_sgpr_kernarg_preload_length 0
		.amdhsa_user_sgpr_kernarg_preload_offset 0
		.amdhsa_user_sgpr_private_segment_size 0
		.amdhsa_uses_dynamic_stack 0
		.amdhsa_system_sgpr_private_segment_wavefront_offset 0
		.amdhsa_system_sgpr_workgroup_id_x 1
		.amdhsa_system_sgpr_workgroup_id_y 0
		.amdhsa_system_sgpr_workgroup_id_z 0
		.amdhsa_system_sgpr_workgroup_info 0
		.amdhsa_system_vgpr_workitem_id 0
		.amdhsa_next_free_vgpr 1
		.amdhsa_next_free_sgpr 0
		.amdhsa_accum_offset 4
		.amdhsa_reserve_vcc 0
		.amdhsa_reserve_flat_scratch 0
		.amdhsa_float_round_mode_32 0
		.amdhsa_float_round_mode_16_64 0
		.amdhsa_float_denorm_mode_32 3
		.amdhsa_float_denorm_mode_16_64 3
		.amdhsa_dx10_clamp 1
		.amdhsa_ieee_mode 1
		.amdhsa_fp16_overflow 0
		.amdhsa_tg_split 0
		.amdhsa_exception_fp_ieee_invalid_op 0
		.amdhsa_exception_fp_denorm_src 0
		.amdhsa_exception_fp_ieee_div_zero 0
		.amdhsa_exception_fp_ieee_overflow 0
		.amdhsa_exception_fp_ieee_underflow 0
		.amdhsa_exception_fp_ieee_inexact 0
		.amdhsa_exception_int_div_zero 0
	.end_amdhsa_kernel
	.section	.text._ZN7rocprim17ROCPRIM_400000_NS6detail17trampoline_kernelINS0_14default_configENS1_38merge_sort_block_merge_config_selectorIiiEEZZNS1_27merge_sort_block_merge_implIS3_PiS7_jNS1_19radix_merge_compareILb0ELb1EiNS0_19identity_decomposerEEEEE10hipError_tT0_T1_T2_jT3_P12ihipStream_tbPNSt15iterator_traitsISC_E10value_typeEPNSI_ISD_E10value_typeEPSE_NS1_7vsmem_tEENKUlT_SC_SD_SE_E_clIS7_S7_S7_S7_EESB_SR_SC_SD_SE_EUlSR_E_NS1_11comp_targetILNS1_3genE0ELNS1_11target_archE4294967295ELNS1_3gpuE0ELNS1_3repE0EEENS1_48merge_mergepath_partition_config_static_selectorELNS0_4arch9wavefront6targetE1EEEvSD_,"axG",@progbits,_ZN7rocprim17ROCPRIM_400000_NS6detail17trampoline_kernelINS0_14default_configENS1_38merge_sort_block_merge_config_selectorIiiEEZZNS1_27merge_sort_block_merge_implIS3_PiS7_jNS1_19radix_merge_compareILb0ELb1EiNS0_19identity_decomposerEEEEE10hipError_tT0_T1_T2_jT3_P12ihipStream_tbPNSt15iterator_traitsISC_E10value_typeEPNSI_ISD_E10value_typeEPSE_NS1_7vsmem_tEENKUlT_SC_SD_SE_E_clIS7_S7_S7_S7_EESB_SR_SC_SD_SE_EUlSR_E_NS1_11comp_targetILNS1_3genE0ELNS1_11target_archE4294967295ELNS1_3gpuE0ELNS1_3repE0EEENS1_48merge_mergepath_partition_config_static_selectorELNS0_4arch9wavefront6targetE1EEEvSD_,comdat
.Lfunc_end325:
	.size	_ZN7rocprim17ROCPRIM_400000_NS6detail17trampoline_kernelINS0_14default_configENS1_38merge_sort_block_merge_config_selectorIiiEEZZNS1_27merge_sort_block_merge_implIS3_PiS7_jNS1_19radix_merge_compareILb0ELb1EiNS0_19identity_decomposerEEEEE10hipError_tT0_T1_T2_jT3_P12ihipStream_tbPNSt15iterator_traitsISC_E10value_typeEPNSI_ISD_E10value_typeEPSE_NS1_7vsmem_tEENKUlT_SC_SD_SE_E_clIS7_S7_S7_S7_EESB_SR_SC_SD_SE_EUlSR_E_NS1_11comp_targetILNS1_3genE0ELNS1_11target_archE4294967295ELNS1_3gpuE0ELNS1_3repE0EEENS1_48merge_mergepath_partition_config_static_selectorELNS0_4arch9wavefront6targetE1EEEvSD_, .Lfunc_end325-_ZN7rocprim17ROCPRIM_400000_NS6detail17trampoline_kernelINS0_14default_configENS1_38merge_sort_block_merge_config_selectorIiiEEZZNS1_27merge_sort_block_merge_implIS3_PiS7_jNS1_19radix_merge_compareILb0ELb1EiNS0_19identity_decomposerEEEEE10hipError_tT0_T1_T2_jT3_P12ihipStream_tbPNSt15iterator_traitsISC_E10value_typeEPNSI_ISD_E10value_typeEPSE_NS1_7vsmem_tEENKUlT_SC_SD_SE_E_clIS7_S7_S7_S7_EESB_SR_SC_SD_SE_EUlSR_E_NS1_11comp_targetILNS1_3genE0ELNS1_11target_archE4294967295ELNS1_3gpuE0ELNS1_3repE0EEENS1_48merge_mergepath_partition_config_static_selectorELNS0_4arch9wavefront6targetE1EEEvSD_
                                        ; -- End function
	.section	.AMDGPU.csdata,"",@progbits
; Kernel info:
; codeLenInByte = 0
; NumSgprs: 4
; NumVgprs: 0
; NumAgprs: 0
; TotalNumVgprs: 0
; ScratchSize: 0
; MemoryBound: 0
; FloatMode: 240
; IeeeMode: 1
; LDSByteSize: 0 bytes/workgroup (compile time only)
; SGPRBlocks: 0
; VGPRBlocks: 0
; NumSGPRsForWavesPerEU: 4
; NumVGPRsForWavesPerEU: 1
; AccumOffset: 4
; Occupancy: 8
; WaveLimiterHint : 0
; COMPUTE_PGM_RSRC2:SCRATCH_EN: 0
; COMPUTE_PGM_RSRC2:USER_SGPR: 6
; COMPUTE_PGM_RSRC2:TRAP_HANDLER: 0
; COMPUTE_PGM_RSRC2:TGID_X_EN: 1
; COMPUTE_PGM_RSRC2:TGID_Y_EN: 0
; COMPUTE_PGM_RSRC2:TGID_Z_EN: 0
; COMPUTE_PGM_RSRC2:TIDIG_COMP_CNT: 0
; COMPUTE_PGM_RSRC3_GFX90A:ACCUM_OFFSET: 0
; COMPUTE_PGM_RSRC3_GFX90A:TG_SPLIT: 0
	.section	.text._ZN7rocprim17ROCPRIM_400000_NS6detail17trampoline_kernelINS0_14default_configENS1_38merge_sort_block_merge_config_selectorIiiEEZZNS1_27merge_sort_block_merge_implIS3_PiS7_jNS1_19radix_merge_compareILb0ELb1EiNS0_19identity_decomposerEEEEE10hipError_tT0_T1_T2_jT3_P12ihipStream_tbPNSt15iterator_traitsISC_E10value_typeEPNSI_ISD_E10value_typeEPSE_NS1_7vsmem_tEENKUlT_SC_SD_SE_E_clIS7_S7_S7_S7_EESB_SR_SC_SD_SE_EUlSR_E_NS1_11comp_targetILNS1_3genE10ELNS1_11target_archE1201ELNS1_3gpuE5ELNS1_3repE0EEENS1_48merge_mergepath_partition_config_static_selectorELNS0_4arch9wavefront6targetE1EEEvSD_,"axG",@progbits,_ZN7rocprim17ROCPRIM_400000_NS6detail17trampoline_kernelINS0_14default_configENS1_38merge_sort_block_merge_config_selectorIiiEEZZNS1_27merge_sort_block_merge_implIS3_PiS7_jNS1_19radix_merge_compareILb0ELb1EiNS0_19identity_decomposerEEEEE10hipError_tT0_T1_T2_jT3_P12ihipStream_tbPNSt15iterator_traitsISC_E10value_typeEPNSI_ISD_E10value_typeEPSE_NS1_7vsmem_tEENKUlT_SC_SD_SE_E_clIS7_S7_S7_S7_EESB_SR_SC_SD_SE_EUlSR_E_NS1_11comp_targetILNS1_3genE10ELNS1_11target_archE1201ELNS1_3gpuE5ELNS1_3repE0EEENS1_48merge_mergepath_partition_config_static_selectorELNS0_4arch9wavefront6targetE1EEEvSD_,comdat
	.protected	_ZN7rocprim17ROCPRIM_400000_NS6detail17trampoline_kernelINS0_14default_configENS1_38merge_sort_block_merge_config_selectorIiiEEZZNS1_27merge_sort_block_merge_implIS3_PiS7_jNS1_19radix_merge_compareILb0ELb1EiNS0_19identity_decomposerEEEEE10hipError_tT0_T1_T2_jT3_P12ihipStream_tbPNSt15iterator_traitsISC_E10value_typeEPNSI_ISD_E10value_typeEPSE_NS1_7vsmem_tEENKUlT_SC_SD_SE_E_clIS7_S7_S7_S7_EESB_SR_SC_SD_SE_EUlSR_E_NS1_11comp_targetILNS1_3genE10ELNS1_11target_archE1201ELNS1_3gpuE5ELNS1_3repE0EEENS1_48merge_mergepath_partition_config_static_selectorELNS0_4arch9wavefront6targetE1EEEvSD_ ; -- Begin function _ZN7rocprim17ROCPRIM_400000_NS6detail17trampoline_kernelINS0_14default_configENS1_38merge_sort_block_merge_config_selectorIiiEEZZNS1_27merge_sort_block_merge_implIS3_PiS7_jNS1_19radix_merge_compareILb0ELb1EiNS0_19identity_decomposerEEEEE10hipError_tT0_T1_T2_jT3_P12ihipStream_tbPNSt15iterator_traitsISC_E10value_typeEPNSI_ISD_E10value_typeEPSE_NS1_7vsmem_tEENKUlT_SC_SD_SE_E_clIS7_S7_S7_S7_EESB_SR_SC_SD_SE_EUlSR_E_NS1_11comp_targetILNS1_3genE10ELNS1_11target_archE1201ELNS1_3gpuE5ELNS1_3repE0EEENS1_48merge_mergepath_partition_config_static_selectorELNS0_4arch9wavefront6targetE1EEEvSD_
	.globl	_ZN7rocprim17ROCPRIM_400000_NS6detail17trampoline_kernelINS0_14default_configENS1_38merge_sort_block_merge_config_selectorIiiEEZZNS1_27merge_sort_block_merge_implIS3_PiS7_jNS1_19radix_merge_compareILb0ELb1EiNS0_19identity_decomposerEEEEE10hipError_tT0_T1_T2_jT3_P12ihipStream_tbPNSt15iterator_traitsISC_E10value_typeEPNSI_ISD_E10value_typeEPSE_NS1_7vsmem_tEENKUlT_SC_SD_SE_E_clIS7_S7_S7_S7_EESB_SR_SC_SD_SE_EUlSR_E_NS1_11comp_targetILNS1_3genE10ELNS1_11target_archE1201ELNS1_3gpuE5ELNS1_3repE0EEENS1_48merge_mergepath_partition_config_static_selectorELNS0_4arch9wavefront6targetE1EEEvSD_
	.p2align	8
	.type	_ZN7rocprim17ROCPRIM_400000_NS6detail17trampoline_kernelINS0_14default_configENS1_38merge_sort_block_merge_config_selectorIiiEEZZNS1_27merge_sort_block_merge_implIS3_PiS7_jNS1_19radix_merge_compareILb0ELb1EiNS0_19identity_decomposerEEEEE10hipError_tT0_T1_T2_jT3_P12ihipStream_tbPNSt15iterator_traitsISC_E10value_typeEPNSI_ISD_E10value_typeEPSE_NS1_7vsmem_tEENKUlT_SC_SD_SE_E_clIS7_S7_S7_S7_EESB_SR_SC_SD_SE_EUlSR_E_NS1_11comp_targetILNS1_3genE10ELNS1_11target_archE1201ELNS1_3gpuE5ELNS1_3repE0EEENS1_48merge_mergepath_partition_config_static_selectorELNS0_4arch9wavefront6targetE1EEEvSD_,@function
_ZN7rocprim17ROCPRIM_400000_NS6detail17trampoline_kernelINS0_14default_configENS1_38merge_sort_block_merge_config_selectorIiiEEZZNS1_27merge_sort_block_merge_implIS3_PiS7_jNS1_19radix_merge_compareILb0ELb1EiNS0_19identity_decomposerEEEEE10hipError_tT0_T1_T2_jT3_P12ihipStream_tbPNSt15iterator_traitsISC_E10value_typeEPNSI_ISD_E10value_typeEPSE_NS1_7vsmem_tEENKUlT_SC_SD_SE_E_clIS7_S7_S7_S7_EESB_SR_SC_SD_SE_EUlSR_E_NS1_11comp_targetILNS1_3genE10ELNS1_11target_archE1201ELNS1_3gpuE5ELNS1_3repE0EEENS1_48merge_mergepath_partition_config_static_selectorELNS0_4arch9wavefront6targetE1EEEvSD_: ; @_ZN7rocprim17ROCPRIM_400000_NS6detail17trampoline_kernelINS0_14default_configENS1_38merge_sort_block_merge_config_selectorIiiEEZZNS1_27merge_sort_block_merge_implIS3_PiS7_jNS1_19radix_merge_compareILb0ELb1EiNS0_19identity_decomposerEEEEE10hipError_tT0_T1_T2_jT3_P12ihipStream_tbPNSt15iterator_traitsISC_E10value_typeEPNSI_ISD_E10value_typeEPSE_NS1_7vsmem_tEENKUlT_SC_SD_SE_E_clIS7_S7_S7_S7_EESB_SR_SC_SD_SE_EUlSR_E_NS1_11comp_targetILNS1_3genE10ELNS1_11target_archE1201ELNS1_3gpuE5ELNS1_3repE0EEENS1_48merge_mergepath_partition_config_static_selectorELNS0_4arch9wavefront6targetE1EEEvSD_
; %bb.0:
	.section	.rodata,"a",@progbits
	.p2align	6, 0x0
	.amdhsa_kernel _ZN7rocprim17ROCPRIM_400000_NS6detail17trampoline_kernelINS0_14default_configENS1_38merge_sort_block_merge_config_selectorIiiEEZZNS1_27merge_sort_block_merge_implIS3_PiS7_jNS1_19radix_merge_compareILb0ELb1EiNS0_19identity_decomposerEEEEE10hipError_tT0_T1_T2_jT3_P12ihipStream_tbPNSt15iterator_traitsISC_E10value_typeEPNSI_ISD_E10value_typeEPSE_NS1_7vsmem_tEENKUlT_SC_SD_SE_E_clIS7_S7_S7_S7_EESB_SR_SC_SD_SE_EUlSR_E_NS1_11comp_targetILNS1_3genE10ELNS1_11target_archE1201ELNS1_3gpuE5ELNS1_3repE0EEENS1_48merge_mergepath_partition_config_static_selectorELNS0_4arch9wavefront6targetE1EEEvSD_
		.amdhsa_group_segment_fixed_size 0
		.amdhsa_private_segment_fixed_size 0
		.amdhsa_kernarg_size 40
		.amdhsa_user_sgpr_count 6
		.amdhsa_user_sgpr_private_segment_buffer 1
		.amdhsa_user_sgpr_dispatch_ptr 0
		.amdhsa_user_sgpr_queue_ptr 0
		.amdhsa_user_sgpr_kernarg_segment_ptr 1
		.amdhsa_user_sgpr_dispatch_id 0
		.amdhsa_user_sgpr_flat_scratch_init 0
		.amdhsa_user_sgpr_kernarg_preload_length 0
		.amdhsa_user_sgpr_kernarg_preload_offset 0
		.amdhsa_user_sgpr_private_segment_size 0
		.amdhsa_uses_dynamic_stack 0
		.amdhsa_system_sgpr_private_segment_wavefront_offset 0
		.amdhsa_system_sgpr_workgroup_id_x 1
		.amdhsa_system_sgpr_workgroup_id_y 0
		.amdhsa_system_sgpr_workgroup_id_z 0
		.amdhsa_system_sgpr_workgroup_info 0
		.amdhsa_system_vgpr_workitem_id 0
		.amdhsa_next_free_vgpr 1
		.amdhsa_next_free_sgpr 0
		.amdhsa_accum_offset 4
		.amdhsa_reserve_vcc 0
		.amdhsa_reserve_flat_scratch 0
		.amdhsa_float_round_mode_32 0
		.amdhsa_float_round_mode_16_64 0
		.amdhsa_float_denorm_mode_32 3
		.amdhsa_float_denorm_mode_16_64 3
		.amdhsa_dx10_clamp 1
		.amdhsa_ieee_mode 1
		.amdhsa_fp16_overflow 0
		.amdhsa_tg_split 0
		.amdhsa_exception_fp_ieee_invalid_op 0
		.amdhsa_exception_fp_denorm_src 0
		.amdhsa_exception_fp_ieee_div_zero 0
		.amdhsa_exception_fp_ieee_overflow 0
		.amdhsa_exception_fp_ieee_underflow 0
		.amdhsa_exception_fp_ieee_inexact 0
		.amdhsa_exception_int_div_zero 0
	.end_amdhsa_kernel
	.section	.text._ZN7rocprim17ROCPRIM_400000_NS6detail17trampoline_kernelINS0_14default_configENS1_38merge_sort_block_merge_config_selectorIiiEEZZNS1_27merge_sort_block_merge_implIS3_PiS7_jNS1_19radix_merge_compareILb0ELb1EiNS0_19identity_decomposerEEEEE10hipError_tT0_T1_T2_jT3_P12ihipStream_tbPNSt15iterator_traitsISC_E10value_typeEPNSI_ISD_E10value_typeEPSE_NS1_7vsmem_tEENKUlT_SC_SD_SE_E_clIS7_S7_S7_S7_EESB_SR_SC_SD_SE_EUlSR_E_NS1_11comp_targetILNS1_3genE10ELNS1_11target_archE1201ELNS1_3gpuE5ELNS1_3repE0EEENS1_48merge_mergepath_partition_config_static_selectorELNS0_4arch9wavefront6targetE1EEEvSD_,"axG",@progbits,_ZN7rocprim17ROCPRIM_400000_NS6detail17trampoline_kernelINS0_14default_configENS1_38merge_sort_block_merge_config_selectorIiiEEZZNS1_27merge_sort_block_merge_implIS3_PiS7_jNS1_19radix_merge_compareILb0ELb1EiNS0_19identity_decomposerEEEEE10hipError_tT0_T1_T2_jT3_P12ihipStream_tbPNSt15iterator_traitsISC_E10value_typeEPNSI_ISD_E10value_typeEPSE_NS1_7vsmem_tEENKUlT_SC_SD_SE_E_clIS7_S7_S7_S7_EESB_SR_SC_SD_SE_EUlSR_E_NS1_11comp_targetILNS1_3genE10ELNS1_11target_archE1201ELNS1_3gpuE5ELNS1_3repE0EEENS1_48merge_mergepath_partition_config_static_selectorELNS0_4arch9wavefront6targetE1EEEvSD_,comdat
.Lfunc_end326:
	.size	_ZN7rocprim17ROCPRIM_400000_NS6detail17trampoline_kernelINS0_14default_configENS1_38merge_sort_block_merge_config_selectorIiiEEZZNS1_27merge_sort_block_merge_implIS3_PiS7_jNS1_19radix_merge_compareILb0ELb1EiNS0_19identity_decomposerEEEEE10hipError_tT0_T1_T2_jT3_P12ihipStream_tbPNSt15iterator_traitsISC_E10value_typeEPNSI_ISD_E10value_typeEPSE_NS1_7vsmem_tEENKUlT_SC_SD_SE_E_clIS7_S7_S7_S7_EESB_SR_SC_SD_SE_EUlSR_E_NS1_11comp_targetILNS1_3genE10ELNS1_11target_archE1201ELNS1_3gpuE5ELNS1_3repE0EEENS1_48merge_mergepath_partition_config_static_selectorELNS0_4arch9wavefront6targetE1EEEvSD_, .Lfunc_end326-_ZN7rocprim17ROCPRIM_400000_NS6detail17trampoline_kernelINS0_14default_configENS1_38merge_sort_block_merge_config_selectorIiiEEZZNS1_27merge_sort_block_merge_implIS3_PiS7_jNS1_19radix_merge_compareILb0ELb1EiNS0_19identity_decomposerEEEEE10hipError_tT0_T1_T2_jT3_P12ihipStream_tbPNSt15iterator_traitsISC_E10value_typeEPNSI_ISD_E10value_typeEPSE_NS1_7vsmem_tEENKUlT_SC_SD_SE_E_clIS7_S7_S7_S7_EESB_SR_SC_SD_SE_EUlSR_E_NS1_11comp_targetILNS1_3genE10ELNS1_11target_archE1201ELNS1_3gpuE5ELNS1_3repE0EEENS1_48merge_mergepath_partition_config_static_selectorELNS0_4arch9wavefront6targetE1EEEvSD_
                                        ; -- End function
	.section	.AMDGPU.csdata,"",@progbits
; Kernel info:
; codeLenInByte = 0
; NumSgprs: 4
; NumVgprs: 0
; NumAgprs: 0
; TotalNumVgprs: 0
; ScratchSize: 0
; MemoryBound: 0
; FloatMode: 240
; IeeeMode: 1
; LDSByteSize: 0 bytes/workgroup (compile time only)
; SGPRBlocks: 0
; VGPRBlocks: 0
; NumSGPRsForWavesPerEU: 4
; NumVGPRsForWavesPerEU: 1
; AccumOffset: 4
; Occupancy: 8
; WaveLimiterHint : 0
; COMPUTE_PGM_RSRC2:SCRATCH_EN: 0
; COMPUTE_PGM_RSRC2:USER_SGPR: 6
; COMPUTE_PGM_RSRC2:TRAP_HANDLER: 0
; COMPUTE_PGM_RSRC2:TGID_X_EN: 1
; COMPUTE_PGM_RSRC2:TGID_Y_EN: 0
; COMPUTE_PGM_RSRC2:TGID_Z_EN: 0
; COMPUTE_PGM_RSRC2:TIDIG_COMP_CNT: 0
; COMPUTE_PGM_RSRC3_GFX90A:ACCUM_OFFSET: 0
; COMPUTE_PGM_RSRC3_GFX90A:TG_SPLIT: 0
	.section	.text._ZN7rocprim17ROCPRIM_400000_NS6detail17trampoline_kernelINS0_14default_configENS1_38merge_sort_block_merge_config_selectorIiiEEZZNS1_27merge_sort_block_merge_implIS3_PiS7_jNS1_19radix_merge_compareILb0ELb1EiNS0_19identity_decomposerEEEEE10hipError_tT0_T1_T2_jT3_P12ihipStream_tbPNSt15iterator_traitsISC_E10value_typeEPNSI_ISD_E10value_typeEPSE_NS1_7vsmem_tEENKUlT_SC_SD_SE_E_clIS7_S7_S7_S7_EESB_SR_SC_SD_SE_EUlSR_E_NS1_11comp_targetILNS1_3genE5ELNS1_11target_archE942ELNS1_3gpuE9ELNS1_3repE0EEENS1_48merge_mergepath_partition_config_static_selectorELNS0_4arch9wavefront6targetE1EEEvSD_,"axG",@progbits,_ZN7rocprim17ROCPRIM_400000_NS6detail17trampoline_kernelINS0_14default_configENS1_38merge_sort_block_merge_config_selectorIiiEEZZNS1_27merge_sort_block_merge_implIS3_PiS7_jNS1_19radix_merge_compareILb0ELb1EiNS0_19identity_decomposerEEEEE10hipError_tT0_T1_T2_jT3_P12ihipStream_tbPNSt15iterator_traitsISC_E10value_typeEPNSI_ISD_E10value_typeEPSE_NS1_7vsmem_tEENKUlT_SC_SD_SE_E_clIS7_S7_S7_S7_EESB_SR_SC_SD_SE_EUlSR_E_NS1_11comp_targetILNS1_3genE5ELNS1_11target_archE942ELNS1_3gpuE9ELNS1_3repE0EEENS1_48merge_mergepath_partition_config_static_selectorELNS0_4arch9wavefront6targetE1EEEvSD_,comdat
	.protected	_ZN7rocprim17ROCPRIM_400000_NS6detail17trampoline_kernelINS0_14default_configENS1_38merge_sort_block_merge_config_selectorIiiEEZZNS1_27merge_sort_block_merge_implIS3_PiS7_jNS1_19radix_merge_compareILb0ELb1EiNS0_19identity_decomposerEEEEE10hipError_tT0_T1_T2_jT3_P12ihipStream_tbPNSt15iterator_traitsISC_E10value_typeEPNSI_ISD_E10value_typeEPSE_NS1_7vsmem_tEENKUlT_SC_SD_SE_E_clIS7_S7_S7_S7_EESB_SR_SC_SD_SE_EUlSR_E_NS1_11comp_targetILNS1_3genE5ELNS1_11target_archE942ELNS1_3gpuE9ELNS1_3repE0EEENS1_48merge_mergepath_partition_config_static_selectorELNS0_4arch9wavefront6targetE1EEEvSD_ ; -- Begin function _ZN7rocprim17ROCPRIM_400000_NS6detail17trampoline_kernelINS0_14default_configENS1_38merge_sort_block_merge_config_selectorIiiEEZZNS1_27merge_sort_block_merge_implIS3_PiS7_jNS1_19radix_merge_compareILb0ELb1EiNS0_19identity_decomposerEEEEE10hipError_tT0_T1_T2_jT3_P12ihipStream_tbPNSt15iterator_traitsISC_E10value_typeEPNSI_ISD_E10value_typeEPSE_NS1_7vsmem_tEENKUlT_SC_SD_SE_E_clIS7_S7_S7_S7_EESB_SR_SC_SD_SE_EUlSR_E_NS1_11comp_targetILNS1_3genE5ELNS1_11target_archE942ELNS1_3gpuE9ELNS1_3repE0EEENS1_48merge_mergepath_partition_config_static_selectorELNS0_4arch9wavefront6targetE1EEEvSD_
	.globl	_ZN7rocprim17ROCPRIM_400000_NS6detail17trampoline_kernelINS0_14default_configENS1_38merge_sort_block_merge_config_selectorIiiEEZZNS1_27merge_sort_block_merge_implIS3_PiS7_jNS1_19radix_merge_compareILb0ELb1EiNS0_19identity_decomposerEEEEE10hipError_tT0_T1_T2_jT3_P12ihipStream_tbPNSt15iterator_traitsISC_E10value_typeEPNSI_ISD_E10value_typeEPSE_NS1_7vsmem_tEENKUlT_SC_SD_SE_E_clIS7_S7_S7_S7_EESB_SR_SC_SD_SE_EUlSR_E_NS1_11comp_targetILNS1_3genE5ELNS1_11target_archE942ELNS1_3gpuE9ELNS1_3repE0EEENS1_48merge_mergepath_partition_config_static_selectorELNS0_4arch9wavefront6targetE1EEEvSD_
	.p2align	8
	.type	_ZN7rocprim17ROCPRIM_400000_NS6detail17trampoline_kernelINS0_14default_configENS1_38merge_sort_block_merge_config_selectorIiiEEZZNS1_27merge_sort_block_merge_implIS3_PiS7_jNS1_19radix_merge_compareILb0ELb1EiNS0_19identity_decomposerEEEEE10hipError_tT0_T1_T2_jT3_P12ihipStream_tbPNSt15iterator_traitsISC_E10value_typeEPNSI_ISD_E10value_typeEPSE_NS1_7vsmem_tEENKUlT_SC_SD_SE_E_clIS7_S7_S7_S7_EESB_SR_SC_SD_SE_EUlSR_E_NS1_11comp_targetILNS1_3genE5ELNS1_11target_archE942ELNS1_3gpuE9ELNS1_3repE0EEENS1_48merge_mergepath_partition_config_static_selectorELNS0_4arch9wavefront6targetE1EEEvSD_,@function
_ZN7rocprim17ROCPRIM_400000_NS6detail17trampoline_kernelINS0_14default_configENS1_38merge_sort_block_merge_config_selectorIiiEEZZNS1_27merge_sort_block_merge_implIS3_PiS7_jNS1_19radix_merge_compareILb0ELb1EiNS0_19identity_decomposerEEEEE10hipError_tT0_T1_T2_jT3_P12ihipStream_tbPNSt15iterator_traitsISC_E10value_typeEPNSI_ISD_E10value_typeEPSE_NS1_7vsmem_tEENKUlT_SC_SD_SE_E_clIS7_S7_S7_S7_EESB_SR_SC_SD_SE_EUlSR_E_NS1_11comp_targetILNS1_3genE5ELNS1_11target_archE942ELNS1_3gpuE9ELNS1_3repE0EEENS1_48merge_mergepath_partition_config_static_selectorELNS0_4arch9wavefront6targetE1EEEvSD_: ; @_ZN7rocprim17ROCPRIM_400000_NS6detail17trampoline_kernelINS0_14default_configENS1_38merge_sort_block_merge_config_selectorIiiEEZZNS1_27merge_sort_block_merge_implIS3_PiS7_jNS1_19radix_merge_compareILb0ELb1EiNS0_19identity_decomposerEEEEE10hipError_tT0_T1_T2_jT3_P12ihipStream_tbPNSt15iterator_traitsISC_E10value_typeEPNSI_ISD_E10value_typeEPSE_NS1_7vsmem_tEENKUlT_SC_SD_SE_E_clIS7_S7_S7_S7_EESB_SR_SC_SD_SE_EUlSR_E_NS1_11comp_targetILNS1_3genE5ELNS1_11target_archE942ELNS1_3gpuE9ELNS1_3repE0EEENS1_48merge_mergepath_partition_config_static_selectorELNS0_4arch9wavefront6targetE1EEEvSD_
; %bb.0:
	.section	.rodata,"a",@progbits
	.p2align	6, 0x0
	.amdhsa_kernel _ZN7rocprim17ROCPRIM_400000_NS6detail17trampoline_kernelINS0_14default_configENS1_38merge_sort_block_merge_config_selectorIiiEEZZNS1_27merge_sort_block_merge_implIS3_PiS7_jNS1_19radix_merge_compareILb0ELb1EiNS0_19identity_decomposerEEEEE10hipError_tT0_T1_T2_jT3_P12ihipStream_tbPNSt15iterator_traitsISC_E10value_typeEPNSI_ISD_E10value_typeEPSE_NS1_7vsmem_tEENKUlT_SC_SD_SE_E_clIS7_S7_S7_S7_EESB_SR_SC_SD_SE_EUlSR_E_NS1_11comp_targetILNS1_3genE5ELNS1_11target_archE942ELNS1_3gpuE9ELNS1_3repE0EEENS1_48merge_mergepath_partition_config_static_selectorELNS0_4arch9wavefront6targetE1EEEvSD_
		.amdhsa_group_segment_fixed_size 0
		.amdhsa_private_segment_fixed_size 0
		.amdhsa_kernarg_size 40
		.amdhsa_user_sgpr_count 6
		.amdhsa_user_sgpr_private_segment_buffer 1
		.amdhsa_user_sgpr_dispatch_ptr 0
		.amdhsa_user_sgpr_queue_ptr 0
		.amdhsa_user_sgpr_kernarg_segment_ptr 1
		.amdhsa_user_sgpr_dispatch_id 0
		.amdhsa_user_sgpr_flat_scratch_init 0
		.amdhsa_user_sgpr_kernarg_preload_length 0
		.amdhsa_user_sgpr_kernarg_preload_offset 0
		.amdhsa_user_sgpr_private_segment_size 0
		.amdhsa_uses_dynamic_stack 0
		.amdhsa_system_sgpr_private_segment_wavefront_offset 0
		.amdhsa_system_sgpr_workgroup_id_x 1
		.amdhsa_system_sgpr_workgroup_id_y 0
		.amdhsa_system_sgpr_workgroup_id_z 0
		.amdhsa_system_sgpr_workgroup_info 0
		.amdhsa_system_vgpr_workitem_id 0
		.amdhsa_next_free_vgpr 1
		.amdhsa_next_free_sgpr 0
		.amdhsa_accum_offset 4
		.amdhsa_reserve_vcc 0
		.amdhsa_reserve_flat_scratch 0
		.amdhsa_float_round_mode_32 0
		.amdhsa_float_round_mode_16_64 0
		.amdhsa_float_denorm_mode_32 3
		.amdhsa_float_denorm_mode_16_64 3
		.amdhsa_dx10_clamp 1
		.amdhsa_ieee_mode 1
		.amdhsa_fp16_overflow 0
		.amdhsa_tg_split 0
		.amdhsa_exception_fp_ieee_invalid_op 0
		.amdhsa_exception_fp_denorm_src 0
		.amdhsa_exception_fp_ieee_div_zero 0
		.amdhsa_exception_fp_ieee_overflow 0
		.amdhsa_exception_fp_ieee_underflow 0
		.amdhsa_exception_fp_ieee_inexact 0
		.amdhsa_exception_int_div_zero 0
	.end_amdhsa_kernel
	.section	.text._ZN7rocprim17ROCPRIM_400000_NS6detail17trampoline_kernelINS0_14default_configENS1_38merge_sort_block_merge_config_selectorIiiEEZZNS1_27merge_sort_block_merge_implIS3_PiS7_jNS1_19radix_merge_compareILb0ELb1EiNS0_19identity_decomposerEEEEE10hipError_tT0_T1_T2_jT3_P12ihipStream_tbPNSt15iterator_traitsISC_E10value_typeEPNSI_ISD_E10value_typeEPSE_NS1_7vsmem_tEENKUlT_SC_SD_SE_E_clIS7_S7_S7_S7_EESB_SR_SC_SD_SE_EUlSR_E_NS1_11comp_targetILNS1_3genE5ELNS1_11target_archE942ELNS1_3gpuE9ELNS1_3repE0EEENS1_48merge_mergepath_partition_config_static_selectorELNS0_4arch9wavefront6targetE1EEEvSD_,"axG",@progbits,_ZN7rocprim17ROCPRIM_400000_NS6detail17trampoline_kernelINS0_14default_configENS1_38merge_sort_block_merge_config_selectorIiiEEZZNS1_27merge_sort_block_merge_implIS3_PiS7_jNS1_19radix_merge_compareILb0ELb1EiNS0_19identity_decomposerEEEEE10hipError_tT0_T1_T2_jT3_P12ihipStream_tbPNSt15iterator_traitsISC_E10value_typeEPNSI_ISD_E10value_typeEPSE_NS1_7vsmem_tEENKUlT_SC_SD_SE_E_clIS7_S7_S7_S7_EESB_SR_SC_SD_SE_EUlSR_E_NS1_11comp_targetILNS1_3genE5ELNS1_11target_archE942ELNS1_3gpuE9ELNS1_3repE0EEENS1_48merge_mergepath_partition_config_static_selectorELNS0_4arch9wavefront6targetE1EEEvSD_,comdat
.Lfunc_end327:
	.size	_ZN7rocprim17ROCPRIM_400000_NS6detail17trampoline_kernelINS0_14default_configENS1_38merge_sort_block_merge_config_selectorIiiEEZZNS1_27merge_sort_block_merge_implIS3_PiS7_jNS1_19radix_merge_compareILb0ELb1EiNS0_19identity_decomposerEEEEE10hipError_tT0_T1_T2_jT3_P12ihipStream_tbPNSt15iterator_traitsISC_E10value_typeEPNSI_ISD_E10value_typeEPSE_NS1_7vsmem_tEENKUlT_SC_SD_SE_E_clIS7_S7_S7_S7_EESB_SR_SC_SD_SE_EUlSR_E_NS1_11comp_targetILNS1_3genE5ELNS1_11target_archE942ELNS1_3gpuE9ELNS1_3repE0EEENS1_48merge_mergepath_partition_config_static_selectorELNS0_4arch9wavefront6targetE1EEEvSD_, .Lfunc_end327-_ZN7rocprim17ROCPRIM_400000_NS6detail17trampoline_kernelINS0_14default_configENS1_38merge_sort_block_merge_config_selectorIiiEEZZNS1_27merge_sort_block_merge_implIS3_PiS7_jNS1_19radix_merge_compareILb0ELb1EiNS0_19identity_decomposerEEEEE10hipError_tT0_T1_T2_jT3_P12ihipStream_tbPNSt15iterator_traitsISC_E10value_typeEPNSI_ISD_E10value_typeEPSE_NS1_7vsmem_tEENKUlT_SC_SD_SE_E_clIS7_S7_S7_S7_EESB_SR_SC_SD_SE_EUlSR_E_NS1_11comp_targetILNS1_3genE5ELNS1_11target_archE942ELNS1_3gpuE9ELNS1_3repE0EEENS1_48merge_mergepath_partition_config_static_selectorELNS0_4arch9wavefront6targetE1EEEvSD_
                                        ; -- End function
	.section	.AMDGPU.csdata,"",@progbits
; Kernel info:
; codeLenInByte = 0
; NumSgprs: 4
; NumVgprs: 0
; NumAgprs: 0
; TotalNumVgprs: 0
; ScratchSize: 0
; MemoryBound: 0
; FloatMode: 240
; IeeeMode: 1
; LDSByteSize: 0 bytes/workgroup (compile time only)
; SGPRBlocks: 0
; VGPRBlocks: 0
; NumSGPRsForWavesPerEU: 4
; NumVGPRsForWavesPerEU: 1
; AccumOffset: 4
; Occupancy: 8
; WaveLimiterHint : 0
; COMPUTE_PGM_RSRC2:SCRATCH_EN: 0
; COMPUTE_PGM_RSRC2:USER_SGPR: 6
; COMPUTE_PGM_RSRC2:TRAP_HANDLER: 0
; COMPUTE_PGM_RSRC2:TGID_X_EN: 1
; COMPUTE_PGM_RSRC2:TGID_Y_EN: 0
; COMPUTE_PGM_RSRC2:TGID_Z_EN: 0
; COMPUTE_PGM_RSRC2:TIDIG_COMP_CNT: 0
; COMPUTE_PGM_RSRC3_GFX90A:ACCUM_OFFSET: 0
; COMPUTE_PGM_RSRC3_GFX90A:TG_SPLIT: 0
	.section	.text._ZN7rocprim17ROCPRIM_400000_NS6detail17trampoline_kernelINS0_14default_configENS1_38merge_sort_block_merge_config_selectorIiiEEZZNS1_27merge_sort_block_merge_implIS3_PiS7_jNS1_19radix_merge_compareILb0ELb1EiNS0_19identity_decomposerEEEEE10hipError_tT0_T1_T2_jT3_P12ihipStream_tbPNSt15iterator_traitsISC_E10value_typeEPNSI_ISD_E10value_typeEPSE_NS1_7vsmem_tEENKUlT_SC_SD_SE_E_clIS7_S7_S7_S7_EESB_SR_SC_SD_SE_EUlSR_E_NS1_11comp_targetILNS1_3genE4ELNS1_11target_archE910ELNS1_3gpuE8ELNS1_3repE0EEENS1_48merge_mergepath_partition_config_static_selectorELNS0_4arch9wavefront6targetE1EEEvSD_,"axG",@progbits,_ZN7rocprim17ROCPRIM_400000_NS6detail17trampoline_kernelINS0_14default_configENS1_38merge_sort_block_merge_config_selectorIiiEEZZNS1_27merge_sort_block_merge_implIS3_PiS7_jNS1_19radix_merge_compareILb0ELb1EiNS0_19identity_decomposerEEEEE10hipError_tT0_T1_T2_jT3_P12ihipStream_tbPNSt15iterator_traitsISC_E10value_typeEPNSI_ISD_E10value_typeEPSE_NS1_7vsmem_tEENKUlT_SC_SD_SE_E_clIS7_S7_S7_S7_EESB_SR_SC_SD_SE_EUlSR_E_NS1_11comp_targetILNS1_3genE4ELNS1_11target_archE910ELNS1_3gpuE8ELNS1_3repE0EEENS1_48merge_mergepath_partition_config_static_selectorELNS0_4arch9wavefront6targetE1EEEvSD_,comdat
	.protected	_ZN7rocprim17ROCPRIM_400000_NS6detail17trampoline_kernelINS0_14default_configENS1_38merge_sort_block_merge_config_selectorIiiEEZZNS1_27merge_sort_block_merge_implIS3_PiS7_jNS1_19radix_merge_compareILb0ELb1EiNS0_19identity_decomposerEEEEE10hipError_tT0_T1_T2_jT3_P12ihipStream_tbPNSt15iterator_traitsISC_E10value_typeEPNSI_ISD_E10value_typeEPSE_NS1_7vsmem_tEENKUlT_SC_SD_SE_E_clIS7_S7_S7_S7_EESB_SR_SC_SD_SE_EUlSR_E_NS1_11comp_targetILNS1_3genE4ELNS1_11target_archE910ELNS1_3gpuE8ELNS1_3repE0EEENS1_48merge_mergepath_partition_config_static_selectorELNS0_4arch9wavefront6targetE1EEEvSD_ ; -- Begin function _ZN7rocprim17ROCPRIM_400000_NS6detail17trampoline_kernelINS0_14default_configENS1_38merge_sort_block_merge_config_selectorIiiEEZZNS1_27merge_sort_block_merge_implIS3_PiS7_jNS1_19radix_merge_compareILb0ELb1EiNS0_19identity_decomposerEEEEE10hipError_tT0_T1_T2_jT3_P12ihipStream_tbPNSt15iterator_traitsISC_E10value_typeEPNSI_ISD_E10value_typeEPSE_NS1_7vsmem_tEENKUlT_SC_SD_SE_E_clIS7_S7_S7_S7_EESB_SR_SC_SD_SE_EUlSR_E_NS1_11comp_targetILNS1_3genE4ELNS1_11target_archE910ELNS1_3gpuE8ELNS1_3repE0EEENS1_48merge_mergepath_partition_config_static_selectorELNS0_4arch9wavefront6targetE1EEEvSD_
	.globl	_ZN7rocprim17ROCPRIM_400000_NS6detail17trampoline_kernelINS0_14default_configENS1_38merge_sort_block_merge_config_selectorIiiEEZZNS1_27merge_sort_block_merge_implIS3_PiS7_jNS1_19radix_merge_compareILb0ELb1EiNS0_19identity_decomposerEEEEE10hipError_tT0_T1_T2_jT3_P12ihipStream_tbPNSt15iterator_traitsISC_E10value_typeEPNSI_ISD_E10value_typeEPSE_NS1_7vsmem_tEENKUlT_SC_SD_SE_E_clIS7_S7_S7_S7_EESB_SR_SC_SD_SE_EUlSR_E_NS1_11comp_targetILNS1_3genE4ELNS1_11target_archE910ELNS1_3gpuE8ELNS1_3repE0EEENS1_48merge_mergepath_partition_config_static_selectorELNS0_4arch9wavefront6targetE1EEEvSD_
	.p2align	8
	.type	_ZN7rocprim17ROCPRIM_400000_NS6detail17trampoline_kernelINS0_14default_configENS1_38merge_sort_block_merge_config_selectorIiiEEZZNS1_27merge_sort_block_merge_implIS3_PiS7_jNS1_19radix_merge_compareILb0ELb1EiNS0_19identity_decomposerEEEEE10hipError_tT0_T1_T2_jT3_P12ihipStream_tbPNSt15iterator_traitsISC_E10value_typeEPNSI_ISD_E10value_typeEPSE_NS1_7vsmem_tEENKUlT_SC_SD_SE_E_clIS7_S7_S7_S7_EESB_SR_SC_SD_SE_EUlSR_E_NS1_11comp_targetILNS1_3genE4ELNS1_11target_archE910ELNS1_3gpuE8ELNS1_3repE0EEENS1_48merge_mergepath_partition_config_static_selectorELNS0_4arch9wavefront6targetE1EEEvSD_,@function
_ZN7rocprim17ROCPRIM_400000_NS6detail17trampoline_kernelINS0_14default_configENS1_38merge_sort_block_merge_config_selectorIiiEEZZNS1_27merge_sort_block_merge_implIS3_PiS7_jNS1_19radix_merge_compareILb0ELb1EiNS0_19identity_decomposerEEEEE10hipError_tT0_T1_T2_jT3_P12ihipStream_tbPNSt15iterator_traitsISC_E10value_typeEPNSI_ISD_E10value_typeEPSE_NS1_7vsmem_tEENKUlT_SC_SD_SE_E_clIS7_S7_S7_S7_EESB_SR_SC_SD_SE_EUlSR_E_NS1_11comp_targetILNS1_3genE4ELNS1_11target_archE910ELNS1_3gpuE8ELNS1_3repE0EEENS1_48merge_mergepath_partition_config_static_selectorELNS0_4arch9wavefront6targetE1EEEvSD_: ; @_ZN7rocprim17ROCPRIM_400000_NS6detail17trampoline_kernelINS0_14default_configENS1_38merge_sort_block_merge_config_selectorIiiEEZZNS1_27merge_sort_block_merge_implIS3_PiS7_jNS1_19radix_merge_compareILb0ELb1EiNS0_19identity_decomposerEEEEE10hipError_tT0_T1_T2_jT3_P12ihipStream_tbPNSt15iterator_traitsISC_E10value_typeEPNSI_ISD_E10value_typeEPSE_NS1_7vsmem_tEENKUlT_SC_SD_SE_E_clIS7_S7_S7_S7_EESB_SR_SC_SD_SE_EUlSR_E_NS1_11comp_targetILNS1_3genE4ELNS1_11target_archE910ELNS1_3gpuE8ELNS1_3repE0EEENS1_48merge_mergepath_partition_config_static_selectorELNS0_4arch9wavefront6targetE1EEEvSD_
; %bb.0:
	s_load_dword s0, s[4:5], 0x0
	v_lshl_or_b32 v0, s6, 7, v0
	s_waitcnt lgkmcnt(0)
	v_cmp_gt_u32_e32 vcc, s0, v0
	s_and_saveexec_b64 s[0:1], vcc
	s_cbranch_execz .LBB328_6
; %bb.1:
	s_load_dwordx2 s[2:3], s[4:5], 0x4
	s_load_dwordx2 s[0:1], s[4:5], 0x20
	s_waitcnt lgkmcnt(0)
	s_lshr_b32 s6, s2, 9
	s_and_b32 s6, s6, 0x7ffffe
	s_add_i32 s7, s6, -1
	s_sub_i32 s6, 0, s6
	v_and_b32_e32 v1, s6, v0
	v_lshlrev_b32_e32 v1, 10, v1
	v_min_u32_e32 v2, s3, v1
	v_add_u32_e32 v1, s2, v1
	v_min_u32_e32 v4, s3, v1
	v_add_u32_e32 v1, s2, v4
	v_and_b32_e32 v3, s7, v0
	v_min_u32_e32 v1, s3, v1
	v_sub_u32_e32 v5, v1, v2
	v_lshlrev_b32_e32 v3, 10, v3
	v_min_u32_e32 v6, v5, v3
	v_sub_u32_e32 v3, v4, v2
	v_sub_u32_e32 v1, v1, v4
	v_sub_u32_e64 v1, v6, v1 clamp
	v_min_u32_e32 v7, v6, v3
	v_cmp_lt_u32_e32 vcc, v1, v7
	s_and_saveexec_b64 s[2:3], vcc
	s_cbranch_execz .LBB328_5
; %bb.2:
	s_load_dwordx2 s[8:9], s[4:5], 0x10
	s_load_dword s6, s[4:5], 0x18
	v_mov_b32_e32 v5, 0
	v_mov_b32_e32 v3, v5
	v_lshlrev_b64 v[8:9], 2, v[2:3]
	s_waitcnt lgkmcnt(0)
	v_mov_b32_e32 v12, s9
	v_add_co_u32_e32 v3, vcc, s8, v8
	v_addc_co_u32_e32 v8, vcc, v12, v9, vcc
	v_lshlrev_b64 v[10:11], 2, v[4:5]
	v_add_co_u32_e32 v9, vcc, s8, v10
	v_addc_co_u32_e32 v10, vcc, v12, v11, vcc
	s_mov_b64 s[4:5], 0
.LBB328_3:                              ; =>This Inner Loop Header: Depth=1
	v_add_u32_e32 v4, v7, v1
	v_lshrrev_b32_e32 v4, 1, v4
	v_lshlrev_b64 v[14:15], 2, v[4:5]
	v_mov_b32_e32 v13, v5
	v_xad_u32 v12, v4, -1, v6
	v_add_co_u32_e32 v14, vcc, v3, v14
	v_addc_co_u32_e32 v15, vcc, v8, v15, vcc
	v_lshlrev_b64 v[12:13], 2, v[12:13]
	v_add_co_u32_e32 v12, vcc, v9, v12
	v_addc_co_u32_e32 v13, vcc, v10, v13, vcc
	global_load_dword v11, v[14:15], off
	global_load_dword v16, v[12:13], off
	v_add_u32_e32 v12, 1, v4
	s_waitcnt vmcnt(1)
	v_and_b32_e32 v11, s6, v11
	s_waitcnt vmcnt(0)
	v_and_b32_e32 v13, s6, v16
	v_cmp_gt_i32_e32 vcc, v11, v13
	v_cndmask_b32_e32 v7, v7, v4, vcc
	v_cndmask_b32_e32 v1, v12, v1, vcc
	v_cmp_ge_u32_e32 vcc, v1, v7
	s_or_b64 s[4:5], vcc, s[4:5]
	s_andn2_b64 exec, exec, s[4:5]
	s_cbranch_execnz .LBB328_3
; %bb.4:
	s_or_b64 exec, exec, s[4:5]
.LBB328_5:
	s_or_b64 exec, exec, s[2:3]
	v_add_u32_e32 v2, v1, v2
	v_mov_b32_e32 v1, 0
	v_lshlrev_b64 v[0:1], 2, v[0:1]
	v_mov_b32_e32 v3, s1
	v_add_co_u32_e32 v0, vcc, s0, v0
	v_addc_co_u32_e32 v1, vcc, v3, v1, vcc
	global_store_dword v[0:1], v2, off
.LBB328_6:
	s_endpgm
	.section	.rodata,"a",@progbits
	.p2align	6, 0x0
	.amdhsa_kernel _ZN7rocprim17ROCPRIM_400000_NS6detail17trampoline_kernelINS0_14default_configENS1_38merge_sort_block_merge_config_selectorIiiEEZZNS1_27merge_sort_block_merge_implIS3_PiS7_jNS1_19radix_merge_compareILb0ELb1EiNS0_19identity_decomposerEEEEE10hipError_tT0_T1_T2_jT3_P12ihipStream_tbPNSt15iterator_traitsISC_E10value_typeEPNSI_ISD_E10value_typeEPSE_NS1_7vsmem_tEENKUlT_SC_SD_SE_E_clIS7_S7_S7_S7_EESB_SR_SC_SD_SE_EUlSR_E_NS1_11comp_targetILNS1_3genE4ELNS1_11target_archE910ELNS1_3gpuE8ELNS1_3repE0EEENS1_48merge_mergepath_partition_config_static_selectorELNS0_4arch9wavefront6targetE1EEEvSD_
		.amdhsa_group_segment_fixed_size 0
		.amdhsa_private_segment_fixed_size 0
		.amdhsa_kernarg_size 40
		.amdhsa_user_sgpr_count 6
		.amdhsa_user_sgpr_private_segment_buffer 1
		.amdhsa_user_sgpr_dispatch_ptr 0
		.amdhsa_user_sgpr_queue_ptr 0
		.amdhsa_user_sgpr_kernarg_segment_ptr 1
		.amdhsa_user_sgpr_dispatch_id 0
		.amdhsa_user_sgpr_flat_scratch_init 0
		.amdhsa_user_sgpr_kernarg_preload_length 0
		.amdhsa_user_sgpr_kernarg_preload_offset 0
		.amdhsa_user_sgpr_private_segment_size 0
		.amdhsa_uses_dynamic_stack 0
		.amdhsa_system_sgpr_private_segment_wavefront_offset 0
		.amdhsa_system_sgpr_workgroup_id_x 1
		.amdhsa_system_sgpr_workgroup_id_y 0
		.amdhsa_system_sgpr_workgroup_id_z 0
		.amdhsa_system_sgpr_workgroup_info 0
		.amdhsa_system_vgpr_workitem_id 0
		.amdhsa_next_free_vgpr 17
		.amdhsa_next_free_sgpr 10
		.amdhsa_accum_offset 20
		.amdhsa_reserve_vcc 1
		.amdhsa_reserve_flat_scratch 0
		.amdhsa_float_round_mode_32 0
		.amdhsa_float_round_mode_16_64 0
		.amdhsa_float_denorm_mode_32 3
		.amdhsa_float_denorm_mode_16_64 3
		.amdhsa_dx10_clamp 1
		.amdhsa_ieee_mode 1
		.amdhsa_fp16_overflow 0
		.amdhsa_tg_split 0
		.amdhsa_exception_fp_ieee_invalid_op 0
		.amdhsa_exception_fp_denorm_src 0
		.amdhsa_exception_fp_ieee_div_zero 0
		.amdhsa_exception_fp_ieee_overflow 0
		.amdhsa_exception_fp_ieee_underflow 0
		.amdhsa_exception_fp_ieee_inexact 0
		.amdhsa_exception_int_div_zero 0
	.end_amdhsa_kernel
	.section	.text._ZN7rocprim17ROCPRIM_400000_NS6detail17trampoline_kernelINS0_14default_configENS1_38merge_sort_block_merge_config_selectorIiiEEZZNS1_27merge_sort_block_merge_implIS3_PiS7_jNS1_19radix_merge_compareILb0ELb1EiNS0_19identity_decomposerEEEEE10hipError_tT0_T1_T2_jT3_P12ihipStream_tbPNSt15iterator_traitsISC_E10value_typeEPNSI_ISD_E10value_typeEPSE_NS1_7vsmem_tEENKUlT_SC_SD_SE_E_clIS7_S7_S7_S7_EESB_SR_SC_SD_SE_EUlSR_E_NS1_11comp_targetILNS1_3genE4ELNS1_11target_archE910ELNS1_3gpuE8ELNS1_3repE0EEENS1_48merge_mergepath_partition_config_static_selectorELNS0_4arch9wavefront6targetE1EEEvSD_,"axG",@progbits,_ZN7rocprim17ROCPRIM_400000_NS6detail17trampoline_kernelINS0_14default_configENS1_38merge_sort_block_merge_config_selectorIiiEEZZNS1_27merge_sort_block_merge_implIS3_PiS7_jNS1_19radix_merge_compareILb0ELb1EiNS0_19identity_decomposerEEEEE10hipError_tT0_T1_T2_jT3_P12ihipStream_tbPNSt15iterator_traitsISC_E10value_typeEPNSI_ISD_E10value_typeEPSE_NS1_7vsmem_tEENKUlT_SC_SD_SE_E_clIS7_S7_S7_S7_EESB_SR_SC_SD_SE_EUlSR_E_NS1_11comp_targetILNS1_3genE4ELNS1_11target_archE910ELNS1_3gpuE8ELNS1_3repE0EEENS1_48merge_mergepath_partition_config_static_selectorELNS0_4arch9wavefront6targetE1EEEvSD_,comdat
.Lfunc_end328:
	.size	_ZN7rocprim17ROCPRIM_400000_NS6detail17trampoline_kernelINS0_14default_configENS1_38merge_sort_block_merge_config_selectorIiiEEZZNS1_27merge_sort_block_merge_implIS3_PiS7_jNS1_19radix_merge_compareILb0ELb1EiNS0_19identity_decomposerEEEEE10hipError_tT0_T1_T2_jT3_P12ihipStream_tbPNSt15iterator_traitsISC_E10value_typeEPNSI_ISD_E10value_typeEPSE_NS1_7vsmem_tEENKUlT_SC_SD_SE_E_clIS7_S7_S7_S7_EESB_SR_SC_SD_SE_EUlSR_E_NS1_11comp_targetILNS1_3genE4ELNS1_11target_archE910ELNS1_3gpuE8ELNS1_3repE0EEENS1_48merge_mergepath_partition_config_static_selectorELNS0_4arch9wavefront6targetE1EEEvSD_, .Lfunc_end328-_ZN7rocprim17ROCPRIM_400000_NS6detail17trampoline_kernelINS0_14default_configENS1_38merge_sort_block_merge_config_selectorIiiEEZZNS1_27merge_sort_block_merge_implIS3_PiS7_jNS1_19radix_merge_compareILb0ELb1EiNS0_19identity_decomposerEEEEE10hipError_tT0_T1_T2_jT3_P12ihipStream_tbPNSt15iterator_traitsISC_E10value_typeEPNSI_ISD_E10value_typeEPSE_NS1_7vsmem_tEENKUlT_SC_SD_SE_E_clIS7_S7_S7_S7_EESB_SR_SC_SD_SE_EUlSR_E_NS1_11comp_targetILNS1_3genE4ELNS1_11target_archE910ELNS1_3gpuE8ELNS1_3repE0EEENS1_48merge_mergepath_partition_config_static_selectorELNS0_4arch9wavefront6targetE1EEEvSD_
                                        ; -- End function
	.section	.AMDGPU.csdata,"",@progbits
; Kernel info:
; codeLenInByte = 380
; NumSgprs: 14
; NumVgprs: 17
; NumAgprs: 0
; TotalNumVgprs: 17
; ScratchSize: 0
; MemoryBound: 0
; FloatMode: 240
; IeeeMode: 1
; LDSByteSize: 0 bytes/workgroup (compile time only)
; SGPRBlocks: 1
; VGPRBlocks: 2
; NumSGPRsForWavesPerEU: 14
; NumVGPRsForWavesPerEU: 17
; AccumOffset: 20
; Occupancy: 8
; WaveLimiterHint : 0
; COMPUTE_PGM_RSRC2:SCRATCH_EN: 0
; COMPUTE_PGM_RSRC2:USER_SGPR: 6
; COMPUTE_PGM_RSRC2:TRAP_HANDLER: 0
; COMPUTE_PGM_RSRC2:TGID_X_EN: 1
; COMPUTE_PGM_RSRC2:TGID_Y_EN: 0
; COMPUTE_PGM_RSRC2:TGID_Z_EN: 0
; COMPUTE_PGM_RSRC2:TIDIG_COMP_CNT: 0
; COMPUTE_PGM_RSRC3_GFX90A:ACCUM_OFFSET: 4
; COMPUTE_PGM_RSRC3_GFX90A:TG_SPLIT: 0
	.section	.text._ZN7rocprim17ROCPRIM_400000_NS6detail17trampoline_kernelINS0_14default_configENS1_38merge_sort_block_merge_config_selectorIiiEEZZNS1_27merge_sort_block_merge_implIS3_PiS7_jNS1_19radix_merge_compareILb0ELb1EiNS0_19identity_decomposerEEEEE10hipError_tT0_T1_T2_jT3_P12ihipStream_tbPNSt15iterator_traitsISC_E10value_typeEPNSI_ISD_E10value_typeEPSE_NS1_7vsmem_tEENKUlT_SC_SD_SE_E_clIS7_S7_S7_S7_EESB_SR_SC_SD_SE_EUlSR_E_NS1_11comp_targetILNS1_3genE3ELNS1_11target_archE908ELNS1_3gpuE7ELNS1_3repE0EEENS1_48merge_mergepath_partition_config_static_selectorELNS0_4arch9wavefront6targetE1EEEvSD_,"axG",@progbits,_ZN7rocprim17ROCPRIM_400000_NS6detail17trampoline_kernelINS0_14default_configENS1_38merge_sort_block_merge_config_selectorIiiEEZZNS1_27merge_sort_block_merge_implIS3_PiS7_jNS1_19radix_merge_compareILb0ELb1EiNS0_19identity_decomposerEEEEE10hipError_tT0_T1_T2_jT3_P12ihipStream_tbPNSt15iterator_traitsISC_E10value_typeEPNSI_ISD_E10value_typeEPSE_NS1_7vsmem_tEENKUlT_SC_SD_SE_E_clIS7_S7_S7_S7_EESB_SR_SC_SD_SE_EUlSR_E_NS1_11comp_targetILNS1_3genE3ELNS1_11target_archE908ELNS1_3gpuE7ELNS1_3repE0EEENS1_48merge_mergepath_partition_config_static_selectorELNS0_4arch9wavefront6targetE1EEEvSD_,comdat
	.protected	_ZN7rocprim17ROCPRIM_400000_NS6detail17trampoline_kernelINS0_14default_configENS1_38merge_sort_block_merge_config_selectorIiiEEZZNS1_27merge_sort_block_merge_implIS3_PiS7_jNS1_19radix_merge_compareILb0ELb1EiNS0_19identity_decomposerEEEEE10hipError_tT0_T1_T2_jT3_P12ihipStream_tbPNSt15iterator_traitsISC_E10value_typeEPNSI_ISD_E10value_typeEPSE_NS1_7vsmem_tEENKUlT_SC_SD_SE_E_clIS7_S7_S7_S7_EESB_SR_SC_SD_SE_EUlSR_E_NS1_11comp_targetILNS1_3genE3ELNS1_11target_archE908ELNS1_3gpuE7ELNS1_3repE0EEENS1_48merge_mergepath_partition_config_static_selectorELNS0_4arch9wavefront6targetE1EEEvSD_ ; -- Begin function _ZN7rocprim17ROCPRIM_400000_NS6detail17trampoline_kernelINS0_14default_configENS1_38merge_sort_block_merge_config_selectorIiiEEZZNS1_27merge_sort_block_merge_implIS3_PiS7_jNS1_19radix_merge_compareILb0ELb1EiNS0_19identity_decomposerEEEEE10hipError_tT0_T1_T2_jT3_P12ihipStream_tbPNSt15iterator_traitsISC_E10value_typeEPNSI_ISD_E10value_typeEPSE_NS1_7vsmem_tEENKUlT_SC_SD_SE_E_clIS7_S7_S7_S7_EESB_SR_SC_SD_SE_EUlSR_E_NS1_11comp_targetILNS1_3genE3ELNS1_11target_archE908ELNS1_3gpuE7ELNS1_3repE0EEENS1_48merge_mergepath_partition_config_static_selectorELNS0_4arch9wavefront6targetE1EEEvSD_
	.globl	_ZN7rocprim17ROCPRIM_400000_NS6detail17trampoline_kernelINS0_14default_configENS1_38merge_sort_block_merge_config_selectorIiiEEZZNS1_27merge_sort_block_merge_implIS3_PiS7_jNS1_19radix_merge_compareILb0ELb1EiNS0_19identity_decomposerEEEEE10hipError_tT0_T1_T2_jT3_P12ihipStream_tbPNSt15iterator_traitsISC_E10value_typeEPNSI_ISD_E10value_typeEPSE_NS1_7vsmem_tEENKUlT_SC_SD_SE_E_clIS7_S7_S7_S7_EESB_SR_SC_SD_SE_EUlSR_E_NS1_11comp_targetILNS1_3genE3ELNS1_11target_archE908ELNS1_3gpuE7ELNS1_3repE0EEENS1_48merge_mergepath_partition_config_static_selectorELNS0_4arch9wavefront6targetE1EEEvSD_
	.p2align	8
	.type	_ZN7rocprim17ROCPRIM_400000_NS6detail17trampoline_kernelINS0_14default_configENS1_38merge_sort_block_merge_config_selectorIiiEEZZNS1_27merge_sort_block_merge_implIS3_PiS7_jNS1_19radix_merge_compareILb0ELb1EiNS0_19identity_decomposerEEEEE10hipError_tT0_T1_T2_jT3_P12ihipStream_tbPNSt15iterator_traitsISC_E10value_typeEPNSI_ISD_E10value_typeEPSE_NS1_7vsmem_tEENKUlT_SC_SD_SE_E_clIS7_S7_S7_S7_EESB_SR_SC_SD_SE_EUlSR_E_NS1_11comp_targetILNS1_3genE3ELNS1_11target_archE908ELNS1_3gpuE7ELNS1_3repE0EEENS1_48merge_mergepath_partition_config_static_selectorELNS0_4arch9wavefront6targetE1EEEvSD_,@function
_ZN7rocprim17ROCPRIM_400000_NS6detail17trampoline_kernelINS0_14default_configENS1_38merge_sort_block_merge_config_selectorIiiEEZZNS1_27merge_sort_block_merge_implIS3_PiS7_jNS1_19radix_merge_compareILb0ELb1EiNS0_19identity_decomposerEEEEE10hipError_tT0_T1_T2_jT3_P12ihipStream_tbPNSt15iterator_traitsISC_E10value_typeEPNSI_ISD_E10value_typeEPSE_NS1_7vsmem_tEENKUlT_SC_SD_SE_E_clIS7_S7_S7_S7_EESB_SR_SC_SD_SE_EUlSR_E_NS1_11comp_targetILNS1_3genE3ELNS1_11target_archE908ELNS1_3gpuE7ELNS1_3repE0EEENS1_48merge_mergepath_partition_config_static_selectorELNS0_4arch9wavefront6targetE1EEEvSD_: ; @_ZN7rocprim17ROCPRIM_400000_NS6detail17trampoline_kernelINS0_14default_configENS1_38merge_sort_block_merge_config_selectorIiiEEZZNS1_27merge_sort_block_merge_implIS3_PiS7_jNS1_19radix_merge_compareILb0ELb1EiNS0_19identity_decomposerEEEEE10hipError_tT0_T1_T2_jT3_P12ihipStream_tbPNSt15iterator_traitsISC_E10value_typeEPNSI_ISD_E10value_typeEPSE_NS1_7vsmem_tEENKUlT_SC_SD_SE_E_clIS7_S7_S7_S7_EESB_SR_SC_SD_SE_EUlSR_E_NS1_11comp_targetILNS1_3genE3ELNS1_11target_archE908ELNS1_3gpuE7ELNS1_3repE0EEENS1_48merge_mergepath_partition_config_static_selectorELNS0_4arch9wavefront6targetE1EEEvSD_
; %bb.0:
	.section	.rodata,"a",@progbits
	.p2align	6, 0x0
	.amdhsa_kernel _ZN7rocprim17ROCPRIM_400000_NS6detail17trampoline_kernelINS0_14default_configENS1_38merge_sort_block_merge_config_selectorIiiEEZZNS1_27merge_sort_block_merge_implIS3_PiS7_jNS1_19radix_merge_compareILb0ELb1EiNS0_19identity_decomposerEEEEE10hipError_tT0_T1_T2_jT3_P12ihipStream_tbPNSt15iterator_traitsISC_E10value_typeEPNSI_ISD_E10value_typeEPSE_NS1_7vsmem_tEENKUlT_SC_SD_SE_E_clIS7_S7_S7_S7_EESB_SR_SC_SD_SE_EUlSR_E_NS1_11comp_targetILNS1_3genE3ELNS1_11target_archE908ELNS1_3gpuE7ELNS1_3repE0EEENS1_48merge_mergepath_partition_config_static_selectorELNS0_4arch9wavefront6targetE1EEEvSD_
		.amdhsa_group_segment_fixed_size 0
		.amdhsa_private_segment_fixed_size 0
		.amdhsa_kernarg_size 40
		.amdhsa_user_sgpr_count 6
		.amdhsa_user_sgpr_private_segment_buffer 1
		.amdhsa_user_sgpr_dispatch_ptr 0
		.amdhsa_user_sgpr_queue_ptr 0
		.amdhsa_user_sgpr_kernarg_segment_ptr 1
		.amdhsa_user_sgpr_dispatch_id 0
		.amdhsa_user_sgpr_flat_scratch_init 0
		.amdhsa_user_sgpr_kernarg_preload_length 0
		.amdhsa_user_sgpr_kernarg_preload_offset 0
		.amdhsa_user_sgpr_private_segment_size 0
		.amdhsa_uses_dynamic_stack 0
		.amdhsa_system_sgpr_private_segment_wavefront_offset 0
		.amdhsa_system_sgpr_workgroup_id_x 1
		.amdhsa_system_sgpr_workgroup_id_y 0
		.amdhsa_system_sgpr_workgroup_id_z 0
		.amdhsa_system_sgpr_workgroup_info 0
		.amdhsa_system_vgpr_workitem_id 0
		.amdhsa_next_free_vgpr 1
		.amdhsa_next_free_sgpr 0
		.amdhsa_accum_offset 4
		.amdhsa_reserve_vcc 0
		.amdhsa_reserve_flat_scratch 0
		.amdhsa_float_round_mode_32 0
		.amdhsa_float_round_mode_16_64 0
		.amdhsa_float_denorm_mode_32 3
		.amdhsa_float_denorm_mode_16_64 3
		.amdhsa_dx10_clamp 1
		.amdhsa_ieee_mode 1
		.amdhsa_fp16_overflow 0
		.amdhsa_tg_split 0
		.amdhsa_exception_fp_ieee_invalid_op 0
		.amdhsa_exception_fp_denorm_src 0
		.amdhsa_exception_fp_ieee_div_zero 0
		.amdhsa_exception_fp_ieee_overflow 0
		.amdhsa_exception_fp_ieee_underflow 0
		.amdhsa_exception_fp_ieee_inexact 0
		.amdhsa_exception_int_div_zero 0
	.end_amdhsa_kernel
	.section	.text._ZN7rocprim17ROCPRIM_400000_NS6detail17trampoline_kernelINS0_14default_configENS1_38merge_sort_block_merge_config_selectorIiiEEZZNS1_27merge_sort_block_merge_implIS3_PiS7_jNS1_19radix_merge_compareILb0ELb1EiNS0_19identity_decomposerEEEEE10hipError_tT0_T1_T2_jT3_P12ihipStream_tbPNSt15iterator_traitsISC_E10value_typeEPNSI_ISD_E10value_typeEPSE_NS1_7vsmem_tEENKUlT_SC_SD_SE_E_clIS7_S7_S7_S7_EESB_SR_SC_SD_SE_EUlSR_E_NS1_11comp_targetILNS1_3genE3ELNS1_11target_archE908ELNS1_3gpuE7ELNS1_3repE0EEENS1_48merge_mergepath_partition_config_static_selectorELNS0_4arch9wavefront6targetE1EEEvSD_,"axG",@progbits,_ZN7rocprim17ROCPRIM_400000_NS6detail17trampoline_kernelINS0_14default_configENS1_38merge_sort_block_merge_config_selectorIiiEEZZNS1_27merge_sort_block_merge_implIS3_PiS7_jNS1_19radix_merge_compareILb0ELb1EiNS0_19identity_decomposerEEEEE10hipError_tT0_T1_T2_jT3_P12ihipStream_tbPNSt15iterator_traitsISC_E10value_typeEPNSI_ISD_E10value_typeEPSE_NS1_7vsmem_tEENKUlT_SC_SD_SE_E_clIS7_S7_S7_S7_EESB_SR_SC_SD_SE_EUlSR_E_NS1_11comp_targetILNS1_3genE3ELNS1_11target_archE908ELNS1_3gpuE7ELNS1_3repE0EEENS1_48merge_mergepath_partition_config_static_selectorELNS0_4arch9wavefront6targetE1EEEvSD_,comdat
.Lfunc_end329:
	.size	_ZN7rocprim17ROCPRIM_400000_NS6detail17trampoline_kernelINS0_14default_configENS1_38merge_sort_block_merge_config_selectorIiiEEZZNS1_27merge_sort_block_merge_implIS3_PiS7_jNS1_19radix_merge_compareILb0ELb1EiNS0_19identity_decomposerEEEEE10hipError_tT0_T1_T2_jT3_P12ihipStream_tbPNSt15iterator_traitsISC_E10value_typeEPNSI_ISD_E10value_typeEPSE_NS1_7vsmem_tEENKUlT_SC_SD_SE_E_clIS7_S7_S7_S7_EESB_SR_SC_SD_SE_EUlSR_E_NS1_11comp_targetILNS1_3genE3ELNS1_11target_archE908ELNS1_3gpuE7ELNS1_3repE0EEENS1_48merge_mergepath_partition_config_static_selectorELNS0_4arch9wavefront6targetE1EEEvSD_, .Lfunc_end329-_ZN7rocprim17ROCPRIM_400000_NS6detail17trampoline_kernelINS0_14default_configENS1_38merge_sort_block_merge_config_selectorIiiEEZZNS1_27merge_sort_block_merge_implIS3_PiS7_jNS1_19radix_merge_compareILb0ELb1EiNS0_19identity_decomposerEEEEE10hipError_tT0_T1_T2_jT3_P12ihipStream_tbPNSt15iterator_traitsISC_E10value_typeEPNSI_ISD_E10value_typeEPSE_NS1_7vsmem_tEENKUlT_SC_SD_SE_E_clIS7_S7_S7_S7_EESB_SR_SC_SD_SE_EUlSR_E_NS1_11comp_targetILNS1_3genE3ELNS1_11target_archE908ELNS1_3gpuE7ELNS1_3repE0EEENS1_48merge_mergepath_partition_config_static_selectorELNS0_4arch9wavefront6targetE1EEEvSD_
                                        ; -- End function
	.section	.AMDGPU.csdata,"",@progbits
; Kernel info:
; codeLenInByte = 0
; NumSgprs: 4
; NumVgprs: 0
; NumAgprs: 0
; TotalNumVgprs: 0
; ScratchSize: 0
; MemoryBound: 0
; FloatMode: 240
; IeeeMode: 1
; LDSByteSize: 0 bytes/workgroup (compile time only)
; SGPRBlocks: 0
; VGPRBlocks: 0
; NumSGPRsForWavesPerEU: 4
; NumVGPRsForWavesPerEU: 1
; AccumOffset: 4
; Occupancy: 8
; WaveLimiterHint : 0
; COMPUTE_PGM_RSRC2:SCRATCH_EN: 0
; COMPUTE_PGM_RSRC2:USER_SGPR: 6
; COMPUTE_PGM_RSRC2:TRAP_HANDLER: 0
; COMPUTE_PGM_RSRC2:TGID_X_EN: 1
; COMPUTE_PGM_RSRC2:TGID_Y_EN: 0
; COMPUTE_PGM_RSRC2:TGID_Z_EN: 0
; COMPUTE_PGM_RSRC2:TIDIG_COMP_CNT: 0
; COMPUTE_PGM_RSRC3_GFX90A:ACCUM_OFFSET: 0
; COMPUTE_PGM_RSRC3_GFX90A:TG_SPLIT: 0
	.section	.text._ZN7rocprim17ROCPRIM_400000_NS6detail17trampoline_kernelINS0_14default_configENS1_38merge_sort_block_merge_config_selectorIiiEEZZNS1_27merge_sort_block_merge_implIS3_PiS7_jNS1_19radix_merge_compareILb0ELb1EiNS0_19identity_decomposerEEEEE10hipError_tT0_T1_T2_jT3_P12ihipStream_tbPNSt15iterator_traitsISC_E10value_typeEPNSI_ISD_E10value_typeEPSE_NS1_7vsmem_tEENKUlT_SC_SD_SE_E_clIS7_S7_S7_S7_EESB_SR_SC_SD_SE_EUlSR_E_NS1_11comp_targetILNS1_3genE2ELNS1_11target_archE906ELNS1_3gpuE6ELNS1_3repE0EEENS1_48merge_mergepath_partition_config_static_selectorELNS0_4arch9wavefront6targetE1EEEvSD_,"axG",@progbits,_ZN7rocprim17ROCPRIM_400000_NS6detail17trampoline_kernelINS0_14default_configENS1_38merge_sort_block_merge_config_selectorIiiEEZZNS1_27merge_sort_block_merge_implIS3_PiS7_jNS1_19radix_merge_compareILb0ELb1EiNS0_19identity_decomposerEEEEE10hipError_tT0_T1_T2_jT3_P12ihipStream_tbPNSt15iterator_traitsISC_E10value_typeEPNSI_ISD_E10value_typeEPSE_NS1_7vsmem_tEENKUlT_SC_SD_SE_E_clIS7_S7_S7_S7_EESB_SR_SC_SD_SE_EUlSR_E_NS1_11comp_targetILNS1_3genE2ELNS1_11target_archE906ELNS1_3gpuE6ELNS1_3repE0EEENS1_48merge_mergepath_partition_config_static_selectorELNS0_4arch9wavefront6targetE1EEEvSD_,comdat
	.protected	_ZN7rocprim17ROCPRIM_400000_NS6detail17trampoline_kernelINS0_14default_configENS1_38merge_sort_block_merge_config_selectorIiiEEZZNS1_27merge_sort_block_merge_implIS3_PiS7_jNS1_19radix_merge_compareILb0ELb1EiNS0_19identity_decomposerEEEEE10hipError_tT0_T1_T2_jT3_P12ihipStream_tbPNSt15iterator_traitsISC_E10value_typeEPNSI_ISD_E10value_typeEPSE_NS1_7vsmem_tEENKUlT_SC_SD_SE_E_clIS7_S7_S7_S7_EESB_SR_SC_SD_SE_EUlSR_E_NS1_11comp_targetILNS1_3genE2ELNS1_11target_archE906ELNS1_3gpuE6ELNS1_3repE0EEENS1_48merge_mergepath_partition_config_static_selectorELNS0_4arch9wavefront6targetE1EEEvSD_ ; -- Begin function _ZN7rocprim17ROCPRIM_400000_NS6detail17trampoline_kernelINS0_14default_configENS1_38merge_sort_block_merge_config_selectorIiiEEZZNS1_27merge_sort_block_merge_implIS3_PiS7_jNS1_19radix_merge_compareILb0ELb1EiNS0_19identity_decomposerEEEEE10hipError_tT0_T1_T2_jT3_P12ihipStream_tbPNSt15iterator_traitsISC_E10value_typeEPNSI_ISD_E10value_typeEPSE_NS1_7vsmem_tEENKUlT_SC_SD_SE_E_clIS7_S7_S7_S7_EESB_SR_SC_SD_SE_EUlSR_E_NS1_11comp_targetILNS1_3genE2ELNS1_11target_archE906ELNS1_3gpuE6ELNS1_3repE0EEENS1_48merge_mergepath_partition_config_static_selectorELNS0_4arch9wavefront6targetE1EEEvSD_
	.globl	_ZN7rocprim17ROCPRIM_400000_NS6detail17trampoline_kernelINS0_14default_configENS1_38merge_sort_block_merge_config_selectorIiiEEZZNS1_27merge_sort_block_merge_implIS3_PiS7_jNS1_19radix_merge_compareILb0ELb1EiNS0_19identity_decomposerEEEEE10hipError_tT0_T1_T2_jT3_P12ihipStream_tbPNSt15iterator_traitsISC_E10value_typeEPNSI_ISD_E10value_typeEPSE_NS1_7vsmem_tEENKUlT_SC_SD_SE_E_clIS7_S7_S7_S7_EESB_SR_SC_SD_SE_EUlSR_E_NS1_11comp_targetILNS1_3genE2ELNS1_11target_archE906ELNS1_3gpuE6ELNS1_3repE0EEENS1_48merge_mergepath_partition_config_static_selectorELNS0_4arch9wavefront6targetE1EEEvSD_
	.p2align	8
	.type	_ZN7rocprim17ROCPRIM_400000_NS6detail17trampoline_kernelINS0_14default_configENS1_38merge_sort_block_merge_config_selectorIiiEEZZNS1_27merge_sort_block_merge_implIS3_PiS7_jNS1_19radix_merge_compareILb0ELb1EiNS0_19identity_decomposerEEEEE10hipError_tT0_T1_T2_jT3_P12ihipStream_tbPNSt15iterator_traitsISC_E10value_typeEPNSI_ISD_E10value_typeEPSE_NS1_7vsmem_tEENKUlT_SC_SD_SE_E_clIS7_S7_S7_S7_EESB_SR_SC_SD_SE_EUlSR_E_NS1_11comp_targetILNS1_3genE2ELNS1_11target_archE906ELNS1_3gpuE6ELNS1_3repE0EEENS1_48merge_mergepath_partition_config_static_selectorELNS0_4arch9wavefront6targetE1EEEvSD_,@function
_ZN7rocprim17ROCPRIM_400000_NS6detail17trampoline_kernelINS0_14default_configENS1_38merge_sort_block_merge_config_selectorIiiEEZZNS1_27merge_sort_block_merge_implIS3_PiS7_jNS1_19radix_merge_compareILb0ELb1EiNS0_19identity_decomposerEEEEE10hipError_tT0_T1_T2_jT3_P12ihipStream_tbPNSt15iterator_traitsISC_E10value_typeEPNSI_ISD_E10value_typeEPSE_NS1_7vsmem_tEENKUlT_SC_SD_SE_E_clIS7_S7_S7_S7_EESB_SR_SC_SD_SE_EUlSR_E_NS1_11comp_targetILNS1_3genE2ELNS1_11target_archE906ELNS1_3gpuE6ELNS1_3repE0EEENS1_48merge_mergepath_partition_config_static_selectorELNS0_4arch9wavefront6targetE1EEEvSD_: ; @_ZN7rocprim17ROCPRIM_400000_NS6detail17trampoline_kernelINS0_14default_configENS1_38merge_sort_block_merge_config_selectorIiiEEZZNS1_27merge_sort_block_merge_implIS3_PiS7_jNS1_19radix_merge_compareILb0ELb1EiNS0_19identity_decomposerEEEEE10hipError_tT0_T1_T2_jT3_P12ihipStream_tbPNSt15iterator_traitsISC_E10value_typeEPNSI_ISD_E10value_typeEPSE_NS1_7vsmem_tEENKUlT_SC_SD_SE_E_clIS7_S7_S7_S7_EESB_SR_SC_SD_SE_EUlSR_E_NS1_11comp_targetILNS1_3genE2ELNS1_11target_archE906ELNS1_3gpuE6ELNS1_3repE0EEENS1_48merge_mergepath_partition_config_static_selectorELNS0_4arch9wavefront6targetE1EEEvSD_
; %bb.0:
	.section	.rodata,"a",@progbits
	.p2align	6, 0x0
	.amdhsa_kernel _ZN7rocprim17ROCPRIM_400000_NS6detail17trampoline_kernelINS0_14default_configENS1_38merge_sort_block_merge_config_selectorIiiEEZZNS1_27merge_sort_block_merge_implIS3_PiS7_jNS1_19radix_merge_compareILb0ELb1EiNS0_19identity_decomposerEEEEE10hipError_tT0_T1_T2_jT3_P12ihipStream_tbPNSt15iterator_traitsISC_E10value_typeEPNSI_ISD_E10value_typeEPSE_NS1_7vsmem_tEENKUlT_SC_SD_SE_E_clIS7_S7_S7_S7_EESB_SR_SC_SD_SE_EUlSR_E_NS1_11comp_targetILNS1_3genE2ELNS1_11target_archE906ELNS1_3gpuE6ELNS1_3repE0EEENS1_48merge_mergepath_partition_config_static_selectorELNS0_4arch9wavefront6targetE1EEEvSD_
		.amdhsa_group_segment_fixed_size 0
		.amdhsa_private_segment_fixed_size 0
		.amdhsa_kernarg_size 40
		.amdhsa_user_sgpr_count 6
		.amdhsa_user_sgpr_private_segment_buffer 1
		.amdhsa_user_sgpr_dispatch_ptr 0
		.amdhsa_user_sgpr_queue_ptr 0
		.amdhsa_user_sgpr_kernarg_segment_ptr 1
		.amdhsa_user_sgpr_dispatch_id 0
		.amdhsa_user_sgpr_flat_scratch_init 0
		.amdhsa_user_sgpr_kernarg_preload_length 0
		.amdhsa_user_sgpr_kernarg_preload_offset 0
		.amdhsa_user_sgpr_private_segment_size 0
		.amdhsa_uses_dynamic_stack 0
		.amdhsa_system_sgpr_private_segment_wavefront_offset 0
		.amdhsa_system_sgpr_workgroup_id_x 1
		.amdhsa_system_sgpr_workgroup_id_y 0
		.amdhsa_system_sgpr_workgroup_id_z 0
		.amdhsa_system_sgpr_workgroup_info 0
		.amdhsa_system_vgpr_workitem_id 0
		.amdhsa_next_free_vgpr 1
		.amdhsa_next_free_sgpr 0
		.amdhsa_accum_offset 4
		.amdhsa_reserve_vcc 0
		.amdhsa_reserve_flat_scratch 0
		.amdhsa_float_round_mode_32 0
		.amdhsa_float_round_mode_16_64 0
		.amdhsa_float_denorm_mode_32 3
		.amdhsa_float_denorm_mode_16_64 3
		.amdhsa_dx10_clamp 1
		.amdhsa_ieee_mode 1
		.amdhsa_fp16_overflow 0
		.amdhsa_tg_split 0
		.amdhsa_exception_fp_ieee_invalid_op 0
		.amdhsa_exception_fp_denorm_src 0
		.amdhsa_exception_fp_ieee_div_zero 0
		.amdhsa_exception_fp_ieee_overflow 0
		.amdhsa_exception_fp_ieee_underflow 0
		.amdhsa_exception_fp_ieee_inexact 0
		.amdhsa_exception_int_div_zero 0
	.end_amdhsa_kernel
	.section	.text._ZN7rocprim17ROCPRIM_400000_NS6detail17trampoline_kernelINS0_14default_configENS1_38merge_sort_block_merge_config_selectorIiiEEZZNS1_27merge_sort_block_merge_implIS3_PiS7_jNS1_19radix_merge_compareILb0ELb1EiNS0_19identity_decomposerEEEEE10hipError_tT0_T1_T2_jT3_P12ihipStream_tbPNSt15iterator_traitsISC_E10value_typeEPNSI_ISD_E10value_typeEPSE_NS1_7vsmem_tEENKUlT_SC_SD_SE_E_clIS7_S7_S7_S7_EESB_SR_SC_SD_SE_EUlSR_E_NS1_11comp_targetILNS1_3genE2ELNS1_11target_archE906ELNS1_3gpuE6ELNS1_3repE0EEENS1_48merge_mergepath_partition_config_static_selectorELNS0_4arch9wavefront6targetE1EEEvSD_,"axG",@progbits,_ZN7rocprim17ROCPRIM_400000_NS6detail17trampoline_kernelINS0_14default_configENS1_38merge_sort_block_merge_config_selectorIiiEEZZNS1_27merge_sort_block_merge_implIS3_PiS7_jNS1_19radix_merge_compareILb0ELb1EiNS0_19identity_decomposerEEEEE10hipError_tT0_T1_T2_jT3_P12ihipStream_tbPNSt15iterator_traitsISC_E10value_typeEPNSI_ISD_E10value_typeEPSE_NS1_7vsmem_tEENKUlT_SC_SD_SE_E_clIS7_S7_S7_S7_EESB_SR_SC_SD_SE_EUlSR_E_NS1_11comp_targetILNS1_3genE2ELNS1_11target_archE906ELNS1_3gpuE6ELNS1_3repE0EEENS1_48merge_mergepath_partition_config_static_selectorELNS0_4arch9wavefront6targetE1EEEvSD_,comdat
.Lfunc_end330:
	.size	_ZN7rocprim17ROCPRIM_400000_NS6detail17trampoline_kernelINS0_14default_configENS1_38merge_sort_block_merge_config_selectorIiiEEZZNS1_27merge_sort_block_merge_implIS3_PiS7_jNS1_19radix_merge_compareILb0ELb1EiNS0_19identity_decomposerEEEEE10hipError_tT0_T1_T2_jT3_P12ihipStream_tbPNSt15iterator_traitsISC_E10value_typeEPNSI_ISD_E10value_typeEPSE_NS1_7vsmem_tEENKUlT_SC_SD_SE_E_clIS7_S7_S7_S7_EESB_SR_SC_SD_SE_EUlSR_E_NS1_11comp_targetILNS1_3genE2ELNS1_11target_archE906ELNS1_3gpuE6ELNS1_3repE0EEENS1_48merge_mergepath_partition_config_static_selectorELNS0_4arch9wavefront6targetE1EEEvSD_, .Lfunc_end330-_ZN7rocprim17ROCPRIM_400000_NS6detail17trampoline_kernelINS0_14default_configENS1_38merge_sort_block_merge_config_selectorIiiEEZZNS1_27merge_sort_block_merge_implIS3_PiS7_jNS1_19radix_merge_compareILb0ELb1EiNS0_19identity_decomposerEEEEE10hipError_tT0_T1_T2_jT3_P12ihipStream_tbPNSt15iterator_traitsISC_E10value_typeEPNSI_ISD_E10value_typeEPSE_NS1_7vsmem_tEENKUlT_SC_SD_SE_E_clIS7_S7_S7_S7_EESB_SR_SC_SD_SE_EUlSR_E_NS1_11comp_targetILNS1_3genE2ELNS1_11target_archE906ELNS1_3gpuE6ELNS1_3repE0EEENS1_48merge_mergepath_partition_config_static_selectorELNS0_4arch9wavefront6targetE1EEEvSD_
                                        ; -- End function
	.section	.AMDGPU.csdata,"",@progbits
; Kernel info:
; codeLenInByte = 0
; NumSgprs: 4
; NumVgprs: 0
; NumAgprs: 0
; TotalNumVgprs: 0
; ScratchSize: 0
; MemoryBound: 0
; FloatMode: 240
; IeeeMode: 1
; LDSByteSize: 0 bytes/workgroup (compile time only)
; SGPRBlocks: 0
; VGPRBlocks: 0
; NumSGPRsForWavesPerEU: 4
; NumVGPRsForWavesPerEU: 1
; AccumOffset: 4
; Occupancy: 8
; WaveLimiterHint : 0
; COMPUTE_PGM_RSRC2:SCRATCH_EN: 0
; COMPUTE_PGM_RSRC2:USER_SGPR: 6
; COMPUTE_PGM_RSRC2:TRAP_HANDLER: 0
; COMPUTE_PGM_RSRC2:TGID_X_EN: 1
; COMPUTE_PGM_RSRC2:TGID_Y_EN: 0
; COMPUTE_PGM_RSRC2:TGID_Z_EN: 0
; COMPUTE_PGM_RSRC2:TIDIG_COMP_CNT: 0
; COMPUTE_PGM_RSRC3_GFX90A:ACCUM_OFFSET: 0
; COMPUTE_PGM_RSRC3_GFX90A:TG_SPLIT: 0
	.section	.text._ZN7rocprim17ROCPRIM_400000_NS6detail17trampoline_kernelINS0_14default_configENS1_38merge_sort_block_merge_config_selectorIiiEEZZNS1_27merge_sort_block_merge_implIS3_PiS7_jNS1_19radix_merge_compareILb0ELb1EiNS0_19identity_decomposerEEEEE10hipError_tT0_T1_T2_jT3_P12ihipStream_tbPNSt15iterator_traitsISC_E10value_typeEPNSI_ISD_E10value_typeEPSE_NS1_7vsmem_tEENKUlT_SC_SD_SE_E_clIS7_S7_S7_S7_EESB_SR_SC_SD_SE_EUlSR_E_NS1_11comp_targetILNS1_3genE9ELNS1_11target_archE1100ELNS1_3gpuE3ELNS1_3repE0EEENS1_48merge_mergepath_partition_config_static_selectorELNS0_4arch9wavefront6targetE1EEEvSD_,"axG",@progbits,_ZN7rocprim17ROCPRIM_400000_NS6detail17trampoline_kernelINS0_14default_configENS1_38merge_sort_block_merge_config_selectorIiiEEZZNS1_27merge_sort_block_merge_implIS3_PiS7_jNS1_19radix_merge_compareILb0ELb1EiNS0_19identity_decomposerEEEEE10hipError_tT0_T1_T2_jT3_P12ihipStream_tbPNSt15iterator_traitsISC_E10value_typeEPNSI_ISD_E10value_typeEPSE_NS1_7vsmem_tEENKUlT_SC_SD_SE_E_clIS7_S7_S7_S7_EESB_SR_SC_SD_SE_EUlSR_E_NS1_11comp_targetILNS1_3genE9ELNS1_11target_archE1100ELNS1_3gpuE3ELNS1_3repE0EEENS1_48merge_mergepath_partition_config_static_selectorELNS0_4arch9wavefront6targetE1EEEvSD_,comdat
	.protected	_ZN7rocprim17ROCPRIM_400000_NS6detail17trampoline_kernelINS0_14default_configENS1_38merge_sort_block_merge_config_selectorIiiEEZZNS1_27merge_sort_block_merge_implIS3_PiS7_jNS1_19radix_merge_compareILb0ELb1EiNS0_19identity_decomposerEEEEE10hipError_tT0_T1_T2_jT3_P12ihipStream_tbPNSt15iterator_traitsISC_E10value_typeEPNSI_ISD_E10value_typeEPSE_NS1_7vsmem_tEENKUlT_SC_SD_SE_E_clIS7_S7_S7_S7_EESB_SR_SC_SD_SE_EUlSR_E_NS1_11comp_targetILNS1_3genE9ELNS1_11target_archE1100ELNS1_3gpuE3ELNS1_3repE0EEENS1_48merge_mergepath_partition_config_static_selectorELNS0_4arch9wavefront6targetE1EEEvSD_ ; -- Begin function _ZN7rocprim17ROCPRIM_400000_NS6detail17trampoline_kernelINS0_14default_configENS1_38merge_sort_block_merge_config_selectorIiiEEZZNS1_27merge_sort_block_merge_implIS3_PiS7_jNS1_19radix_merge_compareILb0ELb1EiNS0_19identity_decomposerEEEEE10hipError_tT0_T1_T2_jT3_P12ihipStream_tbPNSt15iterator_traitsISC_E10value_typeEPNSI_ISD_E10value_typeEPSE_NS1_7vsmem_tEENKUlT_SC_SD_SE_E_clIS7_S7_S7_S7_EESB_SR_SC_SD_SE_EUlSR_E_NS1_11comp_targetILNS1_3genE9ELNS1_11target_archE1100ELNS1_3gpuE3ELNS1_3repE0EEENS1_48merge_mergepath_partition_config_static_selectorELNS0_4arch9wavefront6targetE1EEEvSD_
	.globl	_ZN7rocprim17ROCPRIM_400000_NS6detail17trampoline_kernelINS0_14default_configENS1_38merge_sort_block_merge_config_selectorIiiEEZZNS1_27merge_sort_block_merge_implIS3_PiS7_jNS1_19radix_merge_compareILb0ELb1EiNS0_19identity_decomposerEEEEE10hipError_tT0_T1_T2_jT3_P12ihipStream_tbPNSt15iterator_traitsISC_E10value_typeEPNSI_ISD_E10value_typeEPSE_NS1_7vsmem_tEENKUlT_SC_SD_SE_E_clIS7_S7_S7_S7_EESB_SR_SC_SD_SE_EUlSR_E_NS1_11comp_targetILNS1_3genE9ELNS1_11target_archE1100ELNS1_3gpuE3ELNS1_3repE0EEENS1_48merge_mergepath_partition_config_static_selectorELNS0_4arch9wavefront6targetE1EEEvSD_
	.p2align	8
	.type	_ZN7rocprim17ROCPRIM_400000_NS6detail17trampoline_kernelINS0_14default_configENS1_38merge_sort_block_merge_config_selectorIiiEEZZNS1_27merge_sort_block_merge_implIS3_PiS7_jNS1_19radix_merge_compareILb0ELb1EiNS0_19identity_decomposerEEEEE10hipError_tT0_T1_T2_jT3_P12ihipStream_tbPNSt15iterator_traitsISC_E10value_typeEPNSI_ISD_E10value_typeEPSE_NS1_7vsmem_tEENKUlT_SC_SD_SE_E_clIS7_S7_S7_S7_EESB_SR_SC_SD_SE_EUlSR_E_NS1_11comp_targetILNS1_3genE9ELNS1_11target_archE1100ELNS1_3gpuE3ELNS1_3repE0EEENS1_48merge_mergepath_partition_config_static_selectorELNS0_4arch9wavefront6targetE1EEEvSD_,@function
_ZN7rocprim17ROCPRIM_400000_NS6detail17trampoline_kernelINS0_14default_configENS1_38merge_sort_block_merge_config_selectorIiiEEZZNS1_27merge_sort_block_merge_implIS3_PiS7_jNS1_19radix_merge_compareILb0ELb1EiNS0_19identity_decomposerEEEEE10hipError_tT0_T1_T2_jT3_P12ihipStream_tbPNSt15iterator_traitsISC_E10value_typeEPNSI_ISD_E10value_typeEPSE_NS1_7vsmem_tEENKUlT_SC_SD_SE_E_clIS7_S7_S7_S7_EESB_SR_SC_SD_SE_EUlSR_E_NS1_11comp_targetILNS1_3genE9ELNS1_11target_archE1100ELNS1_3gpuE3ELNS1_3repE0EEENS1_48merge_mergepath_partition_config_static_selectorELNS0_4arch9wavefront6targetE1EEEvSD_: ; @_ZN7rocprim17ROCPRIM_400000_NS6detail17trampoline_kernelINS0_14default_configENS1_38merge_sort_block_merge_config_selectorIiiEEZZNS1_27merge_sort_block_merge_implIS3_PiS7_jNS1_19radix_merge_compareILb0ELb1EiNS0_19identity_decomposerEEEEE10hipError_tT0_T1_T2_jT3_P12ihipStream_tbPNSt15iterator_traitsISC_E10value_typeEPNSI_ISD_E10value_typeEPSE_NS1_7vsmem_tEENKUlT_SC_SD_SE_E_clIS7_S7_S7_S7_EESB_SR_SC_SD_SE_EUlSR_E_NS1_11comp_targetILNS1_3genE9ELNS1_11target_archE1100ELNS1_3gpuE3ELNS1_3repE0EEENS1_48merge_mergepath_partition_config_static_selectorELNS0_4arch9wavefront6targetE1EEEvSD_
; %bb.0:
	.section	.rodata,"a",@progbits
	.p2align	6, 0x0
	.amdhsa_kernel _ZN7rocprim17ROCPRIM_400000_NS6detail17trampoline_kernelINS0_14default_configENS1_38merge_sort_block_merge_config_selectorIiiEEZZNS1_27merge_sort_block_merge_implIS3_PiS7_jNS1_19radix_merge_compareILb0ELb1EiNS0_19identity_decomposerEEEEE10hipError_tT0_T1_T2_jT3_P12ihipStream_tbPNSt15iterator_traitsISC_E10value_typeEPNSI_ISD_E10value_typeEPSE_NS1_7vsmem_tEENKUlT_SC_SD_SE_E_clIS7_S7_S7_S7_EESB_SR_SC_SD_SE_EUlSR_E_NS1_11comp_targetILNS1_3genE9ELNS1_11target_archE1100ELNS1_3gpuE3ELNS1_3repE0EEENS1_48merge_mergepath_partition_config_static_selectorELNS0_4arch9wavefront6targetE1EEEvSD_
		.amdhsa_group_segment_fixed_size 0
		.amdhsa_private_segment_fixed_size 0
		.amdhsa_kernarg_size 40
		.amdhsa_user_sgpr_count 6
		.amdhsa_user_sgpr_private_segment_buffer 1
		.amdhsa_user_sgpr_dispatch_ptr 0
		.amdhsa_user_sgpr_queue_ptr 0
		.amdhsa_user_sgpr_kernarg_segment_ptr 1
		.amdhsa_user_sgpr_dispatch_id 0
		.amdhsa_user_sgpr_flat_scratch_init 0
		.amdhsa_user_sgpr_kernarg_preload_length 0
		.amdhsa_user_sgpr_kernarg_preload_offset 0
		.amdhsa_user_sgpr_private_segment_size 0
		.amdhsa_uses_dynamic_stack 0
		.amdhsa_system_sgpr_private_segment_wavefront_offset 0
		.amdhsa_system_sgpr_workgroup_id_x 1
		.amdhsa_system_sgpr_workgroup_id_y 0
		.amdhsa_system_sgpr_workgroup_id_z 0
		.amdhsa_system_sgpr_workgroup_info 0
		.amdhsa_system_vgpr_workitem_id 0
		.amdhsa_next_free_vgpr 1
		.amdhsa_next_free_sgpr 0
		.amdhsa_accum_offset 4
		.amdhsa_reserve_vcc 0
		.amdhsa_reserve_flat_scratch 0
		.amdhsa_float_round_mode_32 0
		.amdhsa_float_round_mode_16_64 0
		.amdhsa_float_denorm_mode_32 3
		.amdhsa_float_denorm_mode_16_64 3
		.amdhsa_dx10_clamp 1
		.amdhsa_ieee_mode 1
		.amdhsa_fp16_overflow 0
		.amdhsa_tg_split 0
		.amdhsa_exception_fp_ieee_invalid_op 0
		.amdhsa_exception_fp_denorm_src 0
		.amdhsa_exception_fp_ieee_div_zero 0
		.amdhsa_exception_fp_ieee_overflow 0
		.amdhsa_exception_fp_ieee_underflow 0
		.amdhsa_exception_fp_ieee_inexact 0
		.amdhsa_exception_int_div_zero 0
	.end_amdhsa_kernel
	.section	.text._ZN7rocprim17ROCPRIM_400000_NS6detail17trampoline_kernelINS0_14default_configENS1_38merge_sort_block_merge_config_selectorIiiEEZZNS1_27merge_sort_block_merge_implIS3_PiS7_jNS1_19radix_merge_compareILb0ELb1EiNS0_19identity_decomposerEEEEE10hipError_tT0_T1_T2_jT3_P12ihipStream_tbPNSt15iterator_traitsISC_E10value_typeEPNSI_ISD_E10value_typeEPSE_NS1_7vsmem_tEENKUlT_SC_SD_SE_E_clIS7_S7_S7_S7_EESB_SR_SC_SD_SE_EUlSR_E_NS1_11comp_targetILNS1_3genE9ELNS1_11target_archE1100ELNS1_3gpuE3ELNS1_3repE0EEENS1_48merge_mergepath_partition_config_static_selectorELNS0_4arch9wavefront6targetE1EEEvSD_,"axG",@progbits,_ZN7rocprim17ROCPRIM_400000_NS6detail17trampoline_kernelINS0_14default_configENS1_38merge_sort_block_merge_config_selectorIiiEEZZNS1_27merge_sort_block_merge_implIS3_PiS7_jNS1_19radix_merge_compareILb0ELb1EiNS0_19identity_decomposerEEEEE10hipError_tT0_T1_T2_jT3_P12ihipStream_tbPNSt15iterator_traitsISC_E10value_typeEPNSI_ISD_E10value_typeEPSE_NS1_7vsmem_tEENKUlT_SC_SD_SE_E_clIS7_S7_S7_S7_EESB_SR_SC_SD_SE_EUlSR_E_NS1_11comp_targetILNS1_3genE9ELNS1_11target_archE1100ELNS1_3gpuE3ELNS1_3repE0EEENS1_48merge_mergepath_partition_config_static_selectorELNS0_4arch9wavefront6targetE1EEEvSD_,comdat
.Lfunc_end331:
	.size	_ZN7rocprim17ROCPRIM_400000_NS6detail17trampoline_kernelINS0_14default_configENS1_38merge_sort_block_merge_config_selectorIiiEEZZNS1_27merge_sort_block_merge_implIS3_PiS7_jNS1_19radix_merge_compareILb0ELb1EiNS0_19identity_decomposerEEEEE10hipError_tT0_T1_T2_jT3_P12ihipStream_tbPNSt15iterator_traitsISC_E10value_typeEPNSI_ISD_E10value_typeEPSE_NS1_7vsmem_tEENKUlT_SC_SD_SE_E_clIS7_S7_S7_S7_EESB_SR_SC_SD_SE_EUlSR_E_NS1_11comp_targetILNS1_3genE9ELNS1_11target_archE1100ELNS1_3gpuE3ELNS1_3repE0EEENS1_48merge_mergepath_partition_config_static_selectorELNS0_4arch9wavefront6targetE1EEEvSD_, .Lfunc_end331-_ZN7rocprim17ROCPRIM_400000_NS6detail17trampoline_kernelINS0_14default_configENS1_38merge_sort_block_merge_config_selectorIiiEEZZNS1_27merge_sort_block_merge_implIS3_PiS7_jNS1_19radix_merge_compareILb0ELb1EiNS0_19identity_decomposerEEEEE10hipError_tT0_T1_T2_jT3_P12ihipStream_tbPNSt15iterator_traitsISC_E10value_typeEPNSI_ISD_E10value_typeEPSE_NS1_7vsmem_tEENKUlT_SC_SD_SE_E_clIS7_S7_S7_S7_EESB_SR_SC_SD_SE_EUlSR_E_NS1_11comp_targetILNS1_3genE9ELNS1_11target_archE1100ELNS1_3gpuE3ELNS1_3repE0EEENS1_48merge_mergepath_partition_config_static_selectorELNS0_4arch9wavefront6targetE1EEEvSD_
                                        ; -- End function
	.section	.AMDGPU.csdata,"",@progbits
; Kernel info:
; codeLenInByte = 0
; NumSgprs: 4
; NumVgprs: 0
; NumAgprs: 0
; TotalNumVgprs: 0
; ScratchSize: 0
; MemoryBound: 0
; FloatMode: 240
; IeeeMode: 1
; LDSByteSize: 0 bytes/workgroup (compile time only)
; SGPRBlocks: 0
; VGPRBlocks: 0
; NumSGPRsForWavesPerEU: 4
; NumVGPRsForWavesPerEU: 1
; AccumOffset: 4
; Occupancy: 8
; WaveLimiterHint : 0
; COMPUTE_PGM_RSRC2:SCRATCH_EN: 0
; COMPUTE_PGM_RSRC2:USER_SGPR: 6
; COMPUTE_PGM_RSRC2:TRAP_HANDLER: 0
; COMPUTE_PGM_RSRC2:TGID_X_EN: 1
; COMPUTE_PGM_RSRC2:TGID_Y_EN: 0
; COMPUTE_PGM_RSRC2:TGID_Z_EN: 0
; COMPUTE_PGM_RSRC2:TIDIG_COMP_CNT: 0
; COMPUTE_PGM_RSRC3_GFX90A:ACCUM_OFFSET: 0
; COMPUTE_PGM_RSRC3_GFX90A:TG_SPLIT: 0
	.section	.text._ZN7rocprim17ROCPRIM_400000_NS6detail17trampoline_kernelINS0_14default_configENS1_38merge_sort_block_merge_config_selectorIiiEEZZNS1_27merge_sort_block_merge_implIS3_PiS7_jNS1_19radix_merge_compareILb0ELb1EiNS0_19identity_decomposerEEEEE10hipError_tT0_T1_T2_jT3_P12ihipStream_tbPNSt15iterator_traitsISC_E10value_typeEPNSI_ISD_E10value_typeEPSE_NS1_7vsmem_tEENKUlT_SC_SD_SE_E_clIS7_S7_S7_S7_EESB_SR_SC_SD_SE_EUlSR_E_NS1_11comp_targetILNS1_3genE8ELNS1_11target_archE1030ELNS1_3gpuE2ELNS1_3repE0EEENS1_48merge_mergepath_partition_config_static_selectorELNS0_4arch9wavefront6targetE1EEEvSD_,"axG",@progbits,_ZN7rocprim17ROCPRIM_400000_NS6detail17trampoline_kernelINS0_14default_configENS1_38merge_sort_block_merge_config_selectorIiiEEZZNS1_27merge_sort_block_merge_implIS3_PiS7_jNS1_19radix_merge_compareILb0ELb1EiNS0_19identity_decomposerEEEEE10hipError_tT0_T1_T2_jT3_P12ihipStream_tbPNSt15iterator_traitsISC_E10value_typeEPNSI_ISD_E10value_typeEPSE_NS1_7vsmem_tEENKUlT_SC_SD_SE_E_clIS7_S7_S7_S7_EESB_SR_SC_SD_SE_EUlSR_E_NS1_11comp_targetILNS1_3genE8ELNS1_11target_archE1030ELNS1_3gpuE2ELNS1_3repE0EEENS1_48merge_mergepath_partition_config_static_selectorELNS0_4arch9wavefront6targetE1EEEvSD_,comdat
	.protected	_ZN7rocprim17ROCPRIM_400000_NS6detail17trampoline_kernelINS0_14default_configENS1_38merge_sort_block_merge_config_selectorIiiEEZZNS1_27merge_sort_block_merge_implIS3_PiS7_jNS1_19radix_merge_compareILb0ELb1EiNS0_19identity_decomposerEEEEE10hipError_tT0_T1_T2_jT3_P12ihipStream_tbPNSt15iterator_traitsISC_E10value_typeEPNSI_ISD_E10value_typeEPSE_NS1_7vsmem_tEENKUlT_SC_SD_SE_E_clIS7_S7_S7_S7_EESB_SR_SC_SD_SE_EUlSR_E_NS1_11comp_targetILNS1_3genE8ELNS1_11target_archE1030ELNS1_3gpuE2ELNS1_3repE0EEENS1_48merge_mergepath_partition_config_static_selectorELNS0_4arch9wavefront6targetE1EEEvSD_ ; -- Begin function _ZN7rocprim17ROCPRIM_400000_NS6detail17trampoline_kernelINS0_14default_configENS1_38merge_sort_block_merge_config_selectorIiiEEZZNS1_27merge_sort_block_merge_implIS3_PiS7_jNS1_19radix_merge_compareILb0ELb1EiNS0_19identity_decomposerEEEEE10hipError_tT0_T1_T2_jT3_P12ihipStream_tbPNSt15iterator_traitsISC_E10value_typeEPNSI_ISD_E10value_typeEPSE_NS1_7vsmem_tEENKUlT_SC_SD_SE_E_clIS7_S7_S7_S7_EESB_SR_SC_SD_SE_EUlSR_E_NS1_11comp_targetILNS1_3genE8ELNS1_11target_archE1030ELNS1_3gpuE2ELNS1_3repE0EEENS1_48merge_mergepath_partition_config_static_selectorELNS0_4arch9wavefront6targetE1EEEvSD_
	.globl	_ZN7rocprim17ROCPRIM_400000_NS6detail17trampoline_kernelINS0_14default_configENS1_38merge_sort_block_merge_config_selectorIiiEEZZNS1_27merge_sort_block_merge_implIS3_PiS7_jNS1_19radix_merge_compareILb0ELb1EiNS0_19identity_decomposerEEEEE10hipError_tT0_T1_T2_jT3_P12ihipStream_tbPNSt15iterator_traitsISC_E10value_typeEPNSI_ISD_E10value_typeEPSE_NS1_7vsmem_tEENKUlT_SC_SD_SE_E_clIS7_S7_S7_S7_EESB_SR_SC_SD_SE_EUlSR_E_NS1_11comp_targetILNS1_3genE8ELNS1_11target_archE1030ELNS1_3gpuE2ELNS1_3repE0EEENS1_48merge_mergepath_partition_config_static_selectorELNS0_4arch9wavefront6targetE1EEEvSD_
	.p2align	8
	.type	_ZN7rocprim17ROCPRIM_400000_NS6detail17trampoline_kernelINS0_14default_configENS1_38merge_sort_block_merge_config_selectorIiiEEZZNS1_27merge_sort_block_merge_implIS3_PiS7_jNS1_19radix_merge_compareILb0ELb1EiNS0_19identity_decomposerEEEEE10hipError_tT0_T1_T2_jT3_P12ihipStream_tbPNSt15iterator_traitsISC_E10value_typeEPNSI_ISD_E10value_typeEPSE_NS1_7vsmem_tEENKUlT_SC_SD_SE_E_clIS7_S7_S7_S7_EESB_SR_SC_SD_SE_EUlSR_E_NS1_11comp_targetILNS1_3genE8ELNS1_11target_archE1030ELNS1_3gpuE2ELNS1_3repE0EEENS1_48merge_mergepath_partition_config_static_selectorELNS0_4arch9wavefront6targetE1EEEvSD_,@function
_ZN7rocprim17ROCPRIM_400000_NS6detail17trampoline_kernelINS0_14default_configENS1_38merge_sort_block_merge_config_selectorIiiEEZZNS1_27merge_sort_block_merge_implIS3_PiS7_jNS1_19radix_merge_compareILb0ELb1EiNS0_19identity_decomposerEEEEE10hipError_tT0_T1_T2_jT3_P12ihipStream_tbPNSt15iterator_traitsISC_E10value_typeEPNSI_ISD_E10value_typeEPSE_NS1_7vsmem_tEENKUlT_SC_SD_SE_E_clIS7_S7_S7_S7_EESB_SR_SC_SD_SE_EUlSR_E_NS1_11comp_targetILNS1_3genE8ELNS1_11target_archE1030ELNS1_3gpuE2ELNS1_3repE0EEENS1_48merge_mergepath_partition_config_static_selectorELNS0_4arch9wavefront6targetE1EEEvSD_: ; @_ZN7rocprim17ROCPRIM_400000_NS6detail17trampoline_kernelINS0_14default_configENS1_38merge_sort_block_merge_config_selectorIiiEEZZNS1_27merge_sort_block_merge_implIS3_PiS7_jNS1_19radix_merge_compareILb0ELb1EiNS0_19identity_decomposerEEEEE10hipError_tT0_T1_T2_jT3_P12ihipStream_tbPNSt15iterator_traitsISC_E10value_typeEPNSI_ISD_E10value_typeEPSE_NS1_7vsmem_tEENKUlT_SC_SD_SE_E_clIS7_S7_S7_S7_EESB_SR_SC_SD_SE_EUlSR_E_NS1_11comp_targetILNS1_3genE8ELNS1_11target_archE1030ELNS1_3gpuE2ELNS1_3repE0EEENS1_48merge_mergepath_partition_config_static_selectorELNS0_4arch9wavefront6targetE1EEEvSD_
; %bb.0:
	.section	.rodata,"a",@progbits
	.p2align	6, 0x0
	.amdhsa_kernel _ZN7rocprim17ROCPRIM_400000_NS6detail17trampoline_kernelINS0_14default_configENS1_38merge_sort_block_merge_config_selectorIiiEEZZNS1_27merge_sort_block_merge_implIS3_PiS7_jNS1_19radix_merge_compareILb0ELb1EiNS0_19identity_decomposerEEEEE10hipError_tT0_T1_T2_jT3_P12ihipStream_tbPNSt15iterator_traitsISC_E10value_typeEPNSI_ISD_E10value_typeEPSE_NS1_7vsmem_tEENKUlT_SC_SD_SE_E_clIS7_S7_S7_S7_EESB_SR_SC_SD_SE_EUlSR_E_NS1_11comp_targetILNS1_3genE8ELNS1_11target_archE1030ELNS1_3gpuE2ELNS1_3repE0EEENS1_48merge_mergepath_partition_config_static_selectorELNS0_4arch9wavefront6targetE1EEEvSD_
		.amdhsa_group_segment_fixed_size 0
		.amdhsa_private_segment_fixed_size 0
		.amdhsa_kernarg_size 40
		.amdhsa_user_sgpr_count 6
		.amdhsa_user_sgpr_private_segment_buffer 1
		.amdhsa_user_sgpr_dispatch_ptr 0
		.amdhsa_user_sgpr_queue_ptr 0
		.amdhsa_user_sgpr_kernarg_segment_ptr 1
		.amdhsa_user_sgpr_dispatch_id 0
		.amdhsa_user_sgpr_flat_scratch_init 0
		.amdhsa_user_sgpr_kernarg_preload_length 0
		.amdhsa_user_sgpr_kernarg_preload_offset 0
		.amdhsa_user_sgpr_private_segment_size 0
		.amdhsa_uses_dynamic_stack 0
		.amdhsa_system_sgpr_private_segment_wavefront_offset 0
		.amdhsa_system_sgpr_workgroup_id_x 1
		.amdhsa_system_sgpr_workgroup_id_y 0
		.amdhsa_system_sgpr_workgroup_id_z 0
		.amdhsa_system_sgpr_workgroup_info 0
		.amdhsa_system_vgpr_workitem_id 0
		.amdhsa_next_free_vgpr 1
		.amdhsa_next_free_sgpr 0
		.amdhsa_accum_offset 4
		.amdhsa_reserve_vcc 0
		.amdhsa_reserve_flat_scratch 0
		.amdhsa_float_round_mode_32 0
		.amdhsa_float_round_mode_16_64 0
		.amdhsa_float_denorm_mode_32 3
		.amdhsa_float_denorm_mode_16_64 3
		.amdhsa_dx10_clamp 1
		.amdhsa_ieee_mode 1
		.amdhsa_fp16_overflow 0
		.amdhsa_tg_split 0
		.amdhsa_exception_fp_ieee_invalid_op 0
		.amdhsa_exception_fp_denorm_src 0
		.amdhsa_exception_fp_ieee_div_zero 0
		.amdhsa_exception_fp_ieee_overflow 0
		.amdhsa_exception_fp_ieee_underflow 0
		.amdhsa_exception_fp_ieee_inexact 0
		.amdhsa_exception_int_div_zero 0
	.end_amdhsa_kernel
	.section	.text._ZN7rocprim17ROCPRIM_400000_NS6detail17trampoline_kernelINS0_14default_configENS1_38merge_sort_block_merge_config_selectorIiiEEZZNS1_27merge_sort_block_merge_implIS3_PiS7_jNS1_19radix_merge_compareILb0ELb1EiNS0_19identity_decomposerEEEEE10hipError_tT0_T1_T2_jT3_P12ihipStream_tbPNSt15iterator_traitsISC_E10value_typeEPNSI_ISD_E10value_typeEPSE_NS1_7vsmem_tEENKUlT_SC_SD_SE_E_clIS7_S7_S7_S7_EESB_SR_SC_SD_SE_EUlSR_E_NS1_11comp_targetILNS1_3genE8ELNS1_11target_archE1030ELNS1_3gpuE2ELNS1_3repE0EEENS1_48merge_mergepath_partition_config_static_selectorELNS0_4arch9wavefront6targetE1EEEvSD_,"axG",@progbits,_ZN7rocprim17ROCPRIM_400000_NS6detail17trampoline_kernelINS0_14default_configENS1_38merge_sort_block_merge_config_selectorIiiEEZZNS1_27merge_sort_block_merge_implIS3_PiS7_jNS1_19radix_merge_compareILb0ELb1EiNS0_19identity_decomposerEEEEE10hipError_tT0_T1_T2_jT3_P12ihipStream_tbPNSt15iterator_traitsISC_E10value_typeEPNSI_ISD_E10value_typeEPSE_NS1_7vsmem_tEENKUlT_SC_SD_SE_E_clIS7_S7_S7_S7_EESB_SR_SC_SD_SE_EUlSR_E_NS1_11comp_targetILNS1_3genE8ELNS1_11target_archE1030ELNS1_3gpuE2ELNS1_3repE0EEENS1_48merge_mergepath_partition_config_static_selectorELNS0_4arch9wavefront6targetE1EEEvSD_,comdat
.Lfunc_end332:
	.size	_ZN7rocprim17ROCPRIM_400000_NS6detail17trampoline_kernelINS0_14default_configENS1_38merge_sort_block_merge_config_selectorIiiEEZZNS1_27merge_sort_block_merge_implIS3_PiS7_jNS1_19radix_merge_compareILb0ELb1EiNS0_19identity_decomposerEEEEE10hipError_tT0_T1_T2_jT3_P12ihipStream_tbPNSt15iterator_traitsISC_E10value_typeEPNSI_ISD_E10value_typeEPSE_NS1_7vsmem_tEENKUlT_SC_SD_SE_E_clIS7_S7_S7_S7_EESB_SR_SC_SD_SE_EUlSR_E_NS1_11comp_targetILNS1_3genE8ELNS1_11target_archE1030ELNS1_3gpuE2ELNS1_3repE0EEENS1_48merge_mergepath_partition_config_static_selectorELNS0_4arch9wavefront6targetE1EEEvSD_, .Lfunc_end332-_ZN7rocprim17ROCPRIM_400000_NS6detail17trampoline_kernelINS0_14default_configENS1_38merge_sort_block_merge_config_selectorIiiEEZZNS1_27merge_sort_block_merge_implIS3_PiS7_jNS1_19radix_merge_compareILb0ELb1EiNS0_19identity_decomposerEEEEE10hipError_tT0_T1_T2_jT3_P12ihipStream_tbPNSt15iterator_traitsISC_E10value_typeEPNSI_ISD_E10value_typeEPSE_NS1_7vsmem_tEENKUlT_SC_SD_SE_E_clIS7_S7_S7_S7_EESB_SR_SC_SD_SE_EUlSR_E_NS1_11comp_targetILNS1_3genE8ELNS1_11target_archE1030ELNS1_3gpuE2ELNS1_3repE0EEENS1_48merge_mergepath_partition_config_static_selectorELNS0_4arch9wavefront6targetE1EEEvSD_
                                        ; -- End function
	.section	.AMDGPU.csdata,"",@progbits
; Kernel info:
; codeLenInByte = 0
; NumSgprs: 4
; NumVgprs: 0
; NumAgprs: 0
; TotalNumVgprs: 0
; ScratchSize: 0
; MemoryBound: 0
; FloatMode: 240
; IeeeMode: 1
; LDSByteSize: 0 bytes/workgroup (compile time only)
; SGPRBlocks: 0
; VGPRBlocks: 0
; NumSGPRsForWavesPerEU: 4
; NumVGPRsForWavesPerEU: 1
; AccumOffset: 4
; Occupancy: 8
; WaveLimiterHint : 0
; COMPUTE_PGM_RSRC2:SCRATCH_EN: 0
; COMPUTE_PGM_RSRC2:USER_SGPR: 6
; COMPUTE_PGM_RSRC2:TRAP_HANDLER: 0
; COMPUTE_PGM_RSRC2:TGID_X_EN: 1
; COMPUTE_PGM_RSRC2:TGID_Y_EN: 0
; COMPUTE_PGM_RSRC2:TGID_Z_EN: 0
; COMPUTE_PGM_RSRC2:TIDIG_COMP_CNT: 0
; COMPUTE_PGM_RSRC3_GFX90A:ACCUM_OFFSET: 0
; COMPUTE_PGM_RSRC3_GFX90A:TG_SPLIT: 0
	.section	.text._ZN7rocprim17ROCPRIM_400000_NS6detail17trampoline_kernelINS0_14default_configENS1_38merge_sort_block_merge_config_selectorIiiEEZZNS1_27merge_sort_block_merge_implIS3_PiS7_jNS1_19radix_merge_compareILb0ELb1EiNS0_19identity_decomposerEEEEE10hipError_tT0_T1_T2_jT3_P12ihipStream_tbPNSt15iterator_traitsISC_E10value_typeEPNSI_ISD_E10value_typeEPSE_NS1_7vsmem_tEENKUlT_SC_SD_SE_E_clIS7_S7_S7_S7_EESB_SR_SC_SD_SE_EUlSR_E0_NS1_11comp_targetILNS1_3genE0ELNS1_11target_archE4294967295ELNS1_3gpuE0ELNS1_3repE0EEENS1_38merge_mergepath_config_static_selectorELNS0_4arch9wavefront6targetE1EEEvSD_,"axG",@progbits,_ZN7rocprim17ROCPRIM_400000_NS6detail17trampoline_kernelINS0_14default_configENS1_38merge_sort_block_merge_config_selectorIiiEEZZNS1_27merge_sort_block_merge_implIS3_PiS7_jNS1_19radix_merge_compareILb0ELb1EiNS0_19identity_decomposerEEEEE10hipError_tT0_T1_T2_jT3_P12ihipStream_tbPNSt15iterator_traitsISC_E10value_typeEPNSI_ISD_E10value_typeEPSE_NS1_7vsmem_tEENKUlT_SC_SD_SE_E_clIS7_S7_S7_S7_EESB_SR_SC_SD_SE_EUlSR_E0_NS1_11comp_targetILNS1_3genE0ELNS1_11target_archE4294967295ELNS1_3gpuE0ELNS1_3repE0EEENS1_38merge_mergepath_config_static_selectorELNS0_4arch9wavefront6targetE1EEEvSD_,comdat
	.protected	_ZN7rocprim17ROCPRIM_400000_NS6detail17trampoline_kernelINS0_14default_configENS1_38merge_sort_block_merge_config_selectorIiiEEZZNS1_27merge_sort_block_merge_implIS3_PiS7_jNS1_19radix_merge_compareILb0ELb1EiNS0_19identity_decomposerEEEEE10hipError_tT0_T1_T2_jT3_P12ihipStream_tbPNSt15iterator_traitsISC_E10value_typeEPNSI_ISD_E10value_typeEPSE_NS1_7vsmem_tEENKUlT_SC_SD_SE_E_clIS7_S7_S7_S7_EESB_SR_SC_SD_SE_EUlSR_E0_NS1_11comp_targetILNS1_3genE0ELNS1_11target_archE4294967295ELNS1_3gpuE0ELNS1_3repE0EEENS1_38merge_mergepath_config_static_selectorELNS0_4arch9wavefront6targetE1EEEvSD_ ; -- Begin function _ZN7rocprim17ROCPRIM_400000_NS6detail17trampoline_kernelINS0_14default_configENS1_38merge_sort_block_merge_config_selectorIiiEEZZNS1_27merge_sort_block_merge_implIS3_PiS7_jNS1_19radix_merge_compareILb0ELb1EiNS0_19identity_decomposerEEEEE10hipError_tT0_T1_T2_jT3_P12ihipStream_tbPNSt15iterator_traitsISC_E10value_typeEPNSI_ISD_E10value_typeEPSE_NS1_7vsmem_tEENKUlT_SC_SD_SE_E_clIS7_S7_S7_S7_EESB_SR_SC_SD_SE_EUlSR_E0_NS1_11comp_targetILNS1_3genE0ELNS1_11target_archE4294967295ELNS1_3gpuE0ELNS1_3repE0EEENS1_38merge_mergepath_config_static_selectorELNS0_4arch9wavefront6targetE1EEEvSD_
	.globl	_ZN7rocprim17ROCPRIM_400000_NS6detail17trampoline_kernelINS0_14default_configENS1_38merge_sort_block_merge_config_selectorIiiEEZZNS1_27merge_sort_block_merge_implIS3_PiS7_jNS1_19radix_merge_compareILb0ELb1EiNS0_19identity_decomposerEEEEE10hipError_tT0_T1_T2_jT3_P12ihipStream_tbPNSt15iterator_traitsISC_E10value_typeEPNSI_ISD_E10value_typeEPSE_NS1_7vsmem_tEENKUlT_SC_SD_SE_E_clIS7_S7_S7_S7_EESB_SR_SC_SD_SE_EUlSR_E0_NS1_11comp_targetILNS1_3genE0ELNS1_11target_archE4294967295ELNS1_3gpuE0ELNS1_3repE0EEENS1_38merge_mergepath_config_static_selectorELNS0_4arch9wavefront6targetE1EEEvSD_
	.p2align	8
	.type	_ZN7rocprim17ROCPRIM_400000_NS6detail17trampoline_kernelINS0_14default_configENS1_38merge_sort_block_merge_config_selectorIiiEEZZNS1_27merge_sort_block_merge_implIS3_PiS7_jNS1_19radix_merge_compareILb0ELb1EiNS0_19identity_decomposerEEEEE10hipError_tT0_T1_T2_jT3_P12ihipStream_tbPNSt15iterator_traitsISC_E10value_typeEPNSI_ISD_E10value_typeEPSE_NS1_7vsmem_tEENKUlT_SC_SD_SE_E_clIS7_S7_S7_S7_EESB_SR_SC_SD_SE_EUlSR_E0_NS1_11comp_targetILNS1_3genE0ELNS1_11target_archE4294967295ELNS1_3gpuE0ELNS1_3repE0EEENS1_38merge_mergepath_config_static_selectorELNS0_4arch9wavefront6targetE1EEEvSD_,@function
_ZN7rocprim17ROCPRIM_400000_NS6detail17trampoline_kernelINS0_14default_configENS1_38merge_sort_block_merge_config_selectorIiiEEZZNS1_27merge_sort_block_merge_implIS3_PiS7_jNS1_19radix_merge_compareILb0ELb1EiNS0_19identity_decomposerEEEEE10hipError_tT0_T1_T2_jT3_P12ihipStream_tbPNSt15iterator_traitsISC_E10value_typeEPNSI_ISD_E10value_typeEPSE_NS1_7vsmem_tEENKUlT_SC_SD_SE_E_clIS7_S7_S7_S7_EESB_SR_SC_SD_SE_EUlSR_E0_NS1_11comp_targetILNS1_3genE0ELNS1_11target_archE4294967295ELNS1_3gpuE0ELNS1_3repE0EEENS1_38merge_mergepath_config_static_selectorELNS0_4arch9wavefront6targetE1EEEvSD_: ; @_ZN7rocprim17ROCPRIM_400000_NS6detail17trampoline_kernelINS0_14default_configENS1_38merge_sort_block_merge_config_selectorIiiEEZZNS1_27merge_sort_block_merge_implIS3_PiS7_jNS1_19radix_merge_compareILb0ELb1EiNS0_19identity_decomposerEEEEE10hipError_tT0_T1_T2_jT3_P12ihipStream_tbPNSt15iterator_traitsISC_E10value_typeEPNSI_ISD_E10value_typeEPSE_NS1_7vsmem_tEENKUlT_SC_SD_SE_E_clIS7_S7_S7_S7_EESB_SR_SC_SD_SE_EUlSR_E0_NS1_11comp_targetILNS1_3genE0ELNS1_11target_archE4294967295ELNS1_3gpuE0ELNS1_3repE0EEENS1_38merge_mergepath_config_static_selectorELNS0_4arch9wavefront6targetE1EEEvSD_
; %bb.0:
	.section	.rodata,"a",@progbits
	.p2align	6, 0x0
	.amdhsa_kernel _ZN7rocprim17ROCPRIM_400000_NS6detail17trampoline_kernelINS0_14default_configENS1_38merge_sort_block_merge_config_selectorIiiEEZZNS1_27merge_sort_block_merge_implIS3_PiS7_jNS1_19radix_merge_compareILb0ELb1EiNS0_19identity_decomposerEEEEE10hipError_tT0_T1_T2_jT3_P12ihipStream_tbPNSt15iterator_traitsISC_E10value_typeEPNSI_ISD_E10value_typeEPSE_NS1_7vsmem_tEENKUlT_SC_SD_SE_E_clIS7_S7_S7_S7_EESB_SR_SC_SD_SE_EUlSR_E0_NS1_11comp_targetILNS1_3genE0ELNS1_11target_archE4294967295ELNS1_3gpuE0ELNS1_3repE0EEENS1_38merge_mergepath_config_static_selectorELNS0_4arch9wavefront6targetE1EEEvSD_
		.amdhsa_group_segment_fixed_size 0
		.amdhsa_private_segment_fixed_size 0
		.amdhsa_kernarg_size 64
		.amdhsa_user_sgpr_count 6
		.amdhsa_user_sgpr_private_segment_buffer 1
		.amdhsa_user_sgpr_dispatch_ptr 0
		.amdhsa_user_sgpr_queue_ptr 0
		.amdhsa_user_sgpr_kernarg_segment_ptr 1
		.amdhsa_user_sgpr_dispatch_id 0
		.amdhsa_user_sgpr_flat_scratch_init 0
		.amdhsa_user_sgpr_kernarg_preload_length 0
		.amdhsa_user_sgpr_kernarg_preload_offset 0
		.amdhsa_user_sgpr_private_segment_size 0
		.amdhsa_uses_dynamic_stack 0
		.amdhsa_system_sgpr_private_segment_wavefront_offset 0
		.amdhsa_system_sgpr_workgroup_id_x 1
		.amdhsa_system_sgpr_workgroup_id_y 0
		.amdhsa_system_sgpr_workgroup_id_z 0
		.amdhsa_system_sgpr_workgroup_info 0
		.amdhsa_system_vgpr_workitem_id 0
		.amdhsa_next_free_vgpr 1
		.amdhsa_next_free_sgpr 0
		.amdhsa_accum_offset 4
		.amdhsa_reserve_vcc 0
		.amdhsa_reserve_flat_scratch 0
		.amdhsa_float_round_mode_32 0
		.amdhsa_float_round_mode_16_64 0
		.amdhsa_float_denorm_mode_32 3
		.amdhsa_float_denorm_mode_16_64 3
		.amdhsa_dx10_clamp 1
		.amdhsa_ieee_mode 1
		.amdhsa_fp16_overflow 0
		.amdhsa_tg_split 0
		.amdhsa_exception_fp_ieee_invalid_op 0
		.amdhsa_exception_fp_denorm_src 0
		.amdhsa_exception_fp_ieee_div_zero 0
		.amdhsa_exception_fp_ieee_overflow 0
		.amdhsa_exception_fp_ieee_underflow 0
		.amdhsa_exception_fp_ieee_inexact 0
		.amdhsa_exception_int_div_zero 0
	.end_amdhsa_kernel
	.section	.text._ZN7rocprim17ROCPRIM_400000_NS6detail17trampoline_kernelINS0_14default_configENS1_38merge_sort_block_merge_config_selectorIiiEEZZNS1_27merge_sort_block_merge_implIS3_PiS7_jNS1_19radix_merge_compareILb0ELb1EiNS0_19identity_decomposerEEEEE10hipError_tT0_T1_T2_jT3_P12ihipStream_tbPNSt15iterator_traitsISC_E10value_typeEPNSI_ISD_E10value_typeEPSE_NS1_7vsmem_tEENKUlT_SC_SD_SE_E_clIS7_S7_S7_S7_EESB_SR_SC_SD_SE_EUlSR_E0_NS1_11comp_targetILNS1_3genE0ELNS1_11target_archE4294967295ELNS1_3gpuE0ELNS1_3repE0EEENS1_38merge_mergepath_config_static_selectorELNS0_4arch9wavefront6targetE1EEEvSD_,"axG",@progbits,_ZN7rocprim17ROCPRIM_400000_NS6detail17trampoline_kernelINS0_14default_configENS1_38merge_sort_block_merge_config_selectorIiiEEZZNS1_27merge_sort_block_merge_implIS3_PiS7_jNS1_19radix_merge_compareILb0ELb1EiNS0_19identity_decomposerEEEEE10hipError_tT0_T1_T2_jT3_P12ihipStream_tbPNSt15iterator_traitsISC_E10value_typeEPNSI_ISD_E10value_typeEPSE_NS1_7vsmem_tEENKUlT_SC_SD_SE_E_clIS7_S7_S7_S7_EESB_SR_SC_SD_SE_EUlSR_E0_NS1_11comp_targetILNS1_3genE0ELNS1_11target_archE4294967295ELNS1_3gpuE0ELNS1_3repE0EEENS1_38merge_mergepath_config_static_selectorELNS0_4arch9wavefront6targetE1EEEvSD_,comdat
.Lfunc_end333:
	.size	_ZN7rocprim17ROCPRIM_400000_NS6detail17trampoline_kernelINS0_14default_configENS1_38merge_sort_block_merge_config_selectorIiiEEZZNS1_27merge_sort_block_merge_implIS3_PiS7_jNS1_19radix_merge_compareILb0ELb1EiNS0_19identity_decomposerEEEEE10hipError_tT0_T1_T2_jT3_P12ihipStream_tbPNSt15iterator_traitsISC_E10value_typeEPNSI_ISD_E10value_typeEPSE_NS1_7vsmem_tEENKUlT_SC_SD_SE_E_clIS7_S7_S7_S7_EESB_SR_SC_SD_SE_EUlSR_E0_NS1_11comp_targetILNS1_3genE0ELNS1_11target_archE4294967295ELNS1_3gpuE0ELNS1_3repE0EEENS1_38merge_mergepath_config_static_selectorELNS0_4arch9wavefront6targetE1EEEvSD_, .Lfunc_end333-_ZN7rocprim17ROCPRIM_400000_NS6detail17trampoline_kernelINS0_14default_configENS1_38merge_sort_block_merge_config_selectorIiiEEZZNS1_27merge_sort_block_merge_implIS3_PiS7_jNS1_19radix_merge_compareILb0ELb1EiNS0_19identity_decomposerEEEEE10hipError_tT0_T1_T2_jT3_P12ihipStream_tbPNSt15iterator_traitsISC_E10value_typeEPNSI_ISD_E10value_typeEPSE_NS1_7vsmem_tEENKUlT_SC_SD_SE_E_clIS7_S7_S7_S7_EESB_SR_SC_SD_SE_EUlSR_E0_NS1_11comp_targetILNS1_3genE0ELNS1_11target_archE4294967295ELNS1_3gpuE0ELNS1_3repE0EEENS1_38merge_mergepath_config_static_selectorELNS0_4arch9wavefront6targetE1EEEvSD_
                                        ; -- End function
	.section	.AMDGPU.csdata,"",@progbits
; Kernel info:
; codeLenInByte = 0
; NumSgprs: 4
; NumVgprs: 0
; NumAgprs: 0
; TotalNumVgprs: 0
; ScratchSize: 0
; MemoryBound: 0
; FloatMode: 240
; IeeeMode: 1
; LDSByteSize: 0 bytes/workgroup (compile time only)
; SGPRBlocks: 0
; VGPRBlocks: 0
; NumSGPRsForWavesPerEU: 4
; NumVGPRsForWavesPerEU: 1
; AccumOffset: 4
; Occupancy: 8
; WaveLimiterHint : 0
; COMPUTE_PGM_RSRC2:SCRATCH_EN: 0
; COMPUTE_PGM_RSRC2:USER_SGPR: 6
; COMPUTE_PGM_RSRC2:TRAP_HANDLER: 0
; COMPUTE_PGM_RSRC2:TGID_X_EN: 1
; COMPUTE_PGM_RSRC2:TGID_Y_EN: 0
; COMPUTE_PGM_RSRC2:TGID_Z_EN: 0
; COMPUTE_PGM_RSRC2:TIDIG_COMP_CNT: 0
; COMPUTE_PGM_RSRC3_GFX90A:ACCUM_OFFSET: 0
; COMPUTE_PGM_RSRC3_GFX90A:TG_SPLIT: 0
	.section	.text._ZN7rocprim17ROCPRIM_400000_NS6detail17trampoline_kernelINS0_14default_configENS1_38merge_sort_block_merge_config_selectorIiiEEZZNS1_27merge_sort_block_merge_implIS3_PiS7_jNS1_19radix_merge_compareILb0ELb1EiNS0_19identity_decomposerEEEEE10hipError_tT0_T1_T2_jT3_P12ihipStream_tbPNSt15iterator_traitsISC_E10value_typeEPNSI_ISD_E10value_typeEPSE_NS1_7vsmem_tEENKUlT_SC_SD_SE_E_clIS7_S7_S7_S7_EESB_SR_SC_SD_SE_EUlSR_E0_NS1_11comp_targetILNS1_3genE10ELNS1_11target_archE1201ELNS1_3gpuE5ELNS1_3repE0EEENS1_38merge_mergepath_config_static_selectorELNS0_4arch9wavefront6targetE1EEEvSD_,"axG",@progbits,_ZN7rocprim17ROCPRIM_400000_NS6detail17trampoline_kernelINS0_14default_configENS1_38merge_sort_block_merge_config_selectorIiiEEZZNS1_27merge_sort_block_merge_implIS3_PiS7_jNS1_19radix_merge_compareILb0ELb1EiNS0_19identity_decomposerEEEEE10hipError_tT0_T1_T2_jT3_P12ihipStream_tbPNSt15iterator_traitsISC_E10value_typeEPNSI_ISD_E10value_typeEPSE_NS1_7vsmem_tEENKUlT_SC_SD_SE_E_clIS7_S7_S7_S7_EESB_SR_SC_SD_SE_EUlSR_E0_NS1_11comp_targetILNS1_3genE10ELNS1_11target_archE1201ELNS1_3gpuE5ELNS1_3repE0EEENS1_38merge_mergepath_config_static_selectorELNS0_4arch9wavefront6targetE1EEEvSD_,comdat
	.protected	_ZN7rocprim17ROCPRIM_400000_NS6detail17trampoline_kernelINS0_14default_configENS1_38merge_sort_block_merge_config_selectorIiiEEZZNS1_27merge_sort_block_merge_implIS3_PiS7_jNS1_19radix_merge_compareILb0ELb1EiNS0_19identity_decomposerEEEEE10hipError_tT0_T1_T2_jT3_P12ihipStream_tbPNSt15iterator_traitsISC_E10value_typeEPNSI_ISD_E10value_typeEPSE_NS1_7vsmem_tEENKUlT_SC_SD_SE_E_clIS7_S7_S7_S7_EESB_SR_SC_SD_SE_EUlSR_E0_NS1_11comp_targetILNS1_3genE10ELNS1_11target_archE1201ELNS1_3gpuE5ELNS1_3repE0EEENS1_38merge_mergepath_config_static_selectorELNS0_4arch9wavefront6targetE1EEEvSD_ ; -- Begin function _ZN7rocprim17ROCPRIM_400000_NS6detail17trampoline_kernelINS0_14default_configENS1_38merge_sort_block_merge_config_selectorIiiEEZZNS1_27merge_sort_block_merge_implIS3_PiS7_jNS1_19radix_merge_compareILb0ELb1EiNS0_19identity_decomposerEEEEE10hipError_tT0_T1_T2_jT3_P12ihipStream_tbPNSt15iterator_traitsISC_E10value_typeEPNSI_ISD_E10value_typeEPSE_NS1_7vsmem_tEENKUlT_SC_SD_SE_E_clIS7_S7_S7_S7_EESB_SR_SC_SD_SE_EUlSR_E0_NS1_11comp_targetILNS1_3genE10ELNS1_11target_archE1201ELNS1_3gpuE5ELNS1_3repE0EEENS1_38merge_mergepath_config_static_selectorELNS0_4arch9wavefront6targetE1EEEvSD_
	.globl	_ZN7rocprim17ROCPRIM_400000_NS6detail17trampoline_kernelINS0_14default_configENS1_38merge_sort_block_merge_config_selectorIiiEEZZNS1_27merge_sort_block_merge_implIS3_PiS7_jNS1_19radix_merge_compareILb0ELb1EiNS0_19identity_decomposerEEEEE10hipError_tT0_T1_T2_jT3_P12ihipStream_tbPNSt15iterator_traitsISC_E10value_typeEPNSI_ISD_E10value_typeEPSE_NS1_7vsmem_tEENKUlT_SC_SD_SE_E_clIS7_S7_S7_S7_EESB_SR_SC_SD_SE_EUlSR_E0_NS1_11comp_targetILNS1_3genE10ELNS1_11target_archE1201ELNS1_3gpuE5ELNS1_3repE0EEENS1_38merge_mergepath_config_static_selectorELNS0_4arch9wavefront6targetE1EEEvSD_
	.p2align	8
	.type	_ZN7rocprim17ROCPRIM_400000_NS6detail17trampoline_kernelINS0_14default_configENS1_38merge_sort_block_merge_config_selectorIiiEEZZNS1_27merge_sort_block_merge_implIS3_PiS7_jNS1_19radix_merge_compareILb0ELb1EiNS0_19identity_decomposerEEEEE10hipError_tT0_T1_T2_jT3_P12ihipStream_tbPNSt15iterator_traitsISC_E10value_typeEPNSI_ISD_E10value_typeEPSE_NS1_7vsmem_tEENKUlT_SC_SD_SE_E_clIS7_S7_S7_S7_EESB_SR_SC_SD_SE_EUlSR_E0_NS1_11comp_targetILNS1_3genE10ELNS1_11target_archE1201ELNS1_3gpuE5ELNS1_3repE0EEENS1_38merge_mergepath_config_static_selectorELNS0_4arch9wavefront6targetE1EEEvSD_,@function
_ZN7rocprim17ROCPRIM_400000_NS6detail17trampoline_kernelINS0_14default_configENS1_38merge_sort_block_merge_config_selectorIiiEEZZNS1_27merge_sort_block_merge_implIS3_PiS7_jNS1_19radix_merge_compareILb0ELb1EiNS0_19identity_decomposerEEEEE10hipError_tT0_T1_T2_jT3_P12ihipStream_tbPNSt15iterator_traitsISC_E10value_typeEPNSI_ISD_E10value_typeEPSE_NS1_7vsmem_tEENKUlT_SC_SD_SE_E_clIS7_S7_S7_S7_EESB_SR_SC_SD_SE_EUlSR_E0_NS1_11comp_targetILNS1_3genE10ELNS1_11target_archE1201ELNS1_3gpuE5ELNS1_3repE0EEENS1_38merge_mergepath_config_static_selectorELNS0_4arch9wavefront6targetE1EEEvSD_: ; @_ZN7rocprim17ROCPRIM_400000_NS6detail17trampoline_kernelINS0_14default_configENS1_38merge_sort_block_merge_config_selectorIiiEEZZNS1_27merge_sort_block_merge_implIS3_PiS7_jNS1_19radix_merge_compareILb0ELb1EiNS0_19identity_decomposerEEEEE10hipError_tT0_T1_T2_jT3_P12ihipStream_tbPNSt15iterator_traitsISC_E10value_typeEPNSI_ISD_E10value_typeEPSE_NS1_7vsmem_tEENKUlT_SC_SD_SE_E_clIS7_S7_S7_S7_EESB_SR_SC_SD_SE_EUlSR_E0_NS1_11comp_targetILNS1_3genE10ELNS1_11target_archE1201ELNS1_3gpuE5ELNS1_3repE0EEENS1_38merge_mergepath_config_static_selectorELNS0_4arch9wavefront6targetE1EEEvSD_
; %bb.0:
	.section	.rodata,"a",@progbits
	.p2align	6, 0x0
	.amdhsa_kernel _ZN7rocprim17ROCPRIM_400000_NS6detail17trampoline_kernelINS0_14default_configENS1_38merge_sort_block_merge_config_selectorIiiEEZZNS1_27merge_sort_block_merge_implIS3_PiS7_jNS1_19radix_merge_compareILb0ELb1EiNS0_19identity_decomposerEEEEE10hipError_tT0_T1_T2_jT3_P12ihipStream_tbPNSt15iterator_traitsISC_E10value_typeEPNSI_ISD_E10value_typeEPSE_NS1_7vsmem_tEENKUlT_SC_SD_SE_E_clIS7_S7_S7_S7_EESB_SR_SC_SD_SE_EUlSR_E0_NS1_11comp_targetILNS1_3genE10ELNS1_11target_archE1201ELNS1_3gpuE5ELNS1_3repE0EEENS1_38merge_mergepath_config_static_selectorELNS0_4arch9wavefront6targetE1EEEvSD_
		.amdhsa_group_segment_fixed_size 0
		.amdhsa_private_segment_fixed_size 0
		.amdhsa_kernarg_size 64
		.amdhsa_user_sgpr_count 6
		.amdhsa_user_sgpr_private_segment_buffer 1
		.amdhsa_user_sgpr_dispatch_ptr 0
		.amdhsa_user_sgpr_queue_ptr 0
		.amdhsa_user_sgpr_kernarg_segment_ptr 1
		.amdhsa_user_sgpr_dispatch_id 0
		.amdhsa_user_sgpr_flat_scratch_init 0
		.amdhsa_user_sgpr_kernarg_preload_length 0
		.amdhsa_user_sgpr_kernarg_preload_offset 0
		.amdhsa_user_sgpr_private_segment_size 0
		.amdhsa_uses_dynamic_stack 0
		.amdhsa_system_sgpr_private_segment_wavefront_offset 0
		.amdhsa_system_sgpr_workgroup_id_x 1
		.amdhsa_system_sgpr_workgroup_id_y 0
		.amdhsa_system_sgpr_workgroup_id_z 0
		.amdhsa_system_sgpr_workgroup_info 0
		.amdhsa_system_vgpr_workitem_id 0
		.amdhsa_next_free_vgpr 1
		.amdhsa_next_free_sgpr 0
		.amdhsa_accum_offset 4
		.amdhsa_reserve_vcc 0
		.amdhsa_reserve_flat_scratch 0
		.amdhsa_float_round_mode_32 0
		.amdhsa_float_round_mode_16_64 0
		.amdhsa_float_denorm_mode_32 3
		.amdhsa_float_denorm_mode_16_64 3
		.amdhsa_dx10_clamp 1
		.amdhsa_ieee_mode 1
		.amdhsa_fp16_overflow 0
		.amdhsa_tg_split 0
		.amdhsa_exception_fp_ieee_invalid_op 0
		.amdhsa_exception_fp_denorm_src 0
		.amdhsa_exception_fp_ieee_div_zero 0
		.amdhsa_exception_fp_ieee_overflow 0
		.amdhsa_exception_fp_ieee_underflow 0
		.amdhsa_exception_fp_ieee_inexact 0
		.amdhsa_exception_int_div_zero 0
	.end_amdhsa_kernel
	.section	.text._ZN7rocprim17ROCPRIM_400000_NS6detail17trampoline_kernelINS0_14default_configENS1_38merge_sort_block_merge_config_selectorIiiEEZZNS1_27merge_sort_block_merge_implIS3_PiS7_jNS1_19radix_merge_compareILb0ELb1EiNS0_19identity_decomposerEEEEE10hipError_tT0_T1_T2_jT3_P12ihipStream_tbPNSt15iterator_traitsISC_E10value_typeEPNSI_ISD_E10value_typeEPSE_NS1_7vsmem_tEENKUlT_SC_SD_SE_E_clIS7_S7_S7_S7_EESB_SR_SC_SD_SE_EUlSR_E0_NS1_11comp_targetILNS1_3genE10ELNS1_11target_archE1201ELNS1_3gpuE5ELNS1_3repE0EEENS1_38merge_mergepath_config_static_selectorELNS0_4arch9wavefront6targetE1EEEvSD_,"axG",@progbits,_ZN7rocprim17ROCPRIM_400000_NS6detail17trampoline_kernelINS0_14default_configENS1_38merge_sort_block_merge_config_selectorIiiEEZZNS1_27merge_sort_block_merge_implIS3_PiS7_jNS1_19radix_merge_compareILb0ELb1EiNS0_19identity_decomposerEEEEE10hipError_tT0_T1_T2_jT3_P12ihipStream_tbPNSt15iterator_traitsISC_E10value_typeEPNSI_ISD_E10value_typeEPSE_NS1_7vsmem_tEENKUlT_SC_SD_SE_E_clIS7_S7_S7_S7_EESB_SR_SC_SD_SE_EUlSR_E0_NS1_11comp_targetILNS1_3genE10ELNS1_11target_archE1201ELNS1_3gpuE5ELNS1_3repE0EEENS1_38merge_mergepath_config_static_selectorELNS0_4arch9wavefront6targetE1EEEvSD_,comdat
.Lfunc_end334:
	.size	_ZN7rocprim17ROCPRIM_400000_NS6detail17trampoline_kernelINS0_14default_configENS1_38merge_sort_block_merge_config_selectorIiiEEZZNS1_27merge_sort_block_merge_implIS3_PiS7_jNS1_19radix_merge_compareILb0ELb1EiNS0_19identity_decomposerEEEEE10hipError_tT0_T1_T2_jT3_P12ihipStream_tbPNSt15iterator_traitsISC_E10value_typeEPNSI_ISD_E10value_typeEPSE_NS1_7vsmem_tEENKUlT_SC_SD_SE_E_clIS7_S7_S7_S7_EESB_SR_SC_SD_SE_EUlSR_E0_NS1_11comp_targetILNS1_3genE10ELNS1_11target_archE1201ELNS1_3gpuE5ELNS1_3repE0EEENS1_38merge_mergepath_config_static_selectorELNS0_4arch9wavefront6targetE1EEEvSD_, .Lfunc_end334-_ZN7rocprim17ROCPRIM_400000_NS6detail17trampoline_kernelINS0_14default_configENS1_38merge_sort_block_merge_config_selectorIiiEEZZNS1_27merge_sort_block_merge_implIS3_PiS7_jNS1_19radix_merge_compareILb0ELb1EiNS0_19identity_decomposerEEEEE10hipError_tT0_T1_T2_jT3_P12ihipStream_tbPNSt15iterator_traitsISC_E10value_typeEPNSI_ISD_E10value_typeEPSE_NS1_7vsmem_tEENKUlT_SC_SD_SE_E_clIS7_S7_S7_S7_EESB_SR_SC_SD_SE_EUlSR_E0_NS1_11comp_targetILNS1_3genE10ELNS1_11target_archE1201ELNS1_3gpuE5ELNS1_3repE0EEENS1_38merge_mergepath_config_static_selectorELNS0_4arch9wavefront6targetE1EEEvSD_
                                        ; -- End function
	.section	.AMDGPU.csdata,"",@progbits
; Kernel info:
; codeLenInByte = 0
; NumSgprs: 4
; NumVgprs: 0
; NumAgprs: 0
; TotalNumVgprs: 0
; ScratchSize: 0
; MemoryBound: 0
; FloatMode: 240
; IeeeMode: 1
; LDSByteSize: 0 bytes/workgroup (compile time only)
; SGPRBlocks: 0
; VGPRBlocks: 0
; NumSGPRsForWavesPerEU: 4
; NumVGPRsForWavesPerEU: 1
; AccumOffset: 4
; Occupancy: 8
; WaveLimiterHint : 0
; COMPUTE_PGM_RSRC2:SCRATCH_EN: 0
; COMPUTE_PGM_RSRC2:USER_SGPR: 6
; COMPUTE_PGM_RSRC2:TRAP_HANDLER: 0
; COMPUTE_PGM_RSRC2:TGID_X_EN: 1
; COMPUTE_PGM_RSRC2:TGID_Y_EN: 0
; COMPUTE_PGM_RSRC2:TGID_Z_EN: 0
; COMPUTE_PGM_RSRC2:TIDIG_COMP_CNT: 0
; COMPUTE_PGM_RSRC3_GFX90A:ACCUM_OFFSET: 0
; COMPUTE_PGM_RSRC3_GFX90A:TG_SPLIT: 0
	.section	.text._ZN7rocprim17ROCPRIM_400000_NS6detail17trampoline_kernelINS0_14default_configENS1_38merge_sort_block_merge_config_selectorIiiEEZZNS1_27merge_sort_block_merge_implIS3_PiS7_jNS1_19radix_merge_compareILb0ELb1EiNS0_19identity_decomposerEEEEE10hipError_tT0_T1_T2_jT3_P12ihipStream_tbPNSt15iterator_traitsISC_E10value_typeEPNSI_ISD_E10value_typeEPSE_NS1_7vsmem_tEENKUlT_SC_SD_SE_E_clIS7_S7_S7_S7_EESB_SR_SC_SD_SE_EUlSR_E0_NS1_11comp_targetILNS1_3genE5ELNS1_11target_archE942ELNS1_3gpuE9ELNS1_3repE0EEENS1_38merge_mergepath_config_static_selectorELNS0_4arch9wavefront6targetE1EEEvSD_,"axG",@progbits,_ZN7rocprim17ROCPRIM_400000_NS6detail17trampoline_kernelINS0_14default_configENS1_38merge_sort_block_merge_config_selectorIiiEEZZNS1_27merge_sort_block_merge_implIS3_PiS7_jNS1_19radix_merge_compareILb0ELb1EiNS0_19identity_decomposerEEEEE10hipError_tT0_T1_T2_jT3_P12ihipStream_tbPNSt15iterator_traitsISC_E10value_typeEPNSI_ISD_E10value_typeEPSE_NS1_7vsmem_tEENKUlT_SC_SD_SE_E_clIS7_S7_S7_S7_EESB_SR_SC_SD_SE_EUlSR_E0_NS1_11comp_targetILNS1_3genE5ELNS1_11target_archE942ELNS1_3gpuE9ELNS1_3repE0EEENS1_38merge_mergepath_config_static_selectorELNS0_4arch9wavefront6targetE1EEEvSD_,comdat
	.protected	_ZN7rocprim17ROCPRIM_400000_NS6detail17trampoline_kernelINS0_14default_configENS1_38merge_sort_block_merge_config_selectorIiiEEZZNS1_27merge_sort_block_merge_implIS3_PiS7_jNS1_19radix_merge_compareILb0ELb1EiNS0_19identity_decomposerEEEEE10hipError_tT0_T1_T2_jT3_P12ihipStream_tbPNSt15iterator_traitsISC_E10value_typeEPNSI_ISD_E10value_typeEPSE_NS1_7vsmem_tEENKUlT_SC_SD_SE_E_clIS7_S7_S7_S7_EESB_SR_SC_SD_SE_EUlSR_E0_NS1_11comp_targetILNS1_3genE5ELNS1_11target_archE942ELNS1_3gpuE9ELNS1_3repE0EEENS1_38merge_mergepath_config_static_selectorELNS0_4arch9wavefront6targetE1EEEvSD_ ; -- Begin function _ZN7rocprim17ROCPRIM_400000_NS6detail17trampoline_kernelINS0_14default_configENS1_38merge_sort_block_merge_config_selectorIiiEEZZNS1_27merge_sort_block_merge_implIS3_PiS7_jNS1_19radix_merge_compareILb0ELb1EiNS0_19identity_decomposerEEEEE10hipError_tT0_T1_T2_jT3_P12ihipStream_tbPNSt15iterator_traitsISC_E10value_typeEPNSI_ISD_E10value_typeEPSE_NS1_7vsmem_tEENKUlT_SC_SD_SE_E_clIS7_S7_S7_S7_EESB_SR_SC_SD_SE_EUlSR_E0_NS1_11comp_targetILNS1_3genE5ELNS1_11target_archE942ELNS1_3gpuE9ELNS1_3repE0EEENS1_38merge_mergepath_config_static_selectorELNS0_4arch9wavefront6targetE1EEEvSD_
	.globl	_ZN7rocprim17ROCPRIM_400000_NS6detail17trampoline_kernelINS0_14default_configENS1_38merge_sort_block_merge_config_selectorIiiEEZZNS1_27merge_sort_block_merge_implIS3_PiS7_jNS1_19radix_merge_compareILb0ELb1EiNS0_19identity_decomposerEEEEE10hipError_tT0_T1_T2_jT3_P12ihipStream_tbPNSt15iterator_traitsISC_E10value_typeEPNSI_ISD_E10value_typeEPSE_NS1_7vsmem_tEENKUlT_SC_SD_SE_E_clIS7_S7_S7_S7_EESB_SR_SC_SD_SE_EUlSR_E0_NS1_11comp_targetILNS1_3genE5ELNS1_11target_archE942ELNS1_3gpuE9ELNS1_3repE0EEENS1_38merge_mergepath_config_static_selectorELNS0_4arch9wavefront6targetE1EEEvSD_
	.p2align	8
	.type	_ZN7rocprim17ROCPRIM_400000_NS6detail17trampoline_kernelINS0_14default_configENS1_38merge_sort_block_merge_config_selectorIiiEEZZNS1_27merge_sort_block_merge_implIS3_PiS7_jNS1_19radix_merge_compareILb0ELb1EiNS0_19identity_decomposerEEEEE10hipError_tT0_T1_T2_jT3_P12ihipStream_tbPNSt15iterator_traitsISC_E10value_typeEPNSI_ISD_E10value_typeEPSE_NS1_7vsmem_tEENKUlT_SC_SD_SE_E_clIS7_S7_S7_S7_EESB_SR_SC_SD_SE_EUlSR_E0_NS1_11comp_targetILNS1_3genE5ELNS1_11target_archE942ELNS1_3gpuE9ELNS1_3repE0EEENS1_38merge_mergepath_config_static_selectorELNS0_4arch9wavefront6targetE1EEEvSD_,@function
_ZN7rocprim17ROCPRIM_400000_NS6detail17trampoline_kernelINS0_14default_configENS1_38merge_sort_block_merge_config_selectorIiiEEZZNS1_27merge_sort_block_merge_implIS3_PiS7_jNS1_19radix_merge_compareILb0ELb1EiNS0_19identity_decomposerEEEEE10hipError_tT0_T1_T2_jT3_P12ihipStream_tbPNSt15iterator_traitsISC_E10value_typeEPNSI_ISD_E10value_typeEPSE_NS1_7vsmem_tEENKUlT_SC_SD_SE_E_clIS7_S7_S7_S7_EESB_SR_SC_SD_SE_EUlSR_E0_NS1_11comp_targetILNS1_3genE5ELNS1_11target_archE942ELNS1_3gpuE9ELNS1_3repE0EEENS1_38merge_mergepath_config_static_selectorELNS0_4arch9wavefront6targetE1EEEvSD_: ; @_ZN7rocprim17ROCPRIM_400000_NS6detail17trampoline_kernelINS0_14default_configENS1_38merge_sort_block_merge_config_selectorIiiEEZZNS1_27merge_sort_block_merge_implIS3_PiS7_jNS1_19radix_merge_compareILb0ELb1EiNS0_19identity_decomposerEEEEE10hipError_tT0_T1_T2_jT3_P12ihipStream_tbPNSt15iterator_traitsISC_E10value_typeEPNSI_ISD_E10value_typeEPSE_NS1_7vsmem_tEENKUlT_SC_SD_SE_E_clIS7_S7_S7_S7_EESB_SR_SC_SD_SE_EUlSR_E0_NS1_11comp_targetILNS1_3genE5ELNS1_11target_archE942ELNS1_3gpuE9ELNS1_3repE0EEENS1_38merge_mergepath_config_static_selectorELNS0_4arch9wavefront6targetE1EEEvSD_
; %bb.0:
	.section	.rodata,"a",@progbits
	.p2align	6, 0x0
	.amdhsa_kernel _ZN7rocprim17ROCPRIM_400000_NS6detail17trampoline_kernelINS0_14default_configENS1_38merge_sort_block_merge_config_selectorIiiEEZZNS1_27merge_sort_block_merge_implIS3_PiS7_jNS1_19radix_merge_compareILb0ELb1EiNS0_19identity_decomposerEEEEE10hipError_tT0_T1_T2_jT3_P12ihipStream_tbPNSt15iterator_traitsISC_E10value_typeEPNSI_ISD_E10value_typeEPSE_NS1_7vsmem_tEENKUlT_SC_SD_SE_E_clIS7_S7_S7_S7_EESB_SR_SC_SD_SE_EUlSR_E0_NS1_11comp_targetILNS1_3genE5ELNS1_11target_archE942ELNS1_3gpuE9ELNS1_3repE0EEENS1_38merge_mergepath_config_static_selectorELNS0_4arch9wavefront6targetE1EEEvSD_
		.amdhsa_group_segment_fixed_size 0
		.amdhsa_private_segment_fixed_size 0
		.amdhsa_kernarg_size 64
		.amdhsa_user_sgpr_count 6
		.amdhsa_user_sgpr_private_segment_buffer 1
		.amdhsa_user_sgpr_dispatch_ptr 0
		.amdhsa_user_sgpr_queue_ptr 0
		.amdhsa_user_sgpr_kernarg_segment_ptr 1
		.amdhsa_user_sgpr_dispatch_id 0
		.amdhsa_user_sgpr_flat_scratch_init 0
		.amdhsa_user_sgpr_kernarg_preload_length 0
		.amdhsa_user_sgpr_kernarg_preload_offset 0
		.amdhsa_user_sgpr_private_segment_size 0
		.amdhsa_uses_dynamic_stack 0
		.amdhsa_system_sgpr_private_segment_wavefront_offset 0
		.amdhsa_system_sgpr_workgroup_id_x 1
		.amdhsa_system_sgpr_workgroup_id_y 0
		.amdhsa_system_sgpr_workgroup_id_z 0
		.amdhsa_system_sgpr_workgroup_info 0
		.amdhsa_system_vgpr_workitem_id 0
		.amdhsa_next_free_vgpr 1
		.amdhsa_next_free_sgpr 0
		.amdhsa_accum_offset 4
		.amdhsa_reserve_vcc 0
		.amdhsa_reserve_flat_scratch 0
		.amdhsa_float_round_mode_32 0
		.amdhsa_float_round_mode_16_64 0
		.amdhsa_float_denorm_mode_32 3
		.amdhsa_float_denorm_mode_16_64 3
		.amdhsa_dx10_clamp 1
		.amdhsa_ieee_mode 1
		.amdhsa_fp16_overflow 0
		.amdhsa_tg_split 0
		.amdhsa_exception_fp_ieee_invalid_op 0
		.amdhsa_exception_fp_denorm_src 0
		.amdhsa_exception_fp_ieee_div_zero 0
		.amdhsa_exception_fp_ieee_overflow 0
		.amdhsa_exception_fp_ieee_underflow 0
		.amdhsa_exception_fp_ieee_inexact 0
		.amdhsa_exception_int_div_zero 0
	.end_amdhsa_kernel
	.section	.text._ZN7rocprim17ROCPRIM_400000_NS6detail17trampoline_kernelINS0_14default_configENS1_38merge_sort_block_merge_config_selectorIiiEEZZNS1_27merge_sort_block_merge_implIS3_PiS7_jNS1_19radix_merge_compareILb0ELb1EiNS0_19identity_decomposerEEEEE10hipError_tT0_T1_T2_jT3_P12ihipStream_tbPNSt15iterator_traitsISC_E10value_typeEPNSI_ISD_E10value_typeEPSE_NS1_7vsmem_tEENKUlT_SC_SD_SE_E_clIS7_S7_S7_S7_EESB_SR_SC_SD_SE_EUlSR_E0_NS1_11comp_targetILNS1_3genE5ELNS1_11target_archE942ELNS1_3gpuE9ELNS1_3repE0EEENS1_38merge_mergepath_config_static_selectorELNS0_4arch9wavefront6targetE1EEEvSD_,"axG",@progbits,_ZN7rocprim17ROCPRIM_400000_NS6detail17trampoline_kernelINS0_14default_configENS1_38merge_sort_block_merge_config_selectorIiiEEZZNS1_27merge_sort_block_merge_implIS3_PiS7_jNS1_19radix_merge_compareILb0ELb1EiNS0_19identity_decomposerEEEEE10hipError_tT0_T1_T2_jT3_P12ihipStream_tbPNSt15iterator_traitsISC_E10value_typeEPNSI_ISD_E10value_typeEPSE_NS1_7vsmem_tEENKUlT_SC_SD_SE_E_clIS7_S7_S7_S7_EESB_SR_SC_SD_SE_EUlSR_E0_NS1_11comp_targetILNS1_3genE5ELNS1_11target_archE942ELNS1_3gpuE9ELNS1_3repE0EEENS1_38merge_mergepath_config_static_selectorELNS0_4arch9wavefront6targetE1EEEvSD_,comdat
.Lfunc_end335:
	.size	_ZN7rocprim17ROCPRIM_400000_NS6detail17trampoline_kernelINS0_14default_configENS1_38merge_sort_block_merge_config_selectorIiiEEZZNS1_27merge_sort_block_merge_implIS3_PiS7_jNS1_19radix_merge_compareILb0ELb1EiNS0_19identity_decomposerEEEEE10hipError_tT0_T1_T2_jT3_P12ihipStream_tbPNSt15iterator_traitsISC_E10value_typeEPNSI_ISD_E10value_typeEPSE_NS1_7vsmem_tEENKUlT_SC_SD_SE_E_clIS7_S7_S7_S7_EESB_SR_SC_SD_SE_EUlSR_E0_NS1_11comp_targetILNS1_3genE5ELNS1_11target_archE942ELNS1_3gpuE9ELNS1_3repE0EEENS1_38merge_mergepath_config_static_selectorELNS0_4arch9wavefront6targetE1EEEvSD_, .Lfunc_end335-_ZN7rocprim17ROCPRIM_400000_NS6detail17trampoline_kernelINS0_14default_configENS1_38merge_sort_block_merge_config_selectorIiiEEZZNS1_27merge_sort_block_merge_implIS3_PiS7_jNS1_19radix_merge_compareILb0ELb1EiNS0_19identity_decomposerEEEEE10hipError_tT0_T1_T2_jT3_P12ihipStream_tbPNSt15iterator_traitsISC_E10value_typeEPNSI_ISD_E10value_typeEPSE_NS1_7vsmem_tEENKUlT_SC_SD_SE_E_clIS7_S7_S7_S7_EESB_SR_SC_SD_SE_EUlSR_E0_NS1_11comp_targetILNS1_3genE5ELNS1_11target_archE942ELNS1_3gpuE9ELNS1_3repE0EEENS1_38merge_mergepath_config_static_selectorELNS0_4arch9wavefront6targetE1EEEvSD_
                                        ; -- End function
	.section	.AMDGPU.csdata,"",@progbits
; Kernel info:
; codeLenInByte = 0
; NumSgprs: 4
; NumVgprs: 0
; NumAgprs: 0
; TotalNumVgprs: 0
; ScratchSize: 0
; MemoryBound: 0
; FloatMode: 240
; IeeeMode: 1
; LDSByteSize: 0 bytes/workgroup (compile time only)
; SGPRBlocks: 0
; VGPRBlocks: 0
; NumSGPRsForWavesPerEU: 4
; NumVGPRsForWavesPerEU: 1
; AccumOffset: 4
; Occupancy: 8
; WaveLimiterHint : 0
; COMPUTE_PGM_RSRC2:SCRATCH_EN: 0
; COMPUTE_PGM_RSRC2:USER_SGPR: 6
; COMPUTE_PGM_RSRC2:TRAP_HANDLER: 0
; COMPUTE_PGM_RSRC2:TGID_X_EN: 1
; COMPUTE_PGM_RSRC2:TGID_Y_EN: 0
; COMPUTE_PGM_RSRC2:TGID_Z_EN: 0
; COMPUTE_PGM_RSRC2:TIDIG_COMP_CNT: 0
; COMPUTE_PGM_RSRC3_GFX90A:ACCUM_OFFSET: 0
; COMPUTE_PGM_RSRC3_GFX90A:TG_SPLIT: 0
	.section	.text._ZN7rocprim17ROCPRIM_400000_NS6detail17trampoline_kernelINS0_14default_configENS1_38merge_sort_block_merge_config_selectorIiiEEZZNS1_27merge_sort_block_merge_implIS3_PiS7_jNS1_19radix_merge_compareILb0ELb1EiNS0_19identity_decomposerEEEEE10hipError_tT0_T1_T2_jT3_P12ihipStream_tbPNSt15iterator_traitsISC_E10value_typeEPNSI_ISD_E10value_typeEPSE_NS1_7vsmem_tEENKUlT_SC_SD_SE_E_clIS7_S7_S7_S7_EESB_SR_SC_SD_SE_EUlSR_E0_NS1_11comp_targetILNS1_3genE4ELNS1_11target_archE910ELNS1_3gpuE8ELNS1_3repE0EEENS1_38merge_mergepath_config_static_selectorELNS0_4arch9wavefront6targetE1EEEvSD_,"axG",@progbits,_ZN7rocprim17ROCPRIM_400000_NS6detail17trampoline_kernelINS0_14default_configENS1_38merge_sort_block_merge_config_selectorIiiEEZZNS1_27merge_sort_block_merge_implIS3_PiS7_jNS1_19radix_merge_compareILb0ELb1EiNS0_19identity_decomposerEEEEE10hipError_tT0_T1_T2_jT3_P12ihipStream_tbPNSt15iterator_traitsISC_E10value_typeEPNSI_ISD_E10value_typeEPSE_NS1_7vsmem_tEENKUlT_SC_SD_SE_E_clIS7_S7_S7_S7_EESB_SR_SC_SD_SE_EUlSR_E0_NS1_11comp_targetILNS1_3genE4ELNS1_11target_archE910ELNS1_3gpuE8ELNS1_3repE0EEENS1_38merge_mergepath_config_static_selectorELNS0_4arch9wavefront6targetE1EEEvSD_,comdat
	.protected	_ZN7rocprim17ROCPRIM_400000_NS6detail17trampoline_kernelINS0_14default_configENS1_38merge_sort_block_merge_config_selectorIiiEEZZNS1_27merge_sort_block_merge_implIS3_PiS7_jNS1_19radix_merge_compareILb0ELb1EiNS0_19identity_decomposerEEEEE10hipError_tT0_T1_T2_jT3_P12ihipStream_tbPNSt15iterator_traitsISC_E10value_typeEPNSI_ISD_E10value_typeEPSE_NS1_7vsmem_tEENKUlT_SC_SD_SE_E_clIS7_S7_S7_S7_EESB_SR_SC_SD_SE_EUlSR_E0_NS1_11comp_targetILNS1_3genE4ELNS1_11target_archE910ELNS1_3gpuE8ELNS1_3repE0EEENS1_38merge_mergepath_config_static_selectorELNS0_4arch9wavefront6targetE1EEEvSD_ ; -- Begin function _ZN7rocprim17ROCPRIM_400000_NS6detail17trampoline_kernelINS0_14default_configENS1_38merge_sort_block_merge_config_selectorIiiEEZZNS1_27merge_sort_block_merge_implIS3_PiS7_jNS1_19radix_merge_compareILb0ELb1EiNS0_19identity_decomposerEEEEE10hipError_tT0_T1_T2_jT3_P12ihipStream_tbPNSt15iterator_traitsISC_E10value_typeEPNSI_ISD_E10value_typeEPSE_NS1_7vsmem_tEENKUlT_SC_SD_SE_E_clIS7_S7_S7_S7_EESB_SR_SC_SD_SE_EUlSR_E0_NS1_11comp_targetILNS1_3genE4ELNS1_11target_archE910ELNS1_3gpuE8ELNS1_3repE0EEENS1_38merge_mergepath_config_static_selectorELNS0_4arch9wavefront6targetE1EEEvSD_
	.globl	_ZN7rocprim17ROCPRIM_400000_NS6detail17trampoline_kernelINS0_14default_configENS1_38merge_sort_block_merge_config_selectorIiiEEZZNS1_27merge_sort_block_merge_implIS3_PiS7_jNS1_19radix_merge_compareILb0ELb1EiNS0_19identity_decomposerEEEEE10hipError_tT0_T1_T2_jT3_P12ihipStream_tbPNSt15iterator_traitsISC_E10value_typeEPNSI_ISD_E10value_typeEPSE_NS1_7vsmem_tEENKUlT_SC_SD_SE_E_clIS7_S7_S7_S7_EESB_SR_SC_SD_SE_EUlSR_E0_NS1_11comp_targetILNS1_3genE4ELNS1_11target_archE910ELNS1_3gpuE8ELNS1_3repE0EEENS1_38merge_mergepath_config_static_selectorELNS0_4arch9wavefront6targetE1EEEvSD_
	.p2align	8
	.type	_ZN7rocprim17ROCPRIM_400000_NS6detail17trampoline_kernelINS0_14default_configENS1_38merge_sort_block_merge_config_selectorIiiEEZZNS1_27merge_sort_block_merge_implIS3_PiS7_jNS1_19radix_merge_compareILb0ELb1EiNS0_19identity_decomposerEEEEE10hipError_tT0_T1_T2_jT3_P12ihipStream_tbPNSt15iterator_traitsISC_E10value_typeEPNSI_ISD_E10value_typeEPSE_NS1_7vsmem_tEENKUlT_SC_SD_SE_E_clIS7_S7_S7_S7_EESB_SR_SC_SD_SE_EUlSR_E0_NS1_11comp_targetILNS1_3genE4ELNS1_11target_archE910ELNS1_3gpuE8ELNS1_3repE0EEENS1_38merge_mergepath_config_static_selectorELNS0_4arch9wavefront6targetE1EEEvSD_,@function
_ZN7rocprim17ROCPRIM_400000_NS6detail17trampoline_kernelINS0_14default_configENS1_38merge_sort_block_merge_config_selectorIiiEEZZNS1_27merge_sort_block_merge_implIS3_PiS7_jNS1_19radix_merge_compareILb0ELb1EiNS0_19identity_decomposerEEEEE10hipError_tT0_T1_T2_jT3_P12ihipStream_tbPNSt15iterator_traitsISC_E10value_typeEPNSI_ISD_E10value_typeEPSE_NS1_7vsmem_tEENKUlT_SC_SD_SE_E_clIS7_S7_S7_S7_EESB_SR_SC_SD_SE_EUlSR_E0_NS1_11comp_targetILNS1_3genE4ELNS1_11target_archE910ELNS1_3gpuE8ELNS1_3repE0EEENS1_38merge_mergepath_config_static_selectorELNS0_4arch9wavefront6targetE1EEEvSD_: ; @_ZN7rocprim17ROCPRIM_400000_NS6detail17trampoline_kernelINS0_14default_configENS1_38merge_sort_block_merge_config_selectorIiiEEZZNS1_27merge_sort_block_merge_implIS3_PiS7_jNS1_19radix_merge_compareILb0ELb1EiNS0_19identity_decomposerEEEEE10hipError_tT0_T1_T2_jT3_P12ihipStream_tbPNSt15iterator_traitsISC_E10value_typeEPNSI_ISD_E10value_typeEPSE_NS1_7vsmem_tEENKUlT_SC_SD_SE_E_clIS7_S7_S7_S7_EESB_SR_SC_SD_SE_EUlSR_E0_NS1_11comp_targetILNS1_3genE4ELNS1_11target_archE910ELNS1_3gpuE8ELNS1_3repE0EEENS1_38merge_mergepath_config_static_selectorELNS0_4arch9wavefront6targetE1EEEvSD_
; %bb.0:
	s_load_dwordx2 s[24:25], s[4:5], 0x40
	s_load_dwordx2 s[16:17], s[4:5], 0x30
	s_add_u32 s20, s4, 64
	s_addc_u32 s21, s5, 0
	s_waitcnt lgkmcnt(0)
	s_mul_i32 s0, s25, s8
	s_add_i32 s0, s0, s7
	s_mul_i32 s0, s0, s24
	s_add_i32 s22, s0, s6
	s_cmp_ge_u32 s22, s16
	s_cbranch_scc1 .LBB336_46
; %bb.1:
	s_load_dwordx8 s[8:15], s[4:5], 0x10
	s_load_dwordx2 s[30:31], s[4:5], 0x8
	s_load_dwordx2 s[0:1], s[4:5], 0x38
	s_mov_b32 s23, 0
	v_mov_b32_e32 v5, 0
	s_waitcnt lgkmcnt(0)
	s_lshr_b32 s29, s14, 10
	s_cmp_lg_u32 s22, s29
	s_cselect_b64 s[18:19], -1, 0
	s_lshl_b64 s[2:3], s[22:23], 2
	s_add_u32 s0, s0, s2
	s_addc_u32 s1, s1, s3
	s_load_dwordx2 s[2:3], s[0:1], 0x0
	s_lshr_b32 s0, s15, 9
	s_and_b32 s0, s0, 0x7ffffe
	s_sub_i32 s1, 0, s0
	s_and_b32 s0, s22, s1
	s_lshl_b32 s4, s0, 10
	s_lshl_b32 s16, s22, 10
	;; [unrolled: 1-line block ×3, first 2 shown]
	s_sub_i32 s5, s16, s4
	s_add_i32 s7, s0, s15
	s_add_i32 s5, s7, s5
	s_waitcnt lgkmcnt(0)
	s_sub_i32 s0, s5, s2
	s_sub_i32 s5, s5, s3
	s_sub_i32 s4, s7, s4
	s_min_u32 s0, s14, s0
	s_addk_i32 s5, 0x400
	s_or_b32 s1, s22, s1
	s_min_u32 s7, s14, s4
	s_add_i32 s4, s4, s15
	s_cmp_eq_u32 s1, -1
	s_cselect_b32 s3, s7, s3
	s_cselect_b32 s1, s4, s5
	s_sub_i32 s15, s3, s2
	s_mov_b32 s3, s23
	s_min_u32 s28, s1, s14
	s_lshl_b64 s[2:3], s[2:3], 2
	s_add_u32 s26, s30, s2
	s_mov_b32 s1, s23
	s_addc_u32 s27, s31, s3
	s_lshl_b64 s[4:5], s[0:1], 2
	s_add_u32 s23, s30, s4
	s_addc_u32 s25, s31, s5
	s_cmp_lt_u32 s6, s24
	s_cselect_b32 s1, 12, 18
	global_load_dword v1, v5, s[20:21] offset:14
	s_add_u32 s6, s20, s1
	s_addc_u32 s7, s21, 0
	global_load_ushort v2, v5, s[6:7]
	s_cmp_eq_u32 s22, s29
	v_lshlrev_b32_e32 v14, 2, v0
	s_waitcnt vmcnt(1)
	v_lshrrev_b32_e32 v3, 16, v1
	v_and_b32_e32 v1, 0xffff, v1
	v_mul_lo_u32 v1, v1, v3
	s_waitcnt vmcnt(0)
	v_mul_lo_u32 v1, v1, v2
	v_add_u32_e32 v12, v1, v0
	v_add_u32_e32 v10, v12, v1
	s_cbranch_scc1 .LBB336_3
; %bb.2:
	v_mov_b32_e32 v2, s27
	v_add_co_u32_e32 v6, vcc, s26, v14
	v_subrev_u32_e32 v4, s15, v0
	v_addc_co_u32_e32 v7, vcc, 0, v2, vcc
	v_lshlrev_b64 v[2:3], 2, v[4:5]
	v_mov_b32_e32 v4, s25
	v_add_co_u32_e32 v2, vcc, s23, v2
	v_addc_co_u32_e32 v3, vcc, v4, v3, vcc
	v_cmp_gt_u32_e32 vcc, s15, v0
	v_mov_b32_e32 v13, v5
	v_cndmask_b32_e32 v3, v3, v7, vcc
	v_cndmask_b32_e32 v2, v2, v6, vcc
	v_lshlrev_b64 v[6:7], 2, v[12:13]
	global_load_dword v2, v[2:3], off
	v_mov_b32_e32 v3, s27
	v_add_co_u32_e32 v8, vcc, s26, v6
	v_subrev_u32_e32 v4, s15, v12
	v_addc_co_u32_e32 v3, vcc, v3, v7, vcc
	v_lshlrev_b64 v[6:7], 2, v[4:5]
	v_mov_b32_e32 v4, s25
	v_add_co_u32_e32 v6, vcc, s23, v6
	v_addc_co_u32_e32 v4, vcc, v4, v7, vcc
	v_cmp_gt_u32_e32 vcc, s15, v12
	v_cndmask_b32_e32 v7, v4, v3, vcc
	v_cndmask_b32_e32 v6, v6, v8, vcc
	v_mov_b32_e32 v11, v5
	global_load_dword v3, v[6:7], off
	v_lshlrev_b64 v[6:7], 2, v[10:11]
	v_mov_b32_e32 v4, s27
	v_add_co_u32_e32 v6, vcc, s26, v6
	v_addc_co_u32_e32 v7, vcc, v4, v7, vcc
	v_subrev_u32_e32 v4, s15, v10
	v_lshlrev_b64 v[4:5], 2, v[4:5]
	v_mov_b32_e32 v8, s25
	v_add_co_u32_e32 v4, vcc, s23, v4
	v_addc_co_u32_e32 v5, vcc, v8, v5, vcc
	v_cmp_gt_u32_e32 vcc, s15, v10
	v_cndmask_b32_e32 v5, v5, v7, vcc
	v_cndmask_b32_e32 v4, v4, v6, vcc
	global_load_dword v4, v[4:5], off
	v_add_u32_e32 v6, v10, v1
	s_mov_b64 s[6:7], -1
	s_sub_i32 s22, s28, s0
	s_cbranch_execz .LBB336_4
	s_branch .LBB336_9
.LBB336_3:
	s_mov_b64 s[6:7], 0
                                        ; implicit-def: $vgpr2_vgpr3_vgpr4_vgpr5
                                        ; implicit-def: $vgpr6
	s_sub_i32 s22, s28, s0
.LBB336_4:
	s_add_i32 s6, s22, s15
	v_cmp_gt_u32_e32 vcc, s6, v0
                                        ; implicit-def: $vgpr2_vgpr3_vgpr4_vgpr5
	s_and_saveexec_b64 s[0:1], vcc
	s_cbranch_execnz .LBB336_47
; %bb.5:
	s_or_b64 exec, exec, s[0:1]
	v_cmp_gt_u32_e32 vcc, s6, v12
	s_and_saveexec_b64 s[0:1], vcc
	s_cbranch_execnz .LBB336_48
.LBB336_6:
	s_or_b64 exec, exec, s[0:1]
	v_cmp_gt_u32_e32 vcc, s6, v10
	s_and_saveexec_b64 s[0:1], vcc
	s_cbranch_execz .LBB336_8
.LBB336_7:
	v_mov_b32_e32 v11, 0
	v_lshlrev_b64 v[6:7], 2, v[10:11]
	s_waitcnt vmcnt(0)
	v_mov_b32_e32 v4, s27
	v_add_co_u32_e32 v8, vcc, s26, v6
	v_addc_co_u32_e32 v4, vcc, v4, v7, vcc
	v_subrev_u32_e32 v6, s15, v10
	v_mov_b32_e32 v7, v11
	v_lshlrev_b64 v[6:7], 2, v[6:7]
	v_mov_b32_e32 v9, s25
	v_add_co_u32_e32 v6, vcc, s23, v6
	v_addc_co_u32_e32 v7, vcc, v9, v7, vcc
	v_cmp_gt_u32_e32 vcc, s15, v10
	v_cndmask_b32_e32 v7, v7, v4, vcc
	v_cndmask_b32_e32 v6, v6, v8, vcc
	global_load_dword v4, v[6:7], off
.LBB336_8:
	s_or_b64 exec, exec, s[0:1]
	v_add_u32_e32 v6, v10, v1
	v_cmp_gt_u32_e64 s[6:7], s6, v6
.LBB336_9:
	s_and_saveexec_b64 s[20:21], s[6:7]
	s_cbranch_execz .LBB336_11
; %bb.10:
	v_mov_b32_e32 v7, 0
	v_lshlrev_b64 v[8:9], 2, v[6:7]
	v_mov_b32_e32 v5, s27
	v_add_co_u32_e32 v8, vcc, s26, v8
	v_addc_co_u32_e32 v5, vcc, v5, v9, vcc
	v_cmp_gt_u32_e32 vcc, s15, v6
	v_subrev_u32_e32 v6, s15, v6
	v_lshlrev_b64 v[6:7], 2, v[6:7]
	v_mov_b32_e32 v9, s25
	v_add_co_u32_e64 v6, s[0:1], s23, v6
	v_addc_co_u32_e64 v7, s[0:1], v9, v7, s[0:1]
	v_cndmask_b32_e32 v7, v7, v5, vcc
	v_cndmask_b32_e32 v6, v6, v8, vcc
	global_load_dword v5, v[6:7], off
.LBB336_11:
	s_or_b64 exec, exec, s[20:21]
	s_add_u32 s6, s10, s2
	s_addc_u32 s7, s11, s3
	s_add_u32 s4, s10, s4
	s_addc_u32 s5, s11, s5
	s_andn2_b64 vcc, exec, s[18:19]
	s_waitcnt vmcnt(0)
	ds_write2st64_b32 v14, v2, v3 offset1:4
	ds_write2st64_b32 v14, v4, v5 offset0:8 offset1:12
	s_cbranch_vccnz .LBB336_13
; %bb.12:
	v_mov_b32_e32 v17, 0
	v_mov_b32_e32 v6, s7
	v_add_co_u32_e32 v8, vcc, s6, v14
	v_subrev_u32_e32 v16, s15, v0
	v_addc_co_u32_e32 v9, vcc, 0, v6, vcc
	v_lshlrev_b64 v[6:7], 2, v[16:17]
	v_mov_b32_e32 v11, s5
	v_add_co_u32_e32 v6, vcc, s4, v6
	v_addc_co_u32_e32 v7, vcc, v11, v7, vcc
	v_cmp_gt_u32_e32 vcc, s15, v0
	v_mov_b32_e32 v13, v17
	v_cndmask_b32_e32 v7, v7, v9, vcc
	v_cndmask_b32_e32 v6, v6, v8, vcc
	v_lshlrev_b64 v[8:9], 2, v[12:13]
	global_load_dword v6, v[6:7], off
	v_mov_b32_e32 v7, s7
	v_add_co_u32_e32 v11, vcc, s6, v8
	v_subrev_u32_e32 v16, s15, v12
	v_addc_co_u32_e32 v7, vcc, v7, v9, vcc
	v_lshlrev_b64 v[8:9], 2, v[16:17]
	v_mov_b32_e32 v13, s5
	v_add_co_u32_e32 v8, vcc, s4, v8
	v_addc_co_u32_e32 v9, vcc, v13, v9, vcc
	v_cmp_gt_u32_e32 vcc, s15, v12
	v_cndmask_b32_e32 v9, v9, v7, vcc
	v_cndmask_b32_e32 v8, v8, v11, vcc
	v_mov_b32_e32 v11, v17
	global_load_dword v7, v[8:9], off
	v_lshlrev_b64 v[8:9], 2, v[10:11]
	v_mov_b32_e32 v11, s7
	v_add_co_u32_e32 v13, vcc, s6, v8
	v_subrev_u32_e32 v16, s15, v10
	v_addc_co_u32_e32 v11, vcc, v11, v9, vcc
	v_lshlrev_b64 v[8:9], 2, v[16:17]
	v_mov_b32_e32 v15, s5
	v_add_co_u32_e32 v8, vcc, s4, v8
	v_addc_co_u32_e32 v9, vcc, v15, v9, vcc
	v_cmp_gt_u32_e32 vcc, s15, v10
	v_add_u32_e32 v16, v10, v1
	v_cndmask_b32_e32 v9, v9, v11, vcc
	v_cndmask_b32_e32 v8, v8, v13, vcc
	v_lshlrev_b64 v[18:19], 2, v[16:17]
	global_load_dword v8, v[8:9], off
	v_mov_b32_e32 v9, s7
	v_add_co_u32_e32 v11, vcc, s6, v18
	v_addc_co_u32_e32 v9, vcc, v9, v19, vcc
	v_cmp_gt_u32_e32 vcc, s15, v16
	v_subrev_u32_e32 v16, s15, v16
	v_lshlrev_b64 v[16:17], 2, v[16:17]
	v_mov_b32_e32 v13, s5
	v_add_co_u32_e64 v15, s[0:1], s4, v16
	v_addc_co_u32_e64 v13, s[0:1], v13, v17, s[0:1]
	v_cndmask_b32_e32 v17, v13, v9, vcc
	v_cndmask_b32_e32 v16, v15, v11, vcc
	global_load_dword v9, v[16:17], off
	s_add_i32 s20, s22, s15
	s_cbranch_execz .LBB336_14
	s_branch .LBB336_21
.LBB336_13:
                                        ; implicit-def: $vgpr6_vgpr7_vgpr8_vgpr9
                                        ; implicit-def: $sgpr20
.LBB336_14:
	s_add_i32 s20, s22, s15
	v_cmp_gt_u32_e32 vcc, s20, v0
                                        ; implicit-def: $vgpr6_vgpr7_vgpr8_vgpr9
	s_and_saveexec_b64 s[0:1], vcc
	s_cbranch_execnz .LBB336_49
; %bb.15:
	s_or_b64 exec, exec, s[0:1]
	v_cmp_gt_u32_e32 vcc, s20, v12
	s_and_saveexec_b64 s[2:3], vcc
	s_cbranch_execnz .LBB336_50
.LBB336_16:
	s_or_b64 exec, exec, s[2:3]
	v_cmp_gt_u32_e32 vcc, s20, v10
	s_and_saveexec_b64 s[0:1], vcc
	s_cbranch_execz .LBB336_18
.LBB336_17:
	v_mov_b32_e32 v11, 0
	v_lshlrev_b64 v[12:13], 2, v[10:11]
	s_waitcnt vmcnt(1)
	v_mov_b32_e32 v8, s7
	v_add_co_u32_e32 v15, vcc, s6, v12
	v_addc_co_u32_e32 v8, vcc, v8, v13, vcc
	v_subrev_u32_e32 v12, s15, v10
	v_mov_b32_e32 v13, v11
	v_lshlrev_b64 v[12:13], 2, v[12:13]
	v_mov_b32_e32 v11, s5
	v_add_co_u32_e32 v12, vcc, s4, v12
	v_addc_co_u32_e32 v11, vcc, v11, v13, vcc
	v_cmp_gt_u32_e32 vcc, s15, v10
	v_cndmask_b32_e32 v13, v11, v8, vcc
	v_cndmask_b32_e32 v12, v12, v15, vcc
	global_load_dword v8, v[12:13], off
.LBB336_18:
	s_or_b64 exec, exec, s[0:1]
	v_add_u32_e32 v10, v10, v1
	v_cmp_gt_u32_e32 vcc, s20, v10
	s_and_saveexec_b64 s[2:3], vcc
	s_cbranch_execz .LBB336_20
; %bb.19:
	v_mov_b32_e32 v11, 0
	v_lshlrev_b64 v[12:13], 2, v[10:11]
	v_mov_b32_e32 v1, s7
	s_waitcnt vmcnt(0)
	v_add_co_u32_e32 v9, vcc, s6, v12
	v_addc_co_u32_e32 v1, vcc, v1, v13, vcc
	v_cmp_gt_u32_e32 vcc, s15, v10
	v_subrev_u32_e32 v10, s15, v10
	v_lshlrev_b64 v[10:11], 2, v[10:11]
	v_mov_b32_e32 v12, s5
	v_add_co_u32_e64 v10, s[0:1], s4, v10
	v_addc_co_u32_e64 v11, s[0:1], v12, v11, s[0:1]
	v_cndmask_b32_e32 v11, v11, v1, vcc
	v_cndmask_b32_e32 v10, v10, v9, vcc
	global_load_dword v9, v[10:11], off
.LBB336_20:
	s_or_b64 exec, exec, s[2:3]
.LBB336_21:
	v_min_u32_e32 v10, s20, v14
	v_sub_u32_e64 v1, v10, s22 clamp
	v_min_u32_e32 v11, s15, v10
	v_cmp_lt_u32_e32 vcc, v1, v11
	s_waitcnt lgkmcnt(0)
	s_barrier
	s_and_saveexec_b64 s[0:1], vcc
	s_cbranch_execz .LBB336_25
; %bb.22:
	v_lshlrev_b32_e32 v12, 2, v10
	v_lshl_add_u32 v12, s15, 2, v12
	s_mov_b64 s[2:3], 0
.LBB336_23:                             ; =>This Inner Loop Header: Depth=1
	v_add_u32_e32 v13, v11, v1
	v_lshrrev_b32_e32 v13, 1, v13
	v_not_b32_e32 v15, v13
	v_lshlrev_b32_e32 v16, 2, v13
	v_lshl_add_u32 v15, v15, 2, v12
	ds_read_b32 v16, v16
	ds_read_b32 v15, v15
	v_add_u32_e32 v17, 1, v13
	s_waitcnt lgkmcnt(1)
	v_and_b32_e32 v16, s17, v16
	s_waitcnt lgkmcnt(0)
	v_and_b32_e32 v15, s17, v15
	v_cmp_gt_i32_e32 vcc, v16, v15
	v_cndmask_b32_e32 v11, v11, v13, vcc
	v_cndmask_b32_e32 v1, v17, v1, vcc
	v_cmp_ge_u32_e32 vcc, v1, v11
	s_or_b64 s[2:3], vcc, s[2:3]
	s_andn2_b64 exec, exec, s[2:3]
	s_cbranch_execnz .LBB336_23
; %bb.24:
	s_or_b64 exec, exec, s[2:3]
.LBB336_25:
	s_or_b64 exec, exec, s[0:1]
	v_sub_u32_e32 v10, v10, v1
	v_add_u32_e32 v13, s15, v10
	v_cmp_ge_u32_e32 vcc, s15, v1
	v_cmp_ge_u32_e64 s[0:1], s20, v13
	s_or_b64 s[0:1], vcc, s[0:1]
                                        ; implicit-def: $vgpr15
                                        ; implicit-def: $vgpr12
                                        ; implicit-def: $vgpr11
                                        ; implicit-def: $vgpr10
	s_and_saveexec_b64 s[10:11], s[0:1]
	s_cbranch_execz .LBB336_31
; %bb.26:
	v_cmp_gt_u32_e32 vcc, s15, v1
                                        ; implicit-def: $vgpr2
	s_and_saveexec_b64 s[0:1], vcc
	s_cbranch_execz .LBB336_28
; %bb.27:
	v_lshlrev_b32_e32 v2, 2, v1
	ds_read_b32 v2, v2
.LBB336_28:
	s_or_b64 exec, exec, s[0:1]
	v_cmp_le_u32_e64 s[0:1], s20, v13
	v_cmp_gt_u32_e64 s[2:3], s20, v13
                                        ; implicit-def: $vgpr3
	s_and_saveexec_b64 s[4:5], s[2:3]
	s_cbranch_execz .LBB336_30
; %bb.29:
	v_lshlrev_b32_e32 v3, 2, v13
	ds_read_b32 v3, v3
.LBB336_30:
	s_or_b64 exec, exec, s[4:5]
	s_waitcnt lgkmcnt(0)
	v_and_b32_e32 v4, s17, v3
	v_and_b32_e32 v5, s17, v2
	v_cmp_le_i32_e64 s[2:3], v5, v4
	s_and_b64 s[2:3], vcc, s[2:3]
	s_or_b64 vcc, s[0:1], s[2:3]
	v_mov_b32_e32 v4, s20
	v_mov_b32_e32 v5, s15
	v_cndmask_b32_e32 v10, v13, v1, vcc
	v_cndmask_b32_e32 v11, v4, v5, vcc
	v_add_u32_e32 v12, 1, v10
	v_add_u32_e32 v11, -1, v11
	v_min_u32_e32 v11, v12, v11
	v_lshlrev_b32_e32 v11, 2, v11
	ds_read_b32 v11, v11
	v_cndmask_b32_e32 v13, v12, v13, vcc
	v_cndmask_b32_e32 v1, v1, v12, vcc
	v_cmp_gt_u32_e64 s[2:3], s15, v1
	v_cmp_le_u32_e64 s[0:1], s20, v13
	s_waitcnt lgkmcnt(0)
	v_cndmask_b32_e32 v15, v11, v3, vcc
	v_cndmask_b32_e32 v16, v2, v11, vcc
	v_and_b32_e32 v11, s17, v15
	v_and_b32_e32 v12, s17, v16
	v_cmp_le_i32_e64 s[4:5], v12, v11
	s_and_b64 s[2:3], s[2:3], s[4:5]
	s_or_b64 s[0:1], s[0:1], s[2:3]
	v_cndmask_b32_e64 v11, v13, v1, s[0:1]
	v_cndmask_b32_e64 v12, v4, v5, s[0:1]
	v_add_u32_e32 v17, 1, v11
	v_add_u32_e32 v12, -1, v12
	v_min_u32_e32 v12, v17, v12
	v_lshlrev_b32_e32 v12, 2, v12
	ds_read_b32 v12, v12
	v_cndmask_b32_e64 v13, v17, v13, s[0:1]
	v_cndmask_b32_e64 v1, v1, v17, s[0:1]
	v_cmp_gt_u32_e64 s[4:5], s15, v1
	v_cmp_le_u32_e64 s[2:3], s20, v13
	s_waitcnt lgkmcnt(0)
	v_cndmask_b32_e64 v18, v12, v15, s[0:1]
	v_cndmask_b32_e64 v19, v16, v12, s[0:1]
	v_and_b32_e32 v12, s17, v18
	v_and_b32_e32 v17, s17, v19
	v_cmp_le_i32_e64 s[6:7], v17, v12
	s_and_b64 s[4:5], s[4:5], s[6:7]
	s_or_b64 s[2:3], s[2:3], s[4:5]
	v_cndmask_b32_e64 v12, v13, v1, s[2:3]
	v_cndmask_b32_e64 v4, v4, v5, s[2:3]
	v_add_u32_e32 v5, 1, v12
	v_add_u32_e32 v4, -1, v4
	v_min_u32_e32 v4, v5, v4
	v_lshlrev_b32_e32 v4, 2, v4
	ds_read_b32 v17, v4
	v_cndmask_b32_e32 v2, v3, v2, vcc
	v_cndmask_b32_e64 v3, v15, v16, s[0:1]
	v_cndmask_b32_e64 v13, v5, v13, s[2:3]
	;; [unrolled: 1-line block ×3, first 2 shown]
	s_waitcnt lgkmcnt(0)
	v_cndmask_b32_e64 v16, v17, v18, s[2:3]
	v_cndmask_b32_e64 v17, v19, v17, s[2:3]
	v_and_b32_e32 v5, s17, v16
	v_and_b32_e32 v15, s17, v17
	v_cndmask_b32_e64 v4, v18, v19, s[2:3]
	v_cmp_gt_u32_e64 s[0:1], s15, v1
	v_cmp_le_i32_e64 s[2:3], v15, v5
	v_cmp_le_u32_e32 vcc, s20, v13
	s_and_b64 s[0:1], s[0:1], s[2:3]
	s_or_b64 vcc, vcc, s[0:1]
	v_cndmask_b32_e32 v15, v13, v1, vcc
	v_cndmask_b32_e32 v5, v16, v17, vcc
.LBB336_31:
	s_or_b64 exec, exec, s[10:11]
	s_barrier
	s_waitcnt vmcnt(0)
	ds_write2st64_b32 v14, v6, v7 offset1:4
	ds_write2st64_b32 v14, v8, v9 offset0:8 offset1:12
	v_lshlrev_b32_e32 v1, 2, v10
	v_lshrrev_b32_e32 v10, 3, v0
	v_lshlrev_b32_e32 v9, 2, v14
	v_lshlrev_b32_e32 v6, 2, v11
	;; [unrolled: 1-line block ×4, first 2 shown]
	v_lshl_add_u32 v9, v10, 2, v9
	s_waitcnt lgkmcnt(0)
	s_barrier
	ds_read_b32 v1, v1
	ds_read_b32 v6, v6
	;; [unrolled: 1-line block ×4, first 2 shown]
	s_waitcnt lgkmcnt(0)
	s_barrier
	s_barrier
	ds_write2_b32 v9, v2, v3 offset1:1
	ds_write2_b32 v9, v4, v5 offset0:2 offset1:3
	v_and_b32_e32 v2, 28, v10
	v_or_b32_e32 v15, 0x100, v0
	v_add_u32_e32 v4, v14, v2
	v_lshrrev_b32_e32 v2, 3, v15
	v_and_b32_e32 v2, 60, v2
	v_or_b32_e32 v13, 0x200, v0
	s_mov_b32 s17, 0
	v_add_u32_e32 v5, v14, v2
	v_lshrrev_b32_e32 v2, 3, v13
	s_lshl_b64 s[6:7], s[16:17], 2
	v_and_b32_e32 v2, 0x5c, v2
	v_or_b32_e32 v12, 0x300, v0
	s_add_u32 s0, s8, s6
	v_add_u32_e32 v10, v14, v2
	v_lshrrev_b32_e32 v2, 3, v12
	s_addc_u32 s1, s9, s7
	v_and_b32_e32 v2, 0x7c, v2
	v_add_u32_e32 v11, v14, v2
	v_mov_b32_e32 v3, s1
	v_add_co_u32_e32 v2, vcc, s0, v14
	v_addc_co_u32_e32 v3, vcc, 0, v3, vcc
	s_and_b64 vcc, exec, s[18:19]
	s_waitcnt lgkmcnt(0)
	s_cbranch_vccz .LBB336_33
; %bb.32:
	s_barrier
	ds_read_b32 v16, v4
	ds_read_b32 v17, v5 offset:1024
	ds_read_b32 v18, v10 offset:2048
	;; [unrolled: 1-line block ×3, first 2 shown]
	s_add_u32 s0, s12, s6
	s_addc_u32 s1, s13, s7
	s_waitcnt lgkmcnt(3)
	global_store_dword v[2:3], v16, off
	s_waitcnt lgkmcnt(2)
	global_store_dword v[2:3], v17, off offset:1024
	s_waitcnt lgkmcnt(1)
	global_store_dword v[2:3], v18, off offset:2048
	;; [unrolled: 2-line block ×3, first 2 shown]
	s_barrier
	ds_write2_b32 v9, v1, v6 offset1:1
	ds_write2_b32 v9, v7, v8 offset0:2 offset1:3
	s_waitcnt lgkmcnt(0)
	s_barrier
	ds_read_b32 v17, v4
	ds_read_b32 v18, v5 offset:1024
	ds_read_b32 v19, v10 offset:2048
	;; [unrolled: 1-line block ×3, first 2 shown]
	s_waitcnt lgkmcnt(3)
	global_store_dword v14, v17, s[0:1]
	s_waitcnt lgkmcnt(2)
	global_store_dword v14, v18, s[0:1] offset:1024
	s_waitcnt lgkmcnt(1)
	global_store_dword v14, v19, s[0:1] offset:2048
	s_mov_b64 s[8:9], -1
	s_cbranch_execz .LBB336_34
	s_branch .LBB336_44
.LBB336_33:
	s_mov_b64 s[8:9], 0
                                        ; implicit-def: $vgpr16
.LBB336_34:
	s_barrier
	s_waitcnt lgkmcnt(0)
	ds_read_b32 v18, v5 offset:1024
	ds_read_b32 v17, v10 offset:2048
	;; [unrolled: 1-line block ×3, first 2 shown]
	s_sub_i32 s8, s14, s16
	v_cmp_gt_u32_e32 vcc, s8, v0
	s_and_saveexec_b64 s[0:1], vcc
	s_cbranch_execnz .LBB336_51
; %bb.35:
	s_or_b64 exec, exec, s[0:1]
	v_cmp_gt_u32_e64 s[0:1], s8, v15
	s_and_saveexec_b64 s[2:3], s[0:1]
	s_cbranch_execnz .LBB336_52
.LBB336_36:
	s_or_b64 exec, exec, s[2:3]
	v_cmp_gt_u32_e64 s[2:3], s8, v13
	s_and_saveexec_b64 s[4:5], s[2:3]
	s_cbranch_execnz .LBB336_53
.LBB336_37:
	s_or_b64 exec, exec, s[4:5]
	v_cmp_gt_u32_e64 s[8:9], s8, v12
	s_and_saveexec_b64 s[4:5], s[8:9]
	s_cbranch_execz .LBB336_39
.LBB336_38:
	s_waitcnt lgkmcnt(0)
	global_store_dword v[2:3], v16, off offset:3072
.LBB336_39:
	s_or_b64 exec, exec, s[4:5]
	s_waitcnt lgkmcnt(0)
	s_barrier
	ds_write2_b32 v9, v1, v6 offset1:1
	ds_write2_b32 v9, v7, v8 offset0:2 offset1:3
	s_waitcnt lgkmcnt(0)
	s_barrier
	ds_read_b32 v3, v5 offset:1024
	ds_read_b32 v2, v10 offset:2048
	;; [unrolled: 1-line block ×3, first 2 shown]
	s_add_u32 s4, s12, s6
	s_addc_u32 s5, s13, s7
	v_mov_b32_e32 v1, s5
	v_add_co_u32_e64 v0, s[4:5], s4, v14
	v_addc_co_u32_e64 v1, s[4:5], 0, v1, s[4:5]
	s_and_saveexec_b64 s[4:5], vcc
	s_cbranch_execnz .LBB336_54
; %bb.40:
	s_or_b64 exec, exec, s[4:5]
	s_and_saveexec_b64 s[4:5], s[0:1]
	s_cbranch_execnz .LBB336_55
.LBB336_41:
	s_or_b64 exec, exec, s[4:5]
	s_and_saveexec_b64 s[0:1], s[2:3]
	s_cbranch_execz .LBB336_43
.LBB336_42:
	s_waitcnt lgkmcnt(1)
	global_store_dword v[0:1], v2, off offset:2048
.LBB336_43:
	s_or_b64 exec, exec, s[0:1]
.LBB336_44:
	s_and_saveexec_b64 s[0:1], s[8:9]
	s_cbranch_execz .LBB336_46
; %bb.45:
	s_add_u32 s0, s12, s6
	s_addc_u32 s1, s13, s7
	s_waitcnt lgkmcnt(0)
	global_store_dword v14, v16, s[0:1] offset:3072
.LBB336_46:
	s_endpgm
.LBB336_47:
	s_waitcnt vmcnt(2)
	v_mov_b32_e32 v2, s27
	s_waitcnt vmcnt(0)
	v_add_co_u32_e32 v4, vcc, s26, v14
	v_mov_b32_e32 v3, 0
	v_addc_co_u32_e32 v5, vcc, 0, v2, vcc
	v_subrev_u32_e32 v2, s15, v0
	v_lshlrev_b64 v[2:3], 2, v[2:3]
	v_mov_b32_e32 v6, s25
	v_add_co_u32_e32 v2, vcc, s23, v2
	v_addc_co_u32_e32 v3, vcc, v6, v3, vcc
	v_cmp_gt_u32_e32 vcc, s15, v0
	v_cndmask_b32_e32 v3, v3, v5, vcc
	v_cndmask_b32_e32 v2, v2, v4, vcc
	global_load_dword v2, v[2:3], off
	s_or_b64 exec, exec, s[0:1]
	v_cmp_gt_u32_e32 vcc, s6, v12
	s_and_saveexec_b64 s[0:1], vcc
	s_cbranch_execz .LBB336_6
.LBB336_48:
	v_mov_b32_e32 v13, 0
	v_lshlrev_b64 v[6:7], 2, v[12:13]
	s_waitcnt vmcnt(1)
	v_mov_b32_e32 v3, s27
	v_add_co_u32_e32 v8, vcc, s26, v6
	v_addc_co_u32_e32 v3, vcc, v3, v7, vcc
	v_subrev_u32_e32 v6, s15, v12
	v_mov_b32_e32 v7, v13
	v_lshlrev_b64 v[6:7], 2, v[6:7]
	v_mov_b32_e32 v9, s25
	v_add_co_u32_e32 v6, vcc, s23, v6
	v_addc_co_u32_e32 v7, vcc, v9, v7, vcc
	v_cmp_gt_u32_e32 vcc, s15, v12
	v_cndmask_b32_e32 v7, v7, v3, vcc
	v_cndmask_b32_e32 v6, v6, v8, vcc
	global_load_dword v3, v[6:7], off
	s_or_b64 exec, exec, s[0:1]
	v_cmp_gt_u32_e32 vcc, s6, v10
	s_and_saveexec_b64 s[0:1], vcc
	s_cbranch_execnz .LBB336_7
	s_branch .LBB336_8
.LBB336_49:
	s_waitcnt vmcnt(3)
	v_mov_b32_e32 v6, s7
	s_waitcnt vmcnt(1)
	v_add_co_u32_e32 v8, vcc, s6, v14
	v_mov_b32_e32 v7, 0
	s_waitcnt vmcnt(0)
	v_addc_co_u32_e32 v9, vcc, 0, v6, vcc
	v_subrev_u32_e32 v6, s15, v0
	v_lshlrev_b64 v[6:7], 2, v[6:7]
	v_mov_b32_e32 v11, s5
	v_add_co_u32_e32 v6, vcc, s4, v6
	v_addc_co_u32_e32 v7, vcc, v11, v7, vcc
	v_cmp_gt_u32_e32 vcc, s15, v0
	v_cndmask_b32_e32 v7, v7, v9, vcc
	v_cndmask_b32_e32 v6, v6, v8, vcc
	global_load_dword v6, v[6:7], off
	s_or_b64 exec, exec, s[0:1]
	v_cmp_gt_u32_e32 vcc, s20, v12
	s_and_saveexec_b64 s[2:3], vcc
	s_cbranch_execz .LBB336_16
.LBB336_50:
	v_mov_b32_e32 v13, 0
	v_lshlrev_b64 v[16:17], 2, v[12:13]
	s_waitcnt vmcnt(2)
	v_mov_b32_e32 v7, s7
	v_add_co_u32_e32 v11, vcc, s6, v16
	v_addc_co_u32_e32 v7, vcc, v7, v17, vcc
	v_cmp_gt_u32_e32 vcc, s15, v12
	v_subrev_u32_e32 v12, s15, v12
	v_lshlrev_b64 v[12:13], 2, v[12:13]
	v_mov_b32_e32 v15, s5
	v_add_co_u32_e64 v12, s[0:1], s4, v12
	v_addc_co_u32_e64 v13, s[0:1], v15, v13, s[0:1]
	v_cndmask_b32_e32 v13, v13, v7, vcc
	v_cndmask_b32_e32 v12, v12, v11, vcc
	global_load_dword v7, v[12:13], off
	s_or_b64 exec, exec, s[2:3]
	v_cmp_gt_u32_e32 vcc, s20, v10
	s_and_saveexec_b64 s[0:1], vcc
	s_cbranch_execnz .LBB336_17
	s_branch .LBB336_18
.LBB336_51:
	ds_read_b32 v0, v4
	s_waitcnt lgkmcnt(0)
	global_store_dword v[2:3], v0, off
	s_or_b64 exec, exec, s[0:1]
	v_cmp_gt_u32_e64 s[0:1], s8, v15
	s_and_saveexec_b64 s[2:3], s[0:1]
	s_cbranch_execz .LBB336_36
.LBB336_52:
	s_waitcnt lgkmcnt(2)
	global_store_dword v[2:3], v18, off offset:1024
	s_or_b64 exec, exec, s[2:3]
	v_cmp_gt_u32_e64 s[2:3], s8, v13
	s_and_saveexec_b64 s[4:5], s[2:3]
	s_cbranch_execz .LBB336_37
.LBB336_53:
	s_waitcnt lgkmcnt(1)
	global_store_dword v[2:3], v17, off offset:2048
	s_or_b64 exec, exec, s[4:5]
	v_cmp_gt_u32_e64 s[8:9], s8, v12
	s_and_saveexec_b64 s[4:5], s[8:9]
	s_cbranch_execnz .LBB336_38
	s_branch .LBB336_39
.LBB336_54:
	ds_read_b32 v4, v4
	s_waitcnt lgkmcnt(0)
	global_store_dword v[0:1], v4, off
	s_or_b64 exec, exec, s[4:5]
	s_and_saveexec_b64 s[4:5], s[0:1]
	s_cbranch_execz .LBB336_41
.LBB336_55:
	s_waitcnt lgkmcnt(2)
	global_store_dword v[0:1], v3, off offset:1024
	s_or_b64 exec, exec, s[4:5]
	s_and_saveexec_b64 s[0:1], s[2:3]
	s_cbranch_execnz .LBB336_42
	s_branch .LBB336_43
	.section	.rodata,"a",@progbits
	.p2align	6, 0x0
	.amdhsa_kernel _ZN7rocprim17ROCPRIM_400000_NS6detail17trampoline_kernelINS0_14default_configENS1_38merge_sort_block_merge_config_selectorIiiEEZZNS1_27merge_sort_block_merge_implIS3_PiS7_jNS1_19radix_merge_compareILb0ELb1EiNS0_19identity_decomposerEEEEE10hipError_tT0_T1_T2_jT3_P12ihipStream_tbPNSt15iterator_traitsISC_E10value_typeEPNSI_ISD_E10value_typeEPSE_NS1_7vsmem_tEENKUlT_SC_SD_SE_E_clIS7_S7_S7_S7_EESB_SR_SC_SD_SE_EUlSR_E0_NS1_11comp_targetILNS1_3genE4ELNS1_11target_archE910ELNS1_3gpuE8ELNS1_3repE0EEENS1_38merge_mergepath_config_static_selectorELNS0_4arch9wavefront6targetE1EEEvSD_
		.amdhsa_group_segment_fixed_size 4224
		.amdhsa_private_segment_fixed_size 0
		.amdhsa_kernarg_size 320
		.amdhsa_user_sgpr_count 6
		.amdhsa_user_sgpr_private_segment_buffer 1
		.amdhsa_user_sgpr_dispatch_ptr 0
		.amdhsa_user_sgpr_queue_ptr 0
		.amdhsa_user_sgpr_kernarg_segment_ptr 1
		.amdhsa_user_sgpr_dispatch_id 0
		.amdhsa_user_sgpr_flat_scratch_init 0
		.amdhsa_user_sgpr_kernarg_preload_length 0
		.amdhsa_user_sgpr_kernarg_preload_offset 0
		.amdhsa_user_sgpr_private_segment_size 0
		.amdhsa_uses_dynamic_stack 0
		.amdhsa_system_sgpr_private_segment_wavefront_offset 0
		.amdhsa_system_sgpr_workgroup_id_x 1
		.amdhsa_system_sgpr_workgroup_id_y 1
		.amdhsa_system_sgpr_workgroup_id_z 1
		.amdhsa_system_sgpr_workgroup_info 0
		.amdhsa_system_vgpr_workitem_id 0
		.amdhsa_next_free_vgpr 20
		.amdhsa_next_free_sgpr 32
		.amdhsa_accum_offset 20
		.amdhsa_reserve_vcc 1
		.amdhsa_reserve_flat_scratch 0
		.amdhsa_float_round_mode_32 0
		.amdhsa_float_round_mode_16_64 0
		.amdhsa_float_denorm_mode_32 3
		.amdhsa_float_denorm_mode_16_64 3
		.amdhsa_dx10_clamp 1
		.amdhsa_ieee_mode 1
		.amdhsa_fp16_overflow 0
		.amdhsa_tg_split 0
		.amdhsa_exception_fp_ieee_invalid_op 0
		.amdhsa_exception_fp_denorm_src 0
		.amdhsa_exception_fp_ieee_div_zero 0
		.amdhsa_exception_fp_ieee_overflow 0
		.amdhsa_exception_fp_ieee_underflow 0
		.amdhsa_exception_fp_ieee_inexact 0
		.amdhsa_exception_int_div_zero 0
	.end_amdhsa_kernel
	.section	.text._ZN7rocprim17ROCPRIM_400000_NS6detail17trampoline_kernelINS0_14default_configENS1_38merge_sort_block_merge_config_selectorIiiEEZZNS1_27merge_sort_block_merge_implIS3_PiS7_jNS1_19radix_merge_compareILb0ELb1EiNS0_19identity_decomposerEEEEE10hipError_tT0_T1_T2_jT3_P12ihipStream_tbPNSt15iterator_traitsISC_E10value_typeEPNSI_ISD_E10value_typeEPSE_NS1_7vsmem_tEENKUlT_SC_SD_SE_E_clIS7_S7_S7_S7_EESB_SR_SC_SD_SE_EUlSR_E0_NS1_11comp_targetILNS1_3genE4ELNS1_11target_archE910ELNS1_3gpuE8ELNS1_3repE0EEENS1_38merge_mergepath_config_static_selectorELNS0_4arch9wavefront6targetE1EEEvSD_,"axG",@progbits,_ZN7rocprim17ROCPRIM_400000_NS6detail17trampoline_kernelINS0_14default_configENS1_38merge_sort_block_merge_config_selectorIiiEEZZNS1_27merge_sort_block_merge_implIS3_PiS7_jNS1_19radix_merge_compareILb0ELb1EiNS0_19identity_decomposerEEEEE10hipError_tT0_T1_T2_jT3_P12ihipStream_tbPNSt15iterator_traitsISC_E10value_typeEPNSI_ISD_E10value_typeEPSE_NS1_7vsmem_tEENKUlT_SC_SD_SE_E_clIS7_S7_S7_S7_EESB_SR_SC_SD_SE_EUlSR_E0_NS1_11comp_targetILNS1_3genE4ELNS1_11target_archE910ELNS1_3gpuE8ELNS1_3repE0EEENS1_38merge_mergepath_config_static_selectorELNS0_4arch9wavefront6targetE1EEEvSD_,comdat
.Lfunc_end336:
	.size	_ZN7rocprim17ROCPRIM_400000_NS6detail17trampoline_kernelINS0_14default_configENS1_38merge_sort_block_merge_config_selectorIiiEEZZNS1_27merge_sort_block_merge_implIS3_PiS7_jNS1_19radix_merge_compareILb0ELb1EiNS0_19identity_decomposerEEEEE10hipError_tT0_T1_T2_jT3_P12ihipStream_tbPNSt15iterator_traitsISC_E10value_typeEPNSI_ISD_E10value_typeEPSE_NS1_7vsmem_tEENKUlT_SC_SD_SE_E_clIS7_S7_S7_S7_EESB_SR_SC_SD_SE_EUlSR_E0_NS1_11comp_targetILNS1_3genE4ELNS1_11target_archE910ELNS1_3gpuE8ELNS1_3repE0EEENS1_38merge_mergepath_config_static_selectorELNS0_4arch9wavefront6targetE1EEEvSD_, .Lfunc_end336-_ZN7rocprim17ROCPRIM_400000_NS6detail17trampoline_kernelINS0_14default_configENS1_38merge_sort_block_merge_config_selectorIiiEEZZNS1_27merge_sort_block_merge_implIS3_PiS7_jNS1_19radix_merge_compareILb0ELb1EiNS0_19identity_decomposerEEEEE10hipError_tT0_T1_T2_jT3_P12ihipStream_tbPNSt15iterator_traitsISC_E10value_typeEPNSI_ISD_E10value_typeEPSE_NS1_7vsmem_tEENKUlT_SC_SD_SE_E_clIS7_S7_S7_S7_EESB_SR_SC_SD_SE_EUlSR_E0_NS1_11comp_targetILNS1_3genE4ELNS1_11target_archE910ELNS1_3gpuE8ELNS1_3repE0EEENS1_38merge_mergepath_config_static_selectorELNS0_4arch9wavefront6targetE1EEEvSD_
                                        ; -- End function
	.section	.AMDGPU.csdata,"",@progbits
; Kernel info:
; codeLenInByte = 3248
; NumSgprs: 36
; NumVgprs: 20
; NumAgprs: 0
; TotalNumVgprs: 20
; ScratchSize: 0
; MemoryBound: 0
; FloatMode: 240
; IeeeMode: 1
; LDSByteSize: 4224 bytes/workgroup (compile time only)
; SGPRBlocks: 4
; VGPRBlocks: 2
; NumSGPRsForWavesPerEU: 36
; NumVGPRsForWavesPerEU: 20
; AccumOffset: 20
; Occupancy: 8
; WaveLimiterHint : 1
; COMPUTE_PGM_RSRC2:SCRATCH_EN: 0
; COMPUTE_PGM_RSRC2:USER_SGPR: 6
; COMPUTE_PGM_RSRC2:TRAP_HANDLER: 0
; COMPUTE_PGM_RSRC2:TGID_X_EN: 1
; COMPUTE_PGM_RSRC2:TGID_Y_EN: 1
; COMPUTE_PGM_RSRC2:TGID_Z_EN: 1
; COMPUTE_PGM_RSRC2:TIDIG_COMP_CNT: 0
; COMPUTE_PGM_RSRC3_GFX90A:ACCUM_OFFSET: 4
; COMPUTE_PGM_RSRC3_GFX90A:TG_SPLIT: 0
	.section	.text._ZN7rocprim17ROCPRIM_400000_NS6detail17trampoline_kernelINS0_14default_configENS1_38merge_sort_block_merge_config_selectorIiiEEZZNS1_27merge_sort_block_merge_implIS3_PiS7_jNS1_19radix_merge_compareILb0ELb1EiNS0_19identity_decomposerEEEEE10hipError_tT0_T1_T2_jT3_P12ihipStream_tbPNSt15iterator_traitsISC_E10value_typeEPNSI_ISD_E10value_typeEPSE_NS1_7vsmem_tEENKUlT_SC_SD_SE_E_clIS7_S7_S7_S7_EESB_SR_SC_SD_SE_EUlSR_E0_NS1_11comp_targetILNS1_3genE3ELNS1_11target_archE908ELNS1_3gpuE7ELNS1_3repE0EEENS1_38merge_mergepath_config_static_selectorELNS0_4arch9wavefront6targetE1EEEvSD_,"axG",@progbits,_ZN7rocprim17ROCPRIM_400000_NS6detail17trampoline_kernelINS0_14default_configENS1_38merge_sort_block_merge_config_selectorIiiEEZZNS1_27merge_sort_block_merge_implIS3_PiS7_jNS1_19radix_merge_compareILb0ELb1EiNS0_19identity_decomposerEEEEE10hipError_tT0_T1_T2_jT3_P12ihipStream_tbPNSt15iterator_traitsISC_E10value_typeEPNSI_ISD_E10value_typeEPSE_NS1_7vsmem_tEENKUlT_SC_SD_SE_E_clIS7_S7_S7_S7_EESB_SR_SC_SD_SE_EUlSR_E0_NS1_11comp_targetILNS1_3genE3ELNS1_11target_archE908ELNS1_3gpuE7ELNS1_3repE0EEENS1_38merge_mergepath_config_static_selectorELNS0_4arch9wavefront6targetE1EEEvSD_,comdat
	.protected	_ZN7rocprim17ROCPRIM_400000_NS6detail17trampoline_kernelINS0_14default_configENS1_38merge_sort_block_merge_config_selectorIiiEEZZNS1_27merge_sort_block_merge_implIS3_PiS7_jNS1_19radix_merge_compareILb0ELb1EiNS0_19identity_decomposerEEEEE10hipError_tT0_T1_T2_jT3_P12ihipStream_tbPNSt15iterator_traitsISC_E10value_typeEPNSI_ISD_E10value_typeEPSE_NS1_7vsmem_tEENKUlT_SC_SD_SE_E_clIS7_S7_S7_S7_EESB_SR_SC_SD_SE_EUlSR_E0_NS1_11comp_targetILNS1_3genE3ELNS1_11target_archE908ELNS1_3gpuE7ELNS1_3repE0EEENS1_38merge_mergepath_config_static_selectorELNS0_4arch9wavefront6targetE1EEEvSD_ ; -- Begin function _ZN7rocprim17ROCPRIM_400000_NS6detail17trampoline_kernelINS0_14default_configENS1_38merge_sort_block_merge_config_selectorIiiEEZZNS1_27merge_sort_block_merge_implIS3_PiS7_jNS1_19radix_merge_compareILb0ELb1EiNS0_19identity_decomposerEEEEE10hipError_tT0_T1_T2_jT3_P12ihipStream_tbPNSt15iterator_traitsISC_E10value_typeEPNSI_ISD_E10value_typeEPSE_NS1_7vsmem_tEENKUlT_SC_SD_SE_E_clIS7_S7_S7_S7_EESB_SR_SC_SD_SE_EUlSR_E0_NS1_11comp_targetILNS1_3genE3ELNS1_11target_archE908ELNS1_3gpuE7ELNS1_3repE0EEENS1_38merge_mergepath_config_static_selectorELNS0_4arch9wavefront6targetE1EEEvSD_
	.globl	_ZN7rocprim17ROCPRIM_400000_NS6detail17trampoline_kernelINS0_14default_configENS1_38merge_sort_block_merge_config_selectorIiiEEZZNS1_27merge_sort_block_merge_implIS3_PiS7_jNS1_19radix_merge_compareILb0ELb1EiNS0_19identity_decomposerEEEEE10hipError_tT0_T1_T2_jT3_P12ihipStream_tbPNSt15iterator_traitsISC_E10value_typeEPNSI_ISD_E10value_typeEPSE_NS1_7vsmem_tEENKUlT_SC_SD_SE_E_clIS7_S7_S7_S7_EESB_SR_SC_SD_SE_EUlSR_E0_NS1_11comp_targetILNS1_3genE3ELNS1_11target_archE908ELNS1_3gpuE7ELNS1_3repE0EEENS1_38merge_mergepath_config_static_selectorELNS0_4arch9wavefront6targetE1EEEvSD_
	.p2align	8
	.type	_ZN7rocprim17ROCPRIM_400000_NS6detail17trampoline_kernelINS0_14default_configENS1_38merge_sort_block_merge_config_selectorIiiEEZZNS1_27merge_sort_block_merge_implIS3_PiS7_jNS1_19radix_merge_compareILb0ELb1EiNS0_19identity_decomposerEEEEE10hipError_tT0_T1_T2_jT3_P12ihipStream_tbPNSt15iterator_traitsISC_E10value_typeEPNSI_ISD_E10value_typeEPSE_NS1_7vsmem_tEENKUlT_SC_SD_SE_E_clIS7_S7_S7_S7_EESB_SR_SC_SD_SE_EUlSR_E0_NS1_11comp_targetILNS1_3genE3ELNS1_11target_archE908ELNS1_3gpuE7ELNS1_3repE0EEENS1_38merge_mergepath_config_static_selectorELNS0_4arch9wavefront6targetE1EEEvSD_,@function
_ZN7rocprim17ROCPRIM_400000_NS6detail17trampoline_kernelINS0_14default_configENS1_38merge_sort_block_merge_config_selectorIiiEEZZNS1_27merge_sort_block_merge_implIS3_PiS7_jNS1_19radix_merge_compareILb0ELb1EiNS0_19identity_decomposerEEEEE10hipError_tT0_T1_T2_jT3_P12ihipStream_tbPNSt15iterator_traitsISC_E10value_typeEPNSI_ISD_E10value_typeEPSE_NS1_7vsmem_tEENKUlT_SC_SD_SE_E_clIS7_S7_S7_S7_EESB_SR_SC_SD_SE_EUlSR_E0_NS1_11comp_targetILNS1_3genE3ELNS1_11target_archE908ELNS1_3gpuE7ELNS1_3repE0EEENS1_38merge_mergepath_config_static_selectorELNS0_4arch9wavefront6targetE1EEEvSD_: ; @_ZN7rocprim17ROCPRIM_400000_NS6detail17trampoline_kernelINS0_14default_configENS1_38merge_sort_block_merge_config_selectorIiiEEZZNS1_27merge_sort_block_merge_implIS3_PiS7_jNS1_19radix_merge_compareILb0ELb1EiNS0_19identity_decomposerEEEEE10hipError_tT0_T1_T2_jT3_P12ihipStream_tbPNSt15iterator_traitsISC_E10value_typeEPNSI_ISD_E10value_typeEPSE_NS1_7vsmem_tEENKUlT_SC_SD_SE_E_clIS7_S7_S7_S7_EESB_SR_SC_SD_SE_EUlSR_E0_NS1_11comp_targetILNS1_3genE3ELNS1_11target_archE908ELNS1_3gpuE7ELNS1_3repE0EEENS1_38merge_mergepath_config_static_selectorELNS0_4arch9wavefront6targetE1EEEvSD_
; %bb.0:
	.section	.rodata,"a",@progbits
	.p2align	6, 0x0
	.amdhsa_kernel _ZN7rocprim17ROCPRIM_400000_NS6detail17trampoline_kernelINS0_14default_configENS1_38merge_sort_block_merge_config_selectorIiiEEZZNS1_27merge_sort_block_merge_implIS3_PiS7_jNS1_19radix_merge_compareILb0ELb1EiNS0_19identity_decomposerEEEEE10hipError_tT0_T1_T2_jT3_P12ihipStream_tbPNSt15iterator_traitsISC_E10value_typeEPNSI_ISD_E10value_typeEPSE_NS1_7vsmem_tEENKUlT_SC_SD_SE_E_clIS7_S7_S7_S7_EESB_SR_SC_SD_SE_EUlSR_E0_NS1_11comp_targetILNS1_3genE3ELNS1_11target_archE908ELNS1_3gpuE7ELNS1_3repE0EEENS1_38merge_mergepath_config_static_selectorELNS0_4arch9wavefront6targetE1EEEvSD_
		.amdhsa_group_segment_fixed_size 0
		.amdhsa_private_segment_fixed_size 0
		.amdhsa_kernarg_size 64
		.amdhsa_user_sgpr_count 6
		.amdhsa_user_sgpr_private_segment_buffer 1
		.amdhsa_user_sgpr_dispatch_ptr 0
		.amdhsa_user_sgpr_queue_ptr 0
		.amdhsa_user_sgpr_kernarg_segment_ptr 1
		.amdhsa_user_sgpr_dispatch_id 0
		.amdhsa_user_sgpr_flat_scratch_init 0
		.amdhsa_user_sgpr_kernarg_preload_length 0
		.amdhsa_user_sgpr_kernarg_preload_offset 0
		.amdhsa_user_sgpr_private_segment_size 0
		.amdhsa_uses_dynamic_stack 0
		.amdhsa_system_sgpr_private_segment_wavefront_offset 0
		.amdhsa_system_sgpr_workgroup_id_x 1
		.amdhsa_system_sgpr_workgroup_id_y 0
		.amdhsa_system_sgpr_workgroup_id_z 0
		.amdhsa_system_sgpr_workgroup_info 0
		.amdhsa_system_vgpr_workitem_id 0
		.amdhsa_next_free_vgpr 1
		.amdhsa_next_free_sgpr 0
		.amdhsa_accum_offset 4
		.amdhsa_reserve_vcc 0
		.amdhsa_reserve_flat_scratch 0
		.amdhsa_float_round_mode_32 0
		.amdhsa_float_round_mode_16_64 0
		.amdhsa_float_denorm_mode_32 3
		.amdhsa_float_denorm_mode_16_64 3
		.amdhsa_dx10_clamp 1
		.amdhsa_ieee_mode 1
		.amdhsa_fp16_overflow 0
		.amdhsa_tg_split 0
		.amdhsa_exception_fp_ieee_invalid_op 0
		.amdhsa_exception_fp_denorm_src 0
		.amdhsa_exception_fp_ieee_div_zero 0
		.amdhsa_exception_fp_ieee_overflow 0
		.amdhsa_exception_fp_ieee_underflow 0
		.amdhsa_exception_fp_ieee_inexact 0
		.amdhsa_exception_int_div_zero 0
	.end_amdhsa_kernel
	.section	.text._ZN7rocprim17ROCPRIM_400000_NS6detail17trampoline_kernelINS0_14default_configENS1_38merge_sort_block_merge_config_selectorIiiEEZZNS1_27merge_sort_block_merge_implIS3_PiS7_jNS1_19radix_merge_compareILb0ELb1EiNS0_19identity_decomposerEEEEE10hipError_tT0_T1_T2_jT3_P12ihipStream_tbPNSt15iterator_traitsISC_E10value_typeEPNSI_ISD_E10value_typeEPSE_NS1_7vsmem_tEENKUlT_SC_SD_SE_E_clIS7_S7_S7_S7_EESB_SR_SC_SD_SE_EUlSR_E0_NS1_11comp_targetILNS1_3genE3ELNS1_11target_archE908ELNS1_3gpuE7ELNS1_3repE0EEENS1_38merge_mergepath_config_static_selectorELNS0_4arch9wavefront6targetE1EEEvSD_,"axG",@progbits,_ZN7rocprim17ROCPRIM_400000_NS6detail17trampoline_kernelINS0_14default_configENS1_38merge_sort_block_merge_config_selectorIiiEEZZNS1_27merge_sort_block_merge_implIS3_PiS7_jNS1_19radix_merge_compareILb0ELb1EiNS0_19identity_decomposerEEEEE10hipError_tT0_T1_T2_jT3_P12ihipStream_tbPNSt15iterator_traitsISC_E10value_typeEPNSI_ISD_E10value_typeEPSE_NS1_7vsmem_tEENKUlT_SC_SD_SE_E_clIS7_S7_S7_S7_EESB_SR_SC_SD_SE_EUlSR_E0_NS1_11comp_targetILNS1_3genE3ELNS1_11target_archE908ELNS1_3gpuE7ELNS1_3repE0EEENS1_38merge_mergepath_config_static_selectorELNS0_4arch9wavefront6targetE1EEEvSD_,comdat
.Lfunc_end337:
	.size	_ZN7rocprim17ROCPRIM_400000_NS6detail17trampoline_kernelINS0_14default_configENS1_38merge_sort_block_merge_config_selectorIiiEEZZNS1_27merge_sort_block_merge_implIS3_PiS7_jNS1_19radix_merge_compareILb0ELb1EiNS0_19identity_decomposerEEEEE10hipError_tT0_T1_T2_jT3_P12ihipStream_tbPNSt15iterator_traitsISC_E10value_typeEPNSI_ISD_E10value_typeEPSE_NS1_7vsmem_tEENKUlT_SC_SD_SE_E_clIS7_S7_S7_S7_EESB_SR_SC_SD_SE_EUlSR_E0_NS1_11comp_targetILNS1_3genE3ELNS1_11target_archE908ELNS1_3gpuE7ELNS1_3repE0EEENS1_38merge_mergepath_config_static_selectorELNS0_4arch9wavefront6targetE1EEEvSD_, .Lfunc_end337-_ZN7rocprim17ROCPRIM_400000_NS6detail17trampoline_kernelINS0_14default_configENS1_38merge_sort_block_merge_config_selectorIiiEEZZNS1_27merge_sort_block_merge_implIS3_PiS7_jNS1_19radix_merge_compareILb0ELb1EiNS0_19identity_decomposerEEEEE10hipError_tT0_T1_T2_jT3_P12ihipStream_tbPNSt15iterator_traitsISC_E10value_typeEPNSI_ISD_E10value_typeEPSE_NS1_7vsmem_tEENKUlT_SC_SD_SE_E_clIS7_S7_S7_S7_EESB_SR_SC_SD_SE_EUlSR_E0_NS1_11comp_targetILNS1_3genE3ELNS1_11target_archE908ELNS1_3gpuE7ELNS1_3repE0EEENS1_38merge_mergepath_config_static_selectorELNS0_4arch9wavefront6targetE1EEEvSD_
                                        ; -- End function
	.section	.AMDGPU.csdata,"",@progbits
; Kernel info:
; codeLenInByte = 0
; NumSgprs: 4
; NumVgprs: 0
; NumAgprs: 0
; TotalNumVgprs: 0
; ScratchSize: 0
; MemoryBound: 0
; FloatMode: 240
; IeeeMode: 1
; LDSByteSize: 0 bytes/workgroup (compile time only)
; SGPRBlocks: 0
; VGPRBlocks: 0
; NumSGPRsForWavesPerEU: 4
; NumVGPRsForWavesPerEU: 1
; AccumOffset: 4
; Occupancy: 8
; WaveLimiterHint : 0
; COMPUTE_PGM_RSRC2:SCRATCH_EN: 0
; COMPUTE_PGM_RSRC2:USER_SGPR: 6
; COMPUTE_PGM_RSRC2:TRAP_HANDLER: 0
; COMPUTE_PGM_RSRC2:TGID_X_EN: 1
; COMPUTE_PGM_RSRC2:TGID_Y_EN: 0
; COMPUTE_PGM_RSRC2:TGID_Z_EN: 0
; COMPUTE_PGM_RSRC2:TIDIG_COMP_CNT: 0
; COMPUTE_PGM_RSRC3_GFX90A:ACCUM_OFFSET: 0
; COMPUTE_PGM_RSRC3_GFX90A:TG_SPLIT: 0
	.section	.text._ZN7rocprim17ROCPRIM_400000_NS6detail17trampoline_kernelINS0_14default_configENS1_38merge_sort_block_merge_config_selectorIiiEEZZNS1_27merge_sort_block_merge_implIS3_PiS7_jNS1_19radix_merge_compareILb0ELb1EiNS0_19identity_decomposerEEEEE10hipError_tT0_T1_T2_jT3_P12ihipStream_tbPNSt15iterator_traitsISC_E10value_typeEPNSI_ISD_E10value_typeEPSE_NS1_7vsmem_tEENKUlT_SC_SD_SE_E_clIS7_S7_S7_S7_EESB_SR_SC_SD_SE_EUlSR_E0_NS1_11comp_targetILNS1_3genE2ELNS1_11target_archE906ELNS1_3gpuE6ELNS1_3repE0EEENS1_38merge_mergepath_config_static_selectorELNS0_4arch9wavefront6targetE1EEEvSD_,"axG",@progbits,_ZN7rocprim17ROCPRIM_400000_NS6detail17trampoline_kernelINS0_14default_configENS1_38merge_sort_block_merge_config_selectorIiiEEZZNS1_27merge_sort_block_merge_implIS3_PiS7_jNS1_19radix_merge_compareILb0ELb1EiNS0_19identity_decomposerEEEEE10hipError_tT0_T1_T2_jT3_P12ihipStream_tbPNSt15iterator_traitsISC_E10value_typeEPNSI_ISD_E10value_typeEPSE_NS1_7vsmem_tEENKUlT_SC_SD_SE_E_clIS7_S7_S7_S7_EESB_SR_SC_SD_SE_EUlSR_E0_NS1_11comp_targetILNS1_3genE2ELNS1_11target_archE906ELNS1_3gpuE6ELNS1_3repE0EEENS1_38merge_mergepath_config_static_selectorELNS0_4arch9wavefront6targetE1EEEvSD_,comdat
	.protected	_ZN7rocprim17ROCPRIM_400000_NS6detail17trampoline_kernelINS0_14default_configENS1_38merge_sort_block_merge_config_selectorIiiEEZZNS1_27merge_sort_block_merge_implIS3_PiS7_jNS1_19radix_merge_compareILb0ELb1EiNS0_19identity_decomposerEEEEE10hipError_tT0_T1_T2_jT3_P12ihipStream_tbPNSt15iterator_traitsISC_E10value_typeEPNSI_ISD_E10value_typeEPSE_NS1_7vsmem_tEENKUlT_SC_SD_SE_E_clIS7_S7_S7_S7_EESB_SR_SC_SD_SE_EUlSR_E0_NS1_11comp_targetILNS1_3genE2ELNS1_11target_archE906ELNS1_3gpuE6ELNS1_3repE0EEENS1_38merge_mergepath_config_static_selectorELNS0_4arch9wavefront6targetE1EEEvSD_ ; -- Begin function _ZN7rocprim17ROCPRIM_400000_NS6detail17trampoline_kernelINS0_14default_configENS1_38merge_sort_block_merge_config_selectorIiiEEZZNS1_27merge_sort_block_merge_implIS3_PiS7_jNS1_19radix_merge_compareILb0ELb1EiNS0_19identity_decomposerEEEEE10hipError_tT0_T1_T2_jT3_P12ihipStream_tbPNSt15iterator_traitsISC_E10value_typeEPNSI_ISD_E10value_typeEPSE_NS1_7vsmem_tEENKUlT_SC_SD_SE_E_clIS7_S7_S7_S7_EESB_SR_SC_SD_SE_EUlSR_E0_NS1_11comp_targetILNS1_3genE2ELNS1_11target_archE906ELNS1_3gpuE6ELNS1_3repE0EEENS1_38merge_mergepath_config_static_selectorELNS0_4arch9wavefront6targetE1EEEvSD_
	.globl	_ZN7rocprim17ROCPRIM_400000_NS6detail17trampoline_kernelINS0_14default_configENS1_38merge_sort_block_merge_config_selectorIiiEEZZNS1_27merge_sort_block_merge_implIS3_PiS7_jNS1_19radix_merge_compareILb0ELb1EiNS0_19identity_decomposerEEEEE10hipError_tT0_T1_T2_jT3_P12ihipStream_tbPNSt15iterator_traitsISC_E10value_typeEPNSI_ISD_E10value_typeEPSE_NS1_7vsmem_tEENKUlT_SC_SD_SE_E_clIS7_S7_S7_S7_EESB_SR_SC_SD_SE_EUlSR_E0_NS1_11comp_targetILNS1_3genE2ELNS1_11target_archE906ELNS1_3gpuE6ELNS1_3repE0EEENS1_38merge_mergepath_config_static_selectorELNS0_4arch9wavefront6targetE1EEEvSD_
	.p2align	8
	.type	_ZN7rocprim17ROCPRIM_400000_NS6detail17trampoline_kernelINS0_14default_configENS1_38merge_sort_block_merge_config_selectorIiiEEZZNS1_27merge_sort_block_merge_implIS3_PiS7_jNS1_19radix_merge_compareILb0ELb1EiNS0_19identity_decomposerEEEEE10hipError_tT0_T1_T2_jT3_P12ihipStream_tbPNSt15iterator_traitsISC_E10value_typeEPNSI_ISD_E10value_typeEPSE_NS1_7vsmem_tEENKUlT_SC_SD_SE_E_clIS7_S7_S7_S7_EESB_SR_SC_SD_SE_EUlSR_E0_NS1_11comp_targetILNS1_3genE2ELNS1_11target_archE906ELNS1_3gpuE6ELNS1_3repE0EEENS1_38merge_mergepath_config_static_selectorELNS0_4arch9wavefront6targetE1EEEvSD_,@function
_ZN7rocprim17ROCPRIM_400000_NS6detail17trampoline_kernelINS0_14default_configENS1_38merge_sort_block_merge_config_selectorIiiEEZZNS1_27merge_sort_block_merge_implIS3_PiS7_jNS1_19radix_merge_compareILb0ELb1EiNS0_19identity_decomposerEEEEE10hipError_tT0_T1_T2_jT3_P12ihipStream_tbPNSt15iterator_traitsISC_E10value_typeEPNSI_ISD_E10value_typeEPSE_NS1_7vsmem_tEENKUlT_SC_SD_SE_E_clIS7_S7_S7_S7_EESB_SR_SC_SD_SE_EUlSR_E0_NS1_11comp_targetILNS1_3genE2ELNS1_11target_archE906ELNS1_3gpuE6ELNS1_3repE0EEENS1_38merge_mergepath_config_static_selectorELNS0_4arch9wavefront6targetE1EEEvSD_: ; @_ZN7rocprim17ROCPRIM_400000_NS6detail17trampoline_kernelINS0_14default_configENS1_38merge_sort_block_merge_config_selectorIiiEEZZNS1_27merge_sort_block_merge_implIS3_PiS7_jNS1_19radix_merge_compareILb0ELb1EiNS0_19identity_decomposerEEEEE10hipError_tT0_T1_T2_jT3_P12ihipStream_tbPNSt15iterator_traitsISC_E10value_typeEPNSI_ISD_E10value_typeEPSE_NS1_7vsmem_tEENKUlT_SC_SD_SE_E_clIS7_S7_S7_S7_EESB_SR_SC_SD_SE_EUlSR_E0_NS1_11comp_targetILNS1_3genE2ELNS1_11target_archE906ELNS1_3gpuE6ELNS1_3repE0EEENS1_38merge_mergepath_config_static_selectorELNS0_4arch9wavefront6targetE1EEEvSD_
; %bb.0:
	.section	.rodata,"a",@progbits
	.p2align	6, 0x0
	.amdhsa_kernel _ZN7rocprim17ROCPRIM_400000_NS6detail17trampoline_kernelINS0_14default_configENS1_38merge_sort_block_merge_config_selectorIiiEEZZNS1_27merge_sort_block_merge_implIS3_PiS7_jNS1_19radix_merge_compareILb0ELb1EiNS0_19identity_decomposerEEEEE10hipError_tT0_T1_T2_jT3_P12ihipStream_tbPNSt15iterator_traitsISC_E10value_typeEPNSI_ISD_E10value_typeEPSE_NS1_7vsmem_tEENKUlT_SC_SD_SE_E_clIS7_S7_S7_S7_EESB_SR_SC_SD_SE_EUlSR_E0_NS1_11comp_targetILNS1_3genE2ELNS1_11target_archE906ELNS1_3gpuE6ELNS1_3repE0EEENS1_38merge_mergepath_config_static_selectorELNS0_4arch9wavefront6targetE1EEEvSD_
		.amdhsa_group_segment_fixed_size 0
		.amdhsa_private_segment_fixed_size 0
		.amdhsa_kernarg_size 64
		.amdhsa_user_sgpr_count 6
		.amdhsa_user_sgpr_private_segment_buffer 1
		.amdhsa_user_sgpr_dispatch_ptr 0
		.amdhsa_user_sgpr_queue_ptr 0
		.amdhsa_user_sgpr_kernarg_segment_ptr 1
		.amdhsa_user_sgpr_dispatch_id 0
		.amdhsa_user_sgpr_flat_scratch_init 0
		.amdhsa_user_sgpr_kernarg_preload_length 0
		.amdhsa_user_sgpr_kernarg_preload_offset 0
		.amdhsa_user_sgpr_private_segment_size 0
		.amdhsa_uses_dynamic_stack 0
		.amdhsa_system_sgpr_private_segment_wavefront_offset 0
		.amdhsa_system_sgpr_workgroup_id_x 1
		.amdhsa_system_sgpr_workgroup_id_y 0
		.amdhsa_system_sgpr_workgroup_id_z 0
		.amdhsa_system_sgpr_workgroup_info 0
		.amdhsa_system_vgpr_workitem_id 0
		.amdhsa_next_free_vgpr 1
		.amdhsa_next_free_sgpr 0
		.amdhsa_accum_offset 4
		.amdhsa_reserve_vcc 0
		.amdhsa_reserve_flat_scratch 0
		.amdhsa_float_round_mode_32 0
		.amdhsa_float_round_mode_16_64 0
		.amdhsa_float_denorm_mode_32 3
		.amdhsa_float_denorm_mode_16_64 3
		.amdhsa_dx10_clamp 1
		.amdhsa_ieee_mode 1
		.amdhsa_fp16_overflow 0
		.amdhsa_tg_split 0
		.amdhsa_exception_fp_ieee_invalid_op 0
		.amdhsa_exception_fp_denorm_src 0
		.amdhsa_exception_fp_ieee_div_zero 0
		.amdhsa_exception_fp_ieee_overflow 0
		.amdhsa_exception_fp_ieee_underflow 0
		.amdhsa_exception_fp_ieee_inexact 0
		.amdhsa_exception_int_div_zero 0
	.end_amdhsa_kernel
	.section	.text._ZN7rocprim17ROCPRIM_400000_NS6detail17trampoline_kernelINS0_14default_configENS1_38merge_sort_block_merge_config_selectorIiiEEZZNS1_27merge_sort_block_merge_implIS3_PiS7_jNS1_19radix_merge_compareILb0ELb1EiNS0_19identity_decomposerEEEEE10hipError_tT0_T1_T2_jT3_P12ihipStream_tbPNSt15iterator_traitsISC_E10value_typeEPNSI_ISD_E10value_typeEPSE_NS1_7vsmem_tEENKUlT_SC_SD_SE_E_clIS7_S7_S7_S7_EESB_SR_SC_SD_SE_EUlSR_E0_NS1_11comp_targetILNS1_3genE2ELNS1_11target_archE906ELNS1_3gpuE6ELNS1_3repE0EEENS1_38merge_mergepath_config_static_selectorELNS0_4arch9wavefront6targetE1EEEvSD_,"axG",@progbits,_ZN7rocprim17ROCPRIM_400000_NS6detail17trampoline_kernelINS0_14default_configENS1_38merge_sort_block_merge_config_selectorIiiEEZZNS1_27merge_sort_block_merge_implIS3_PiS7_jNS1_19radix_merge_compareILb0ELb1EiNS0_19identity_decomposerEEEEE10hipError_tT0_T1_T2_jT3_P12ihipStream_tbPNSt15iterator_traitsISC_E10value_typeEPNSI_ISD_E10value_typeEPSE_NS1_7vsmem_tEENKUlT_SC_SD_SE_E_clIS7_S7_S7_S7_EESB_SR_SC_SD_SE_EUlSR_E0_NS1_11comp_targetILNS1_3genE2ELNS1_11target_archE906ELNS1_3gpuE6ELNS1_3repE0EEENS1_38merge_mergepath_config_static_selectorELNS0_4arch9wavefront6targetE1EEEvSD_,comdat
.Lfunc_end338:
	.size	_ZN7rocprim17ROCPRIM_400000_NS6detail17trampoline_kernelINS0_14default_configENS1_38merge_sort_block_merge_config_selectorIiiEEZZNS1_27merge_sort_block_merge_implIS3_PiS7_jNS1_19radix_merge_compareILb0ELb1EiNS0_19identity_decomposerEEEEE10hipError_tT0_T1_T2_jT3_P12ihipStream_tbPNSt15iterator_traitsISC_E10value_typeEPNSI_ISD_E10value_typeEPSE_NS1_7vsmem_tEENKUlT_SC_SD_SE_E_clIS7_S7_S7_S7_EESB_SR_SC_SD_SE_EUlSR_E0_NS1_11comp_targetILNS1_3genE2ELNS1_11target_archE906ELNS1_3gpuE6ELNS1_3repE0EEENS1_38merge_mergepath_config_static_selectorELNS0_4arch9wavefront6targetE1EEEvSD_, .Lfunc_end338-_ZN7rocprim17ROCPRIM_400000_NS6detail17trampoline_kernelINS0_14default_configENS1_38merge_sort_block_merge_config_selectorIiiEEZZNS1_27merge_sort_block_merge_implIS3_PiS7_jNS1_19radix_merge_compareILb0ELb1EiNS0_19identity_decomposerEEEEE10hipError_tT0_T1_T2_jT3_P12ihipStream_tbPNSt15iterator_traitsISC_E10value_typeEPNSI_ISD_E10value_typeEPSE_NS1_7vsmem_tEENKUlT_SC_SD_SE_E_clIS7_S7_S7_S7_EESB_SR_SC_SD_SE_EUlSR_E0_NS1_11comp_targetILNS1_3genE2ELNS1_11target_archE906ELNS1_3gpuE6ELNS1_3repE0EEENS1_38merge_mergepath_config_static_selectorELNS0_4arch9wavefront6targetE1EEEvSD_
                                        ; -- End function
	.section	.AMDGPU.csdata,"",@progbits
; Kernel info:
; codeLenInByte = 0
; NumSgprs: 4
; NumVgprs: 0
; NumAgprs: 0
; TotalNumVgprs: 0
; ScratchSize: 0
; MemoryBound: 0
; FloatMode: 240
; IeeeMode: 1
; LDSByteSize: 0 bytes/workgroup (compile time only)
; SGPRBlocks: 0
; VGPRBlocks: 0
; NumSGPRsForWavesPerEU: 4
; NumVGPRsForWavesPerEU: 1
; AccumOffset: 4
; Occupancy: 8
; WaveLimiterHint : 0
; COMPUTE_PGM_RSRC2:SCRATCH_EN: 0
; COMPUTE_PGM_RSRC2:USER_SGPR: 6
; COMPUTE_PGM_RSRC2:TRAP_HANDLER: 0
; COMPUTE_PGM_RSRC2:TGID_X_EN: 1
; COMPUTE_PGM_RSRC2:TGID_Y_EN: 0
; COMPUTE_PGM_RSRC2:TGID_Z_EN: 0
; COMPUTE_PGM_RSRC2:TIDIG_COMP_CNT: 0
; COMPUTE_PGM_RSRC3_GFX90A:ACCUM_OFFSET: 0
; COMPUTE_PGM_RSRC3_GFX90A:TG_SPLIT: 0
	.section	.text._ZN7rocprim17ROCPRIM_400000_NS6detail17trampoline_kernelINS0_14default_configENS1_38merge_sort_block_merge_config_selectorIiiEEZZNS1_27merge_sort_block_merge_implIS3_PiS7_jNS1_19radix_merge_compareILb0ELb1EiNS0_19identity_decomposerEEEEE10hipError_tT0_T1_T2_jT3_P12ihipStream_tbPNSt15iterator_traitsISC_E10value_typeEPNSI_ISD_E10value_typeEPSE_NS1_7vsmem_tEENKUlT_SC_SD_SE_E_clIS7_S7_S7_S7_EESB_SR_SC_SD_SE_EUlSR_E0_NS1_11comp_targetILNS1_3genE9ELNS1_11target_archE1100ELNS1_3gpuE3ELNS1_3repE0EEENS1_38merge_mergepath_config_static_selectorELNS0_4arch9wavefront6targetE1EEEvSD_,"axG",@progbits,_ZN7rocprim17ROCPRIM_400000_NS6detail17trampoline_kernelINS0_14default_configENS1_38merge_sort_block_merge_config_selectorIiiEEZZNS1_27merge_sort_block_merge_implIS3_PiS7_jNS1_19radix_merge_compareILb0ELb1EiNS0_19identity_decomposerEEEEE10hipError_tT0_T1_T2_jT3_P12ihipStream_tbPNSt15iterator_traitsISC_E10value_typeEPNSI_ISD_E10value_typeEPSE_NS1_7vsmem_tEENKUlT_SC_SD_SE_E_clIS7_S7_S7_S7_EESB_SR_SC_SD_SE_EUlSR_E0_NS1_11comp_targetILNS1_3genE9ELNS1_11target_archE1100ELNS1_3gpuE3ELNS1_3repE0EEENS1_38merge_mergepath_config_static_selectorELNS0_4arch9wavefront6targetE1EEEvSD_,comdat
	.protected	_ZN7rocprim17ROCPRIM_400000_NS6detail17trampoline_kernelINS0_14default_configENS1_38merge_sort_block_merge_config_selectorIiiEEZZNS1_27merge_sort_block_merge_implIS3_PiS7_jNS1_19radix_merge_compareILb0ELb1EiNS0_19identity_decomposerEEEEE10hipError_tT0_T1_T2_jT3_P12ihipStream_tbPNSt15iterator_traitsISC_E10value_typeEPNSI_ISD_E10value_typeEPSE_NS1_7vsmem_tEENKUlT_SC_SD_SE_E_clIS7_S7_S7_S7_EESB_SR_SC_SD_SE_EUlSR_E0_NS1_11comp_targetILNS1_3genE9ELNS1_11target_archE1100ELNS1_3gpuE3ELNS1_3repE0EEENS1_38merge_mergepath_config_static_selectorELNS0_4arch9wavefront6targetE1EEEvSD_ ; -- Begin function _ZN7rocprim17ROCPRIM_400000_NS6detail17trampoline_kernelINS0_14default_configENS1_38merge_sort_block_merge_config_selectorIiiEEZZNS1_27merge_sort_block_merge_implIS3_PiS7_jNS1_19radix_merge_compareILb0ELb1EiNS0_19identity_decomposerEEEEE10hipError_tT0_T1_T2_jT3_P12ihipStream_tbPNSt15iterator_traitsISC_E10value_typeEPNSI_ISD_E10value_typeEPSE_NS1_7vsmem_tEENKUlT_SC_SD_SE_E_clIS7_S7_S7_S7_EESB_SR_SC_SD_SE_EUlSR_E0_NS1_11comp_targetILNS1_3genE9ELNS1_11target_archE1100ELNS1_3gpuE3ELNS1_3repE0EEENS1_38merge_mergepath_config_static_selectorELNS0_4arch9wavefront6targetE1EEEvSD_
	.globl	_ZN7rocprim17ROCPRIM_400000_NS6detail17trampoline_kernelINS0_14default_configENS1_38merge_sort_block_merge_config_selectorIiiEEZZNS1_27merge_sort_block_merge_implIS3_PiS7_jNS1_19radix_merge_compareILb0ELb1EiNS0_19identity_decomposerEEEEE10hipError_tT0_T1_T2_jT3_P12ihipStream_tbPNSt15iterator_traitsISC_E10value_typeEPNSI_ISD_E10value_typeEPSE_NS1_7vsmem_tEENKUlT_SC_SD_SE_E_clIS7_S7_S7_S7_EESB_SR_SC_SD_SE_EUlSR_E0_NS1_11comp_targetILNS1_3genE9ELNS1_11target_archE1100ELNS1_3gpuE3ELNS1_3repE0EEENS1_38merge_mergepath_config_static_selectorELNS0_4arch9wavefront6targetE1EEEvSD_
	.p2align	8
	.type	_ZN7rocprim17ROCPRIM_400000_NS6detail17trampoline_kernelINS0_14default_configENS1_38merge_sort_block_merge_config_selectorIiiEEZZNS1_27merge_sort_block_merge_implIS3_PiS7_jNS1_19radix_merge_compareILb0ELb1EiNS0_19identity_decomposerEEEEE10hipError_tT0_T1_T2_jT3_P12ihipStream_tbPNSt15iterator_traitsISC_E10value_typeEPNSI_ISD_E10value_typeEPSE_NS1_7vsmem_tEENKUlT_SC_SD_SE_E_clIS7_S7_S7_S7_EESB_SR_SC_SD_SE_EUlSR_E0_NS1_11comp_targetILNS1_3genE9ELNS1_11target_archE1100ELNS1_3gpuE3ELNS1_3repE0EEENS1_38merge_mergepath_config_static_selectorELNS0_4arch9wavefront6targetE1EEEvSD_,@function
_ZN7rocprim17ROCPRIM_400000_NS6detail17trampoline_kernelINS0_14default_configENS1_38merge_sort_block_merge_config_selectorIiiEEZZNS1_27merge_sort_block_merge_implIS3_PiS7_jNS1_19radix_merge_compareILb0ELb1EiNS0_19identity_decomposerEEEEE10hipError_tT0_T1_T2_jT3_P12ihipStream_tbPNSt15iterator_traitsISC_E10value_typeEPNSI_ISD_E10value_typeEPSE_NS1_7vsmem_tEENKUlT_SC_SD_SE_E_clIS7_S7_S7_S7_EESB_SR_SC_SD_SE_EUlSR_E0_NS1_11comp_targetILNS1_3genE9ELNS1_11target_archE1100ELNS1_3gpuE3ELNS1_3repE0EEENS1_38merge_mergepath_config_static_selectorELNS0_4arch9wavefront6targetE1EEEvSD_: ; @_ZN7rocprim17ROCPRIM_400000_NS6detail17trampoline_kernelINS0_14default_configENS1_38merge_sort_block_merge_config_selectorIiiEEZZNS1_27merge_sort_block_merge_implIS3_PiS7_jNS1_19radix_merge_compareILb0ELb1EiNS0_19identity_decomposerEEEEE10hipError_tT0_T1_T2_jT3_P12ihipStream_tbPNSt15iterator_traitsISC_E10value_typeEPNSI_ISD_E10value_typeEPSE_NS1_7vsmem_tEENKUlT_SC_SD_SE_E_clIS7_S7_S7_S7_EESB_SR_SC_SD_SE_EUlSR_E0_NS1_11comp_targetILNS1_3genE9ELNS1_11target_archE1100ELNS1_3gpuE3ELNS1_3repE0EEENS1_38merge_mergepath_config_static_selectorELNS0_4arch9wavefront6targetE1EEEvSD_
; %bb.0:
	.section	.rodata,"a",@progbits
	.p2align	6, 0x0
	.amdhsa_kernel _ZN7rocprim17ROCPRIM_400000_NS6detail17trampoline_kernelINS0_14default_configENS1_38merge_sort_block_merge_config_selectorIiiEEZZNS1_27merge_sort_block_merge_implIS3_PiS7_jNS1_19radix_merge_compareILb0ELb1EiNS0_19identity_decomposerEEEEE10hipError_tT0_T1_T2_jT3_P12ihipStream_tbPNSt15iterator_traitsISC_E10value_typeEPNSI_ISD_E10value_typeEPSE_NS1_7vsmem_tEENKUlT_SC_SD_SE_E_clIS7_S7_S7_S7_EESB_SR_SC_SD_SE_EUlSR_E0_NS1_11comp_targetILNS1_3genE9ELNS1_11target_archE1100ELNS1_3gpuE3ELNS1_3repE0EEENS1_38merge_mergepath_config_static_selectorELNS0_4arch9wavefront6targetE1EEEvSD_
		.amdhsa_group_segment_fixed_size 0
		.amdhsa_private_segment_fixed_size 0
		.amdhsa_kernarg_size 64
		.amdhsa_user_sgpr_count 6
		.amdhsa_user_sgpr_private_segment_buffer 1
		.amdhsa_user_sgpr_dispatch_ptr 0
		.amdhsa_user_sgpr_queue_ptr 0
		.amdhsa_user_sgpr_kernarg_segment_ptr 1
		.amdhsa_user_sgpr_dispatch_id 0
		.amdhsa_user_sgpr_flat_scratch_init 0
		.amdhsa_user_sgpr_kernarg_preload_length 0
		.amdhsa_user_sgpr_kernarg_preload_offset 0
		.amdhsa_user_sgpr_private_segment_size 0
		.amdhsa_uses_dynamic_stack 0
		.amdhsa_system_sgpr_private_segment_wavefront_offset 0
		.amdhsa_system_sgpr_workgroup_id_x 1
		.amdhsa_system_sgpr_workgroup_id_y 0
		.amdhsa_system_sgpr_workgroup_id_z 0
		.amdhsa_system_sgpr_workgroup_info 0
		.amdhsa_system_vgpr_workitem_id 0
		.amdhsa_next_free_vgpr 1
		.amdhsa_next_free_sgpr 0
		.amdhsa_accum_offset 4
		.amdhsa_reserve_vcc 0
		.amdhsa_reserve_flat_scratch 0
		.amdhsa_float_round_mode_32 0
		.amdhsa_float_round_mode_16_64 0
		.amdhsa_float_denorm_mode_32 3
		.amdhsa_float_denorm_mode_16_64 3
		.amdhsa_dx10_clamp 1
		.amdhsa_ieee_mode 1
		.amdhsa_fp16_overflow 0
		.amdhsa_tg_split 0
		.amdhsa_exception_fp_ieee_invalid_op 0
		.amdhsa_exception_fp_denorm_src 0
		.amdhsa_exception_fp_ieee_div_zero 0
		.amdhsa_exception_fp_ieee_overflow 0
		.amdhsa_exception_fp_ieee_underflow 0
		.amdhsa_exception_fp_ieee_inexact 0
		.amdhsa_exception_int_div_zero 0
	.end_amdhsa_kernel
	.section	.text._ZN7rocprim17ROCPRIM_400000_NS6detail17trampoline_kernelINS0_14default_configENS1_38merge_sort_block_merge_config_selectorIiiEEZZNS1_27merge_sort_block_merge_implIS3_PiS7_jNS1_19radix_merge_compareILb0ELb1EiNS0_19identity_decomposerEEEEE10hipError_tT0_T1_T2_jT3_P12ihipStream_tbPNSt15iterator_traitsISC_E10value_typeEPNSI_ISD_E10value_typeEPSE_NS1_7vsmem_tEENKUlT_SC_SD_SE_E_clIS7_S7_S7_S7_EESB_SR_SC_SD_SE_EUlSR_E0_NS1_11comp_targetILNS1_3genE9ELNS1_11target_archE1100ELNS1_3gpuE3ELNS1_3repE0EEENS1_38merge_mergepath_config_static_selectorELNS0_4arch9wavefront6targetE1EEEvSD_,"axG",@progbits,_ZN7rocprim17ROCPRIM_400000_NS6detail17trampoline_kernelINS0_14default_configENS1_38merge_sort_block_merge_config_selectorIiiEEZZNS1_27merge_sort_block_merge_implIS3_PiS7_jNS1_19radix_merge_compareILb0ELb1EiNS0_19identity_decomposerEEEEE10hipError_tT0_T1_T2_jT3_P12ihipStream_tbPNSt15iterator_traitsISC_E10value_typeEPNSI_ISD_E10value_typeEPSE_NS1_7vsmem_tEENKUlT_SC_SD_SE_E_clIS7_S7_S7_S7_EESB_SR_SC_SD_SE_EUlSR_E0_NS1_11comp_targetILNS1_3genE9ELNS1_11target_archE1100ELNS1_3gpuE3ELNS1_3repE0EEENS1_38merge_mergepath_config_static_selectorELNS0_4arch9wavefront6targetE1EEEvSD_,comdat
.Lfunc_end339:
	.size	_ZN7rocprim17ROCPRIM_400000_NS6detail17trampoline_kernelINS0_14default_configENS1_38merge_sort_block_merge_config_selectorIiiEEZZNS1_27merge_sort_block_merge_implIS3_PiS7_jNS1_19radix_merge_compareILb0ELb1EiNS0_19identity_decomposerEEEEE10hipError_tT0_T1_T2_jT3_P12ihipStream_tbPNSt15iterator_traitsISC_E10value_typeEPNSI_ISD_E10value_typeEPSE_NS1_7vsmem_tEENKUlT_SC_SD_SE_E_clIS7_S7_S7_S7_EESB_SR_SC_SD_SE_EUlSR_E0_NS1_11comp_targetILNS1_3genE9ELNS1_11target_archE1100ELNS1_3gpuE3ELNS1_3repE0EEENS1_38merge_mergepath_config_static_selectorELNS0_4arch9wavefront6targetE1EEEvSD_, .Lfunc_end339-_ZN7rocprim17ROCPRIM_400000_NS6detail17trampoline_kernelINS0_14default_configENS1_38merge_sort_block_merge_config_selectorIiiEEZZNS1_27merge_sort_block_merge_implIS3_PiS7_jNS1_19radix_merge_compareILb0ELb1EiNS0_19identity_decomposerEEEEE10hipError_tT0_T1_T2_jT3_P12ihipStream_tbPNSt15iterator_traitsISC_E10value_typeEPNSI_ISD_E10value_typeEPSE_NS1_7vsmem_tEENKUlT_SC_SD_SE_E_clIS7_S7_S7_S7_EESB_SR_SC_SD_SE_EUlSR_E0_NS1_11comp_targetILNS1_3genE9ELNS1_11target_archE1100ELNS1_3gpuE3ELNS1_3repE0EEENS1_38merge_mergepath_config_static_selectorELNS0_4arch9wavefront6targetE1EEEvSD_
                                        ; -- End function
	.section	.AMDGPU.csdata,"",@progbits
; Kernel info:
; codeLenInByte = 0
; NumSgprs: 4
; NumVgprs: 0
; NumAgprs: 0
; TotalNumVgprs: 0
; ScratchSize: 0
; MemoryBound: 0
; FloatMode: 240
; IeeeMode: 1
; LDSByteSize: 0 bytes/workgroup (compile time only)
; SGPRBlocks: 0
; VGPRBlocks: 0
; NumSGPRsForWavesPerEU: 4
; NumVGPRsForWavesPerEU: 1
; AccumOffset: 4
; Occupancy: 8
; WaveLimiterHint : 0
; COMPUTE_PGM_RSRC2:SCRATCH_EN: 0
; COMPUTE_PGM_RSRC2:USER_SGPR: 6
; COMPUTE_PGM_RSRC2:TRAP_HANDLER: 0
; COMPUTE_PGM_RSRC2:TGID_X_EN: 1
; COMPUTE_PGM_RSRC2:TGID_Y_EN: 0
; COMPUTE_PGM_RSRC2:TGID_Z_EN: 0
; COMPUTE_PGM_RSRC2:TIDIG_COMP_CNT: 0
; COMPUTE_PGM_RSRC3_GFX90A:ACCUM_OFFSET: 0
; COMPUTE_PGM_RSRC3_GFX90A:TG_SPLIT: 0
	.section	.text._ZN7rocprim17ROCPRIM_400000_NS6detail17trampoline_kernelINS0_14default_configENS1_38merge_sort_block_merge_config_selectorIiiEEZZNS1_27merge_sort_block_merge_implIS3_PiS7_jNS1_19radix_merge_compareILb0ELb1EiNS0_19identity_decomposerEEEEE10hipError_tT0_T1_T2_jT3_P12ihipStream_tbPNSt15iterator_traitsISC_E10value_typeEPNSI_ISD_E10value_typeEPSE_NS1_7vsmem_tEENKUlT_SC_SD_SE_E_clIS7_S7_S7_S7_EESB_SR_SC_SD_SE_EUlSR_E0_NS1_11comp_targetILNS1_3genE8ELNS1_11target_archE1030ELNS1_3gpuE2ELNS1_3repE0EEENS1_38merge_mergepath_config_static_selectorELNS0_4arch9wavefront6targetE1EEEvSD_,"axG",@progbits,_ZN7rocprim17ROCPRIM_400000_NS6detail17trampoline_kernelINS0_14default_configENS1_38merge_sort_block_merge_config_selectorIiiEEZZNS1_27merge_sort_block_merge_implIS3_PiS7_jNS1_19radix_merge_compareILb0ELb1EiNS0_19identity_decomposerEEEEE10hipError_tT0_T1_T2_jT3_P12ihipStream_tbPNSt15iterator_traitsISC_E10value_typeEPNSI_ISD_E10value_typeEPSE_NS1_7vsmem_tEENKUlT_SC_SD_SE_E_clIS7_S7_S7_S7_EESB_SR_SC_SD_SE_EUlSR_E0_NS1_11comp_targetILNS1_3genE8ELNS1_11target_archE1030ELNS1_3gpuE2ELNS1_3repE0EEENS1_38merge_mergepath_config_static_selectorELNS0_4arch9wavefront6targetE1EEEvSD_,comdat
	.protected	_ZN7rocprim17ROCPRIM_400000_NS6detail17trampoline_kernelINS0_14default_configENS1_38merge_sort_block_merge_config_selectorIiiEEZZNS1_27merge_sort_block_merge_implIS3_PiS7_jNS1_19radix_merge_compareILb0ELb1EiNS0_19identity_decomposerEEEEE10hipError_tT0_T1_T2_jT3_P12ihipStream_tbPNSt15iterator_traitsISC_E10value_typeEPNSI_ISD_E10value_typeEPSE_NS1_7vsmem_tEENKUlT_SC_SD_SE_E_clIS7_S7_S7_S7_EESB_SR_SC_SD_SE_EUlSR_E0_NS1_11comp_targetILNS1_3genE8ELNS1_11target_archE1030ELNS1_3gpuE2ELNS1_3repE0EEENS1_38merge_mergepath_config_static_selectorELNS0_4arch9wavefront6targetE1EEEvSD_ ; -- Begin function _ZN7rocprim17ROCPRIM_400000_NS6detail17trampoline_kernelINS0_14default_configENS1_38merge_sort_block_merge_config_selectorIiiEEZZNS1_27merge_sort_block_merge_implIS3_PiS7_jNS1_19radix_merge_compareILb0ELb1EiNS0_19identity_decomposerEEEEE10hipError_tT0_T1_T2_jT3_P12ihipStream_tbPNSt15iterator_traitsISC_E10value_typeEPNSI_ISD_E10value_typeEPSE_NS1_7vsmem_tEENKUlT_SC_SD_SE_E_clIS7_S7_S7_S7_EESB_SR_SC_SD_SE_EUlSR_E0_NS1_11comp_targetILNS1_3genE8ELNS1_11target_archE1030ELNS1_3gpuE2ELNS1_3repE0EEENS1_38merge_mergepath_config_static_selectorELNS0_4arch9wavefront6targetE1EEEvSD_
	.globl	_ZN7rocprim17ROCPRIM_400000_NS6detail17trampoline_kernelINS0_14default_configENS1_38merge_sort_block_merge_config_selectorIiiEEZZNS1_27merge_sort_block_merge_implIS3_PiS7_jNS1_19radix_merge_compareILb0ELb1EiNS0_19identity_decomposerEEEEE10hipError_tT0_T1_T2_jT3_P12ihipStream_tbPNSt15iterator_traitsISC_E10value_typeEPNSI_ISD_E10value_typeEPSE_NS1_7vsmem_tEENKUlT_SC_SD_SE_E_clIS7_S7_S7_S7_EESB_SR_SC_SD_SE_EUlSR_E0_NS1_11comp_targetILNS1_3genE8ELNS1_11target_archE1030ELNS1_3gpuE2ELNS1_3repE0EEENS1_38merge_mergepath_config_static_selectorELNS0_4arch9wavefront6targetE1EEEvSD_
	.p2align	8
	.type	_ZN7rocprim17ROCPRIM_400000_NS6detail17trampoline_kernelINS0_14default_configENS1_38merge_sort_block_merge_config_selectorIiiEEZZNS1_27merge_sort_block_merge_implIS3_PiS7_jNS1_19radix_merge_compareILb0ELb1EiNS0_19identity_decomposerEEEEE10hipError_tT0_T1_T2_jT3_P12ihipStream_tbPNSt15iterator_traitsISC_E10value_typeEPNSI_ISD_E10value_typeEPSE_NS1_7vsmem_tEENKUlT_SC_SD_SE_E_clIS7_S7_S7_S7_EESB_SR_SC_SD_SE_EUlSR_E0_NS1_11comp_targetILNS1_3genE8ELNS1_11target_archE1030ELNS1_3gpuE2ELNS1_3repE0EEENS1_38merge_mergepath_config_static_selectorELNS0_4arch9wavefront6targetE1EEEvSD_,@function
_ZN7rocprim17ROCPRIM_400000_NS6detail17trampoline_kernelINS0_14default_configENS1_38merge_sort_block_merge_config_selectorIiiEEZZNS1_27merge_sort_block_merge_implIS3_PiS7_jNS1_19radix_merge_compareILb0ELb1EiNS0_19identity_decomposerEEEEE10hipError_tT0_T1_T2_jT3_P12ihipStream_tbPNSt15iterator_traitsISC_E10value_typeEPNSI_ISD_E10value_typeEPSE_NS1_7vsmem_tEENKUlT_SC_SD_SE_E_clIS7_S7_S7_S7_EESB_SR_SC_SD_SE_EUlSR_E0_NS1_11comp_targetILNS1_3genE8ELNS1_11target_archE1030ELNS1_3gpuE2ELNS1_3repE0EEENS1_38merge_mergepath_config_static_selectorELNS0_4arch9wavefront6targetE1EEEvSD_: ; @_ZN7rocprim17ROCPRIM_400000_NS6detail17trampoline_kernelINS0_14default_configENS1_38merge_sort_block_merge_config_selectorIiiEEZZNS1_27merge_sort_block_merge_implIS3_PiS7_jNS1_19radix_merge_compareILb0ELb1EiNS0_19identity_decomposerEEEEE10hipError_tT0_T1_T2_jT3_P12ihipStream_tbPNSt15iterator_traitsISC_E10value_typeEPNSI_ISD_E10value_typeEPSE_NS1_7vsmem_tEENKUlT_SC_SD_SE_E_clIS7_S7_S7_S7_EESB_SR_SC_SD_SE_EUlSR_E0_NS1_11comp_targetILNS1_3genE8ELNS1_11target_archE1030ELNS1_3gpuE2ELNS1_3repE0EEENS1_38merge_mergepath_config_static_selectorELNS0_4arch9wavefront6targetE1EEEvSD_
; %bb.0:
	.section	.rodata,"a",@progbits
	.p2align	6, 0x0
	.amdhsa_kernel _ZN7rocprim17ROCPRIM_400000_NS6detail17trampoline_kernelINS0_14default_configENS1_38merge_sort_block_merge_config_selectorIiiEEZZNS1_27merge_sort_block_merge_implIS3_PiS7_jNS1_19radix_merge_compareILb0ELb1EiNS0_19identity_decomposerEEEEE10hipError_tT0_T1_T2_jT3_P12ihipStream_tbPNSt15iterator_traitsISC_E10value_typeEPNSI_ISD_E10value_typeEPSE_NS1_7vsmem_tEENKUlT_SC_SD_SE_E_clIS7_S7_S7_S7_EESB_SR_SC_SD_SE_EUlSR_E0_NS1_11comp_targetILNS1_3genE8ELNS1_11target_archE1030ELNS1_3gpuE2ELNS1_3repE0EEENS1_38merge_mergepath_config_static_selectorELNS0_4arch9wavefront6targetE1EEEvSD_
		.amdhsa_group_segment_fixed_size 0
		.amdhsa_private_segment_fixed_size 0
		.amdhsa_kernarg_size 64
		.amdhsa_user_sgpr_count 6
		.amdhsa_user_sgpr_private_segment_buffer 1
		.amdhsa_user_sgpr_dispatch_ptr 0
		.amdhsa_user_sgpr_queue_ptr 0
		.amdhsa_user_sgpr_kernarg_segment_ptr 1
		.amdhsa_user_sgpr_dispatch_id 0
		.amdhsa_user_sgpr_flat_scratch_init 0
		.amdhsa_user_sgpr_kernarg_preload_length 0
		.amdhsa_user_sgpr_kernarg_preload_offset 0
		.amdhsa_user_sgpr_private_segment_size 0
		.amdhsa_uses_dynamic_stack 0
		.amdhsa_system_sgpr_private_segment_wavefront_offset 0
		.amdhsa_system_sgpr_workgroup_id_x 1
		.amdhsa_system_sgpr_workgroup_id_y 0
		.amdhsa_system_sgpr_workgroup_id_z 0
		.amdhsa_system_sgpr_workgroup_info 0
		.amdhsa_system_vgpr_workitem_id 0
		.amdhsa_next_free_vgpr 1
		.amdhsa_next_free_sgpr 0
		.amdhsa_accum_offset 4
		.amdhsa_reserve_vcc 0
		.amdhsa_reserve_flat_scratch 0
		.amdhsa_float_round_mode_32 0
		.amdhsa_float_round_mode_16_64 0
		.amdhsa_float_denorm_mode_32 3
		.amdhsa_float_denorm_mode_16_64 3
		.amdhsa_dx10_clamp 1
		.amdhsa_ieee_mode 1
		.amdhsa_fp16_overflow 0
		.amdhsa_tg_split 0
		.amdhsa_exception_fp_ieee_invalid_op 0
		.amdhsa_exception_fp_denorm_src 0
		.amdhsa_exception_fp_ieee_div_zero 0
		.amdhsa_exception_fp_ieee_overflow 0
		.amdhsa_exception_fp_ieee_underflow 0
		.amdhsa_exception_fp_ieee_inexact 0
		.amdhsa_exception_int_div_zero 0
	.end_amdhsa_kernel
	.section	.text._ZN7rocprim17ROCPRIM_400000_NS6detail17trampoline_kernelINS0_14default_configENS1_38merge_sort_block_merge_config_selectorIiiEEZZNS1_27merge_sort_block_merge_implIS3_PiS7_jNS1_19radix_merge_compareILb0ELb1EiNS0_19identity_decomposerEEEEE10hipError_tT0_T1_T2_jT3_P12ihipStream_tbPNSt15iterator_traitsISC_E10value_typeEPNSI_ISD_E10value_typeEPSE_NS1_7vsmem_tEENKUlT_SC_SD_SE_E_clIS7_S7_S7_S7_EESB_SR_SC_SD_SE_EUlSR_E0_NS1_11comp_targetILNS1_3genE8ELNS1_11target_archE1030ELNS1_3gpuE2ELNS1_3repE0EEENS1_38merge_mergepath_config_static_selectorELNS0_4arch9wavefront6targetE1EEEvSD_,"axG",@progbits,_ZN7rocprim17ROCPRIM_400000_NS6detail17trampoline_kernelINS0_14default_configENS1_38merge_sort_block_merge_config_selectorIiiEEZZNS1_27merge_sort_block_merge_implIS3_PiS7_jNS1_19radix_merge_compareILb0ELb1EiNS0_19identity_decomposerEEEEE10hipError_tT0_T1_T2_jT3_P12ihipStream_tbPNSt15iterator_traitsISC_E10value_typeEPNSI_ISD_E10value_typeEPSE_NS1_7vsmem_tEENKUlT_SC_SD_SE_E_clIS7_S7_S7_S7_EESB_SR_SC_SD_SE_EUlSR_E0_NS1_11comp_targetILNS1_3genE8ELNS1_11target_archE1030ELNS1_3gpuE2ELNS1_3repE0EEENS1_38merge_mergepath_config_static_selectorELNS0_4arch9wavefront6targetE1EEEvSD_,comdat
.Lfunc_end340:
	.size	_ZN7rocprim17ROCPRIM_400000_NS6detail17trampoline_kernelINS0_14default_configENS1_38merge_sort_block_merge_config_selectorIiiEEZZNS1_27merge_sort_block_merge_implIS3_PiS7_jNS1_19radix_merge_compareILb0ELb1EiNS0_19identity_decomposerEEEEE10hipError_tT0_T1_T2_jT3_P12ihipStream_tbPNSt15iterator_traitsISC_E10value_typeEPNSI_ISD_E10value_typeEPSE_NS1_7vsmem_tEENKUlT_SC_SD_SE_E_clIS7_S7_S7_S7_EESB_SR_SC_SD_SE_EUlSR_E0_NS1_11comp_targetILNS1_3genE8ELNS1_11target_archE1030ELNS1_3gpuE2ELNS1_3repE0EEENS1_38merge_mergepath_config_static_selectorELNS0_4arch9wavefront6targetE1EEEvSD_, .Lfunc_end340-_ZN7rocprim17ROCPRIM_400000_NS6detail17trampoline_kernelINS0_14default_configENS1_38merge_sort_block_merge_config_selectorIiiEEZZNS1_27merge_sort_block_merge_implIS3_PiS7_jNS1_19radix_merge_compareILb0ELb1EiNS0_19identity_decomposerEEEEE10hipError_tT0_T1_T2_jT3_P12ihipStream_tbPNSt15iterator_traitsISC_E10value_typeEPNSI_ISD_E10value_typeEPSE_NS1_7vsmem_tEENKUlT_SC_SD_SE_E_clIS7_S7_S7_S7_EESB_SR_SC_SD_SE_EUlSR_E0_NS1_11comp_targetILNS1_3genE8ELNS1_11target_archE1030ELNS1_3gpuE2ELNS1_3repE0EEENS1_38merge_mergepath_config_static_selectorELNS0_4arch9wavefront6targetE1EEEvSD_
                                        ; -- End function
	.section	.AMDGPU.csdata,"",@progbits
; Kernel info:
; codeLenInByte = 0
; NumSgprs: 4
; NumVgprs: 0
; NumAgprs: 0
; TotalNumVgprs: 0
; ScratchSize: 0
; MemoryBound: 0
; FloatMode: 240
; IeeeMode: 1
; LDSByteSize: 0 bytes/workgroup (compile time only)
; SGPRBlocks: 0
; VGPRBlocks: 0
; NumSGPRsForWavesPerEU: 4
; NumVGPRsForWavesPerEU: 1
; AccumOffset: 4
; Occupancy: 8
; WaveLimiterHint : 0
; COMPUTE_PGM_RSRC2:SCRATCH_EN: 0
; COMPUTE_PGM_RSRC2:USER_SGPR: 6
; COMPUTE_PGM_RSRC2:TRAP_HANDLER: 0
; COMPUTE_PGM_RSRC2:TGID_X_EN: 1
; COMPUTE_PGM_RSRC2:TGID_Y_EN: 0
; COMPUTE_PGM_RSRC2:TGID_Z_EN: 0
; COMPUTE_PGM_RSRC2:TIDIG_COMP_CNT: 0
; COMPUTE_PGM_RSRC3_GFX90A:ACCUM_OFFSET: 0
; COMPUTE_PGM_RSRC3_GFX90A:TG_SPLIT: 0
	.section	.text._ZN7rocprim17ROCPRIM_400000_NS6detail17trampoline_kernelINS0_14default_configENS1_38merge_sort_block_merge_config_selectorIiiEEZZNS1_27merge_sort_block_merge_implIS3_PiS7_jNS1_19radix_merge_compareILb0ELb1EiNS0_19identity_decomposerEEEEE10hipError_tT0_T1_T2_jT3_P12ihipStream_tbPNSt15iterator_traitsISC_E10value_typeEPNSI_ISD_E10value_typeEPSE_NS1_7vsmem_tEENKUlT_SC_SD_SE_E_clIS7_S7_S7_S7_EESB_SR_SC_SD_SE_EUlSR_E1_NS1_11comp_targetILNS1_3genE0ELNS1_11target_archE4294967295ELNS1_3gpuE0ELNS1_3repE0EEENS1_36merge_oddeven_config_static_selectorELNS0_4arch9wavefront6targetE1EEEvSD_,"axG",@progbits,_ZN7rocprim17ROCPRIM_400000_NS6detail17trampoline_kernelINS0_14default_configENS1_38merge_sort_block_merge_config_selectorIiiEEZZNS1_27merge_sort_block_merge_implIS3_PiS7_jNS1_19radix_merge_compareILb0ELb1EiNS0_19identity_decomposerEEEEE10hipError_tT0_T1_T2_jT3_P12ihipStream_tbPNSt15iterator_traitsISC_E10value_typeEPNSI_ISD_E10value_typeEPSE_NS1_7vsmem_tEENKUlT_SC_SD_SE_E_clIS7_S7_S7_S7_EESB_SR_SC_SD_SE_EUlSR_E1_NS1_11comp_targetILNS1_3genE0ELNS1_11target_archE4294967295ELNS1_3gpuE0ELNS1_3repE0EEENS1_36merge_oddeven_config_static_selectorELNS0_4arch9wavefront6targetE1EEEvSD_,comdat
	.protected	_ZN7rocprim17ROCPRIM_400000_NS6detail17trampoline_kernelINS0_14default_configENS1_38merge_sort_block_merge_config_selectorIiiEEZZNS1_27merge_sort_block_merge_implIS3_PiS7_jNS1_19radix_merge_compareILb0ELb1EiNS0_19identity_decomposerEEEEE10hipError_tT0_T1_T2_jT3_P12ihipStream_tbPNSt15iterator_traitsISC_E10value_typeEPNSI_ISD_E10value_typeEPSE_NS1_7vsmem_tEENKUlT_SC_SD_SE_E_clIS7_S7_S7_S7_EESB_SR_SC_SD_SE_EUlSR_E1_NS1_11comp_targetILNS1_3genE0ELNS1_11target_archE4294967295ELNS1_3gpuE0ELNS1_3repE0EEENS1_36merge_oddeven_config_static_selectorELNS0_4arch9wavefront6targetE1EEEvSD_ ; -- Begin function _ZN7rocprim17ROCPRIM_400000_NS6detail17trampoline_kernelINS0_14default_configENS1_38merge_sort_block_merge_config_selectorIiiEEZZNS1_27merge_sort_block_merge_implIS3_PiS7_jNS1_19radix_merge_compareILb0ELb1EiNS0_19identity_decomposerEEEEE10hipError_tT0_T1_T2_jT3_P12ihipStream_tbPNSt15iterator_traitsISC_E10value_typeEPNSI_ISD_E10value_typeEPSE_NS1_7vsmem_tEENKUlT_SC_SD_SE_E_clIS7_S7_S7_S7_EESB_SR_SC_SD_SE_EUlSR_E1_NS1_11comp_targetILNS1_3genE0ELNS1_11target_archE4294967295ELNS1_3gpuE0ELNS1_3repE0EEENS1_36merge_oddeven_config_static_selectorELNS0_4arch9wavefront6targetE1EEEvSD_
	.globl	_ZN7rocprim17ROCPRIM_400000_NS6detail17trampoline_kernelINS0_14default_configENS1_38merge_sort_block_merge_config_selectorIiiEEZZNS1_27merge_sort_block_merge_implIS3_PiS7_jNS1_19radix_merge_compareILb0ELb1EiNS0_19identity_decomposerEEEEE10hipError_tT0_T1_T2_jT3_P12ihipStream_tbPNSt15iterator_traitsISC_E10value_typeEPNSI_ISD_E10value_typeEPSE_NS1_7vsmem_tEENKUlT_SC_SD_SE_E_clIS7_S7_S7_S7_EESB_SR_SC_SD_SE_EUlSR_E1_NS1_11comp_targetILNS1_3genE0ELNS1_11target_archE4294967295ELNS1_3gpuE0ELNS1_3repE0EEENS1_36merge_oddeven_config_static_selectorELNS0_4arch9wavefront6targetE1EEEvSD_
	.p2align	8
	.type	_ZN7rocprim17ROCPRIM_400000_NS6detail17trampoline_kernelINS0_14default_configENS1_38merge_sort_block_merge_config_selectorIiiEEZZNS1_27merge_sort_block_merge_implIS3_PiS7_jNS1_19radix_merge_compareILb0ELb1EiNS0_19identity_decomposerEEEEE10hipError_tT0_T1_T2_jT3_P12ihipStream_tbPNSt15iterator_traitsISC_E10value_typeEPNSI_ISD_E10value_typeEPSE_NS1_7vsmem_tEENKUlT_SC_SD_SE_E_clIS7_S7_S7_S7_EESB_SR_SC_SD_SE_EUlSR_E1_NS1_11comp_targetILNS1_3genE0ELNS1_11target_archE4294967295ELNS1_3gpuE0ELNS1_3repE0EEENS1_36merge_oddeven_config_static_selectorELNS0_4arch9wavefront6targetE1EEEvSD_,@function
_ZN7rocprim17ROCPRIM_400000_NS6detail17trampoline_kernelINS0_14default_configENS1_38merge_sort_block_merge_config_selectorIiiEEZZNS1_27merge_sort_block_merge_implIS3_PiS7_jNS1_19radix_merge_compareILb0ELb1EiNS0_19identity_decomposerEEEEE10hipError_tT0_T1_T2_jT3_P12ihipStream_tbPNSt15iterator_traitsISC_E10value_typeEPNSI_ISD_E10value_typeEPSE_NS1_7vsmem_tEENKUlT_SC_SD_SE_E_clIS7_S7_S7_S7_EESB_SR_SC_SD_SE_EUlSR_E1_NS1_11comp_targetILNS1_3genE0ELNS1_11target_archE4294967295ELNS1_3gpuE0ELNS1_3repE0EEENS1_36merge_oddeven_config_static_selectorELNS0_4arch9wavefront6targetE1EEEvSD_: ; @_ZN7rocprim17ROCPRIM_400000_NS6detail17trampoline_kernelINS0_14default_configENS1_38merge_sort_block_merge_config_selectorIiiEEZZNS1_27merge_sort_block_merge_implIS3_PiS7_jNS1_19radix_merge_compareILb0ELb1EiNS0_19identity_decomposerEEEEE10hipError_tT0_T1_T2_jT3_P12ihipStream_tbPNSt15iterator_traitsISC_E10value_typeEPNSI_ISD_E10value_typeEPSE_NS1_7vsmem_tEENKUlT_SC_SD_SE_E_clIS7_S7_S7_S7_EESB_SR_SC_SD_SE_EUlSR_E1_NS1_11comp_targetILNS1_3genE0ELNS1_11target_archE4294967295ELNS1_3gpuE0ELNS1_3repE0EEENS1_36merge_oddeven_config_static_selectorELNS0_4arch9wavefront6targetE1EEEvSD_
; %bb.0:
	.section	.rodata,"a",@progbits
	.p2align	6, 0x0
	.amdhsa_kernel _ZN7rocprim17ROCPRIM_400000_NS6detail17trampoline_kernelINS0_14default_configENS1_38merge_sort_block_merge_config_selectorIiiEEZZNS1_27merge_sort_block_merge_implIS3_PiS7_jNS1_19radix_merge_compareILb0ELb1EiNS0_19identity_decomposerEEEEE10hipError_tT0_T1_T2_jT3_P12ihipStream_tbPNSt15iterator_traitsISC_E10value_typeEPNSI_ISD_E10value_typeEPSE_NS1_7vsmem_tEENKUlT_SC_SD_SE_E_clIS7_S7_S7_S7_EESB_SR_SC_SD_SE_EUlSR_E1_NS1_11comp_targetILNS1_3genE0ELNS1_11target_archE4294967295ELNS1_3gpuE0ELNS1_3repE0EEENS1_36merge_oddeven_config_static_selectorELNS0_4arch9wavefront6targetE1EEEvSD_
		.amdhsa_group_segment_fixed_size 0
		.amdhsa_private_segment_fixed_size 0
		.amdhsa_kernarg_size 48
		.amdhsa_user_sgpr_count 6
		.amdhsa_user_sgpr_private_segment_buffer 1
		.amdhsa_user_sgpr_dispatch_ptr 0
		.amdhsa_user_sgpr_queue_ptr 0
		.amdhsa_user_sgpr_kernarg_segment_ptr 1
		.amdhsa_user_sgpr_dispatch_id 0
		.amdhsa_user_sgpr_flat_scratch_init 0
		.amdhsa_user_sgpr_kernarg_preload_length 0
		.amdhsa_user_sgpr_kernarg_preload_offset 0
		.amdhsa_user_sgpr_private_segment_size 0
		.amdhsa_uses_dynamic_stack 0
		.amdhsa_system_sgpr_private_segment_wavefront_offset 0
		.amdhsa_system_sgpr_workgroup_id_x 1
		.amdhsa_system_sgpr_workgroup_id_y 0
		.amdhsa_system_sgpr_workgroup_id_z 0
		.amdhsa_system_sgpr_workgroup_info 0
		.amdhsa_system_vgpr_workitem_id 0
		.amdhsa_next_free_vgpr 1
		.amdhsa_next_free_sgpr 0
		.amdhsa_accum_offset 4
		.amdhsa_reserve_vcc 0
		.amdhsa_reserve_flat_scratch 0
		.amdhsa_float_round_mode_32 0
		.amdhsa_float_round_mode_16_64 0
		.amdhsa_float_denorm_mode_32 3
		.amdhsa_float_denorm_mode_16_64 3
		.amdhsa_dx10_clamp 1
		.amdhsa_ieee_mode 1
		.amdhsa_fp16_overflow 0
		.amdhsa_tg_split 0
		.amdhsa_exception_fp_ieee_invalid_op 0
		.amdhsa_exception_fp_denorm_src 0
		.amdhsa_exception_fp_ieee_div_zero 0
		.amdhsa_exception_fp_ieee_overflow 0
		.amdhsa_exception_fp_ieee_underflow 0
		.amdhsa_exception_fp_ieee_inexact 0
		.amdhsa_exception_int_div_zero 0
	.end_amdhsa_kernel
	.section	.text._ZN7rocprim17ROCPRIM_400000_NS6detail17trampoline_kernelINS0_14default_configENS1_38merge_sort_block_merge_config_selectorIiiEEZZNS1_27merge_sort_block_merge_implIS3_PiS7_jNS1_19radix_merge_compareILb0ELb1EiNS0_19identity_decomposerEEEEE10hipError_tT0_T1_T2_jT3_P12ihipStream_tbPNSt15iterator_traitsISC_E10value_typeEPNSI_ISD_E10value_typeEPSE_NS1_7vsmem_tEENKUlT_SC_SD_SE_E_clIS7_S7_S7_S7_EESB_SR_SC_SD_SE_EUlSR_E1_NS1_11comp_targetILNS1_3genE0ELNS1_11target_archE4294967295ELNS1_3gpuE0ELNS1_3repE0EEENS1_36merge_oddeven_config_static_selectorELNS0_4arch9wavefront6targetE1EEEvSD_,"axG",@progbits,_ZN7rocprim17ROCPRIM_400000_NS6detail17trampoline_kernelINS0_14default_configENS1_38merge_sort_block_merge_config_selectorIiiEEZZNS1_27merge_sort_block_merge_implIS3_PiS7_jNS1_19radix_merge_compareILb0ELb1EiNS0_19identity_decomposerEEEEE10hipError_tT0_T1_T2_jT3_P12ihipStream_tbPNSt15iterator_traitsISC_E10value_typeEPNSI_ISD_E10value_typeEPSE_NS1_7vsmem_tEENKUlT_SC_SD_SE_E_clIS7_S7_S7_S7_EESB_SR_SC_SD_SE_EUlSR_E1_NS1_11comp_targetILNS1_3genE0ELNS1_11target_archE4294967295ELNS1_3gpuE0ELNS1_3repE0EEENS1_36merge_oddeven_config_static_selectorELNS0_4arch9wavefront6targetE1EEEvSD_,comdat
.Lfunc_end341:
	.size	_ZN7rocprim17ROCPRIM_400000_NS6detail17trampoline_kernelINS0_14default_configENS1_38merge_sort_block_merge_config_selectorIiiEEZZNS1_27merge_sort_block_merge_implIS3_PiS7_jNS1_19radix_merge_compareILb0ELb1EiNS0_19identity_decomposerEEEEE10hipError_tT0_T1_T2_jT3_P12ihipStream_tbPNSt15iterator_traitsISC_E10value_typeEPNSI_ISD_E10value_typeEPSE_NS1_7vsmem_tEENKUlT_SC_SD_SE_E_clIS7_S7_S7_S7_EESB_SR_SC_SD_SE_EUlSR_E1_NS1_11comp_targetILNS1_3genE0ELNS1_11target_archE4294967295ELNS1_3gpuE0ELNS1_3repE0EEENS1_36merge_oddeven_config_static_selectorELNS0_4arch9wavefront6targetE1EEEvSD_, .Lfunc_end341-_ZN7rocprim17ROCPRIM_400000_NS6detail17trampoline_kernelINS0_14default_configENS1_38merge_sort_block_merge_config_selectorIiiEEZZNS1_27merge_sort_block_merge_implIS3_PiS7_jNS1_19radix_merge_compareILb0ELb1EiNS0_19identity_decomposerEEEEE10hipError_tT0_T1_T2_jT3_P12ihipStream_tbPNSt15iterator_traitsISC_E10value_typeEPNSI_ISD_E10value_typeEPSE_NS1_7vsmem_tEENKUlT_SC_SD_SE_E_clIS7_S7_S7_S7_EESB_SR_SC_SD_SE_EUlSR_E1_NS1_11comp_targetILNS1_3genE0ELNS1_11target_archE4294967295ELNS1_3gpuE0ELNS1_3repE0EEENS1_36merge_oddeven_config_static_selectorELNS0_4arch9wavefront6targetE1EEEvSD_
                                        ; -- End function
	.section	.AMDGPU.csdata,"",@progbits
; Kernel info:
; codeLenInByte = 0
; NumSgprs: 4
; NumVgprs: 0
; NumAgprs: 0
; TotalNumVgprs: 0
; ScratchSize: 0
; MemoryBound: 0
; FloatMode: 240
; IeeeMode: 1
; LDSByteSize: 0 bytes/workgroup (compile time only)
; SGPRBlocks: 0
; VGPRBlocks: 0
; NumSGPRsForWavesPerEU: 4
; NumVGPRsForWavesPerEU: 1
; AccumOffset: 4
; Occupancy: 8
; WaveLimiterHint : 0
; COMPUTE_PGM_RSRC2:SCRATCH_EN: 0
; COMPUTE_PGM_RSRC2:USER_SGPR: 6
; COMPUTE_PGM_RSRC2:TRAP_HANDLER: 0
; COMPUTE_PGM_RSRC2:TGID_X_EN: 1
; COMPUTE_PGM_RSRC2:TGID_Y_EN: 0
; COMPUTE_PGM_RSRC2:TGID_Z_EN: 0
; COMPUTE_PGM_RSRC2:TIDIG_COMP_CNT: 0
; COMPUTE_PGM_RSRC3_GFX90A:ACCUM_OFFSET: 0
; COMPUTE_PGM_RSRC3_GFX90A:TG_SPLIT: 0
	.section	.text._ZN7rocprim17ROCPRIM_400000_NS6detail17trampoline_kernelINS0_14default_configENS1_38merge_sort_block_merge_config_selectorIiiEEZZNS1_27merge_sort_block_merge_implIS3_PiS7_jNS1_19radix_merge_compareILb0ELb1EiNS0_19identity_decomposerEEEEE10hipError_tT0_T1_T2_jT3_P12ihipStream_tbPNSt15iterator_traitsISC_E10value_typeEPNSI_ISD_E10value_typeEPSE_NS1_7vsmem_tEENKUlT_SC_SD_SE_E_clIS7_S7_S7_S7_EESB_SR_SC_SD_SE_EUlSR_E1_NS1_11comp_targetILNS1_3genE10ELNS1_11target_archE1201ELNS1_3gpuE5ELNS1_3repE0EEENS1_36merge_oddeven_config_static_selectorELNS0_4arch9wavefront6targetE1EEEvSD_,"axG",@progbits,_ZN7rocprim17ROCPRIM_400000_NS6detail17trampoline_kernelINS0_14default_configENS1_38merge_sort_block_merge_config_selectorIiiEEZZNS1_27merge_sort_block_merge_implIS3_PiS7_jNS1_19radix_merge_compareILb0ELb1EiNS0_19identity_decomposerEEEEE10hipError_tT0_T1_T2_jT3_P12ihipStream_tbPNSt15iterator_traitsISC_E10value_typeEPNSI_ISD_E10value_typeEPSE_NS1_7vsmem_tEENKUlT_SC_SD_SE_E_clIS7_S7_S7_S7_EESB_SR_SC_SD_SE_EUlSR_E1_NS1_11comp_targetILNS1_3genE10ELNS1_11target_archE1201ELNS1_3gpuE5ELNS1_3repE0EEENS1_36merge_oddeven_config_static_selectorELNS0_4arch9wavefront6targetE1EEEvSD_,comdat
	.protected	_ZN7rocprim17ROCPRIM_400000_NS6detail17trampoline_kernelINS0_14default_configENS1_38merge_sort_block_merge_config_selectorIiiEEZZNS1_27merge_sort_block_merge_implIS3_PiS7_jNS1_19radix_merge_compareILb0ELb1EiNS0_19identity_decomposerEEEEE10hipError_tT0_T1_T2_jT3_P12ihipStream_tbPNSt15iterator_traitsISC_E10value_typeEPNSI_ISD_E10value_typeEPSE_NS1_7vsmem_tEENKUlT_SC_SD_SE_E_clIS7_S7_S7_S7_EESB_SR_SC_SD_SE_EUlSR_E1_NS1_11comp_targetILNS1_3genE10ELNS1_11target_archE1201ELNS1_3gpuE5ELNS1_3repE0EEENS1_36merge_oddeven_config_static_selectorELNS0_4arch9wavefront6targetE1EEEvSD_ ; -- Begin function _ZN7rocprim17ROCPRIM_400000_NS6detail17trampoline_kernelINS0_14default_configENS1_38merge_sort_block_merge_config_selectorIiiEEZZNS1_27merge_sort_block_merge_implIS3_PiS7_jNS1_19radix_merge_compareILb0ELb1EiNS0_19identity_decomposerEEEEE10hipError_tT0_T1_T2_jT3_P12ihipStream_tbPNSt15iterator_traitsISC_E10value_typeEPNSI_ISD_E10value_typeEPSE_NS1_7vsmem_tEENKUlT_SC_SD_SE_E_clIS7_S7_S7_S7_EESB_SR_SC_SD_SE_EUlSR_E1_NS1_11comp_targetILNS1_3genE10ELNS1_11target_archE1201ELNS1_3gpuE5ELNS1_3repE0EEENS1_36merge_oddeven_config_static_selectorELNS0_4arch9wavefront6targetE1EEEvSD_
	.globl	_ZN7rocprim17ROCPRIM_400000_NS6detail17trampoline_kernelINS0_14default_configENS1_38merge_sort_block_merge_config_selectorIiiEEZZNS1_27merge_sort_block_merge_implIS3_PiS7_jNS1_19radix_merge_compareILb0ELb1EiNS0_19identity_decomposerEEEEE10hipError_tT0_T1_T2_jT3_P12ihipStream_tbPNSt15iterator_traitsISC_E10value_typeEPNSI_ISD_E10value_typeEPSE_NS1_7vsmem_tEENKUlT_SC_SD_SE_E_clIS7_S7_S7_S7_EESB_SR_SC_SD_SE_EUlSR_E1_NS1_11comp_targetILNS1_3genE10ELNS1_11target_archE1201ELNS1_3gpuE5ELNS1_3repE0EEENS1_36merge_oddeven_config_static_selectorELNS0_4arch9wavefront6targetE1EEEvSD_
	.p2align	8
	.type	_ZN7rocprim17ROCPRIM_400000_NS6detail17trampoline_kernelINS0_14default_configENS1_38merge_sort_block_merge_config_selectorIiiEEZZNS1_27merge_sort_block_merge_implIS3_PiS7_jNS1_19radix_merge_compareILb0ELb1EiNS0_19identity_decomposerEEEEE10hipError_tT0_T1_T2_jT3_P12ihipStream_tbPNSt15iterator_traitsISC_E10value_typeEPNSI_ISD_E10value_typeEPSE_NS1_7vsmem_tEENKUlT_SC_SD_SE_E_clIS7_S7_S7_S7_EESB_SR_SC_SD_SE_EUlSR_E1_NS1_11comp_targetILNS1_3genE10ELNS1_11target_archE1201ELNS1_3gpuE5ELNS1_3repE0EEENS1_36merge_oddeven_config_static_selectorELNS0_4arch9wavefront6targetE1EEEvSD_,@function
_ZN7rocprim17ROCPRIM_400000_NS6detail17trampoline_kernelINS0_14default_configENS1_38merge_sort_block_merge_config_selectorIiiEEZZNS1_27merge_sort_block_merge_implIS3_PiS7_jNS1_19radix_merge_compareILb0ELb1EiNS0_19identity_decomposerEEEEE10hipError_tT0_T1_T2_jT3_P12ihipStream_tbPNSt15iterator_traitsISC_E10value_typeEPNSI_ISD_E10value_typeEPSE_NS1_7vsmem_tEENKUlT_SC_SD_SE_E_clIS7_S7_S7_S7_EESB_SR_SC_SD_SE_EUlSR_E1_NS1_11comp_targetILNS1_3genE10ELNS1_11target_archE1201ELNS1_3gpuE5ELNS1_3repE0EEENS1_36merge_oddeven_config_static_selectorELNS0_4arch9wavefront6targetE1EEEvSD_: ; @_ZN7rocprim17ROCPRIM_400000_NS6detail17trampoline_kernelINS0_14default_configENS1_38merge_sort_block_merge_config_selectorIiiEEZZNS1_27merge_sort_block_merge_implIS3_PiS7_jNS1_19radix_merge_compareILb0ELb1EiNS0_19identity_decomposerEEEEE10hipError_tT0_T1_T2_jT3_P12ihipStream_tbPNSt15iterator_traitsISC_E10value_typeEPNSI_ISD_E10value_typeEPSE_NS1_7vsmem_tEENKUlT_SC_SD_SE_E_clIS7_S7_S7_S7_EESB_SR_SC_SD_SE_EUlSR_E1_NS1_11comp_targetILNS1_3genE10ELNS1_11target_archE1201ELNS1_3gpuE5ELNS1_3repE0EEENS1_36merge_oddeven_config_static_selectorELNS0_4arch9wavefront6targetE1EEEvSD_
; %bb.0:
	.section	.rodata,"a",@progbits
	.p2align	6, 0x0
	.amdhsa_kernel _ZN7rocprim17ROCPRIM_400000_NS6detail17trampoline_kernelINS0_14default_configENS1_38merge_sort_block_merge_config_selectorIiiEEZZNS1_27merge_sort_block_merge_implIS3_PiS7_jNS1_19radix_merge_compareILb0ELb1EiNS0_19identity_decomposerEEEEE10hipError_tT0_T1_T2_jT3_P12ihipStream_tbPNSt15iterator_traitsISC_E10value_typeEPNSI_ISD_E10value_typeEPSE_NS1_7vsmem_tEENKUlT_SC_SD_SE_E_clIS7_S7_S7_S7_EESB_SR_SC_SD_SE_EUlSR_E1_NS1_11comp_targetILNS1_3genE10ELNS1_11target_archE1201ELNS1_3gpuE5ELNS1_3repE0EEENS1_36merge_oddeven_config_static_selectorELNS0_4arch9wavefront6targetE1EEEvSD_
		.amdhsa_group_segment_fixed_size 0
		.amdhsa_private_segment_fixed_size 0
		.amdhsa_kernarg_size 48
		.amdhsa_user_sgpr_count 6
		.amdhsa_user_sgpr_private_segment_buffer 1
		.amdhsa_user_sgpr_dispatch_ptr 0
		.amdhsa_user_sgpr_queue_ptr 0
		.amdhsa_user_sgpr_kernarg_segment_ptr 1
		.amdhsa_user_sgpr_dispatch_id 0
		.amdhsa_user_sgpr_flat_scratch_init 0
		.amdhsa_user_sgpr_kernarg_preload_length 0
		.amdhsa_user_sgpr_kernarg_preload_offset 0
		.amdhsa_user_sgpr_private_segment_size 0
		.amdhsa_uses_dynamic_stack 0
		.amdhsa_system_sgpr_private_segment_wavefront_offset 0
		.amdhsa_system_sgpr_workgroup_id_x 1
		.amdhsa_system_sgpr_workgroup_id_y 0
		.amdhsa_system_sgpr_workgroup_id_z 0
		.amdhsa_system_sgpr_workgroup_info 0
		.amdhsa_system_vgpr_workitem_id 0
		.amdhsa_next_free_vgpr 1
		.amdhsa_next_free_sgpr 0
		.amdhsa_accum_offset 4
		.amdhsa_reserve_vcc 0
		.amdhsa_reserve_flat_scratch 0
		.amdhsa_float_round_mode_32 0
		.amdhsa_float_round_mode_16_64 0
		.amdhsa_float_denorm_mode_32 3
		.amdhsa_float_denorm_mode_16_64 3
		.amdhsa_dx10_clamp 1
		.amdhsa_ieee_mode 1
		.amdhsa_fp16_overflow 0
		.amdhsa_tg_split 0
		.amdhsa_exception_fp_ieee_invalid_op 0
		.amdhsa_exception_fp_denorm_src 0
		.amdhsa_exception_fp_ieee_div_zero 0
		.amdhsa_exception_fp_ieee_overflow 0
		.amdhsa_exception_fp_ieee_underflow 0
		.amdhsa_exception_fp_ieee_inexact 0
		.amdhsa_exception_int_div_zero 0
	.end_amdhsa_kernel
	.section	.text._ZN7rocprim17ROCPRIM_400000_NS6detail17trampoline_kernelINS0_14default_configENS1_38merge_sort_block_merge_config_selectorIiiEEZZNS1_27merge_sort_block_merge_implIS3_PiS7_jNS1_19radix_merge_compareILb0ELb1EiNS0_19identity_decomposerEEEEE10hipError_tT0_T1_T2_jT3_P12ihipStream_tbPNSt15iterator_traitsISC_E10value_typeEPNSI_ISD_E10value_typeEPSE_NS1_7vsmem_tEENKUlT_SC_SD_SE_E_clIS7_S7_S7_S7_EESB_SR_SC_SD_SE_EUlSR_E1_NS1_11comp_targetILNS1_3genE10ELNS1_11target_archE1201ELNS1_3gpuE5ELNS1_3repE0EEENS1_36merge_oddeven_config_static_selectorELNS0_4arch9wavefront6targetE1EEEvSD_,"axG",@progbits,_ZN7rocprim17ROCPRIM_400000_NS6detail17trampoline_kernelINS0_14default_configENS1_38merge_sort_block_merge_config_selectorIiiEEZZNS1_27merge_sort_block_merge_implIS3_PiS7_jNS1_19radix_merge_compareILb0ELb1EiNS0_19identity_decomposerEEEEE10hipError_tT0_T1_T2_jT3_P12ihipStream_tbPNSt15iterator_traitsISC_E10value_typeEPNSI_ISD_E10value_typeEPSE_NS1_7vsmem_tEENKUlT_SC_SD_SE_E_clIS7_S7_S7_S7_EESB_SR_SC_SD_SE_EUlSR_E1_NS1_11comp_targetILNS1_3genE10ELNS1_11target_archE1201ELNS1_3gpuE5ELNS1_3repE0EEENS1_36merge_oddeven_config_static_selectorELNS0_4arch9wavefront6targetE1EEEvSD_,comdat
.Lfunc_end342:
	.size	_ZN7rocprim17ROCPRIM_400000_NS6detail17trampoline_kernelINS0_14default_configENS1_38merge_sort_block_merge_config_selectorIiiEEZZNS1_27merge_sort_block_merge_implIS3_PiS7_jNS1_19radix_merge_compareILb0ELb1EiNS0_19identity_decomposerEEEEE10hipError_tT0_T1_T2_jT3_P12ihipStream_tbPNSt15iterator_traitsISC_E10value_typeEPNSI_ISD_E10value_typeEPSE_NS1_7vsmem_tEENKUlT_SC_SD_SE_E_clIS7_S7_S7_S7_EESB_SR_SC_SD_SE_EUlSR_E1_NS1_11comp_targetILNS1_3genE10ELNS1_11target_archE1201ELNS1_3gpuE5ELNS1_3repE0EEENS1_36merge_oddeven_config_static_selectorELNS0_4arch9wavefront6targetE1EEEvSD_, .Lfunc_end342-_ZN7rocprim17ROCPRIM_400000_NS6detail17trampoline_kernelINS0_14default_configENS1_38merge_sort_block_merge_config_selectorIiiEEZZNS1_27merge_sort_block_merge_implIS3_PiS7_jNS1_19radix_merge_compareILb0ELb1EiNS0_19identity_decomposerEEEEE10hipError_tT0_T1_T2_jT3_P12ihipStream_tbPNSt15iterator_traitsISC_E10value_typeEPNSI_ISD_E10value_typeEPSE_NS1_7vsmem_tEENKUlT_SC_SD_SE_E_clIS7_S7_S7_S7_EESB_SR_SC_SD_SE_EUlSR_E1_NS1_11comp_targetILNS1_3genE10ELNS1_11target_archE1201ELNS1_3gpuE5ELNS1_3repE0EEENS1_36merge_oddeven_config_static_selectorELNS0_4arch9wavefront6targetE1EEEvSD_
                                        ; -- End function
	.section	.AMDGPU.csdata,"",@progbits
; Kernel info:
; codeLenInByte = 0
; NumSgprs: 4
; NumVgprs: 0
; NumAgprs: 0
; TotalNumVgprs: 0
; ScratchSize: 0
; MemoryBound: 0
; FloatMode: 240
; IeeeMode: 1
; LDSByteSize: 0 bytes/workgroup (compile time only)
; SGPRBlocks: 0
; VGPRBlocks: 0
; NumSGPRsForWavesPerEU: 4
; NumVGPRsForWavesPerEU: 1
; AccumOffset: 4
; Occupancy: 8
; WaveLimiterHint : 0
; COMPUTE_PGM_RSRC2:SCRATCH_EN: 0
; COMPUTE_PGM_RSRC2:USER_SGPR: 6
; COMPUTE_PGM_RSRC2:TRAP_HANDLER: 0
; COMPUTE_PGM_RSRC2:TGID_X_EN: 1
; COMPUTE_PGM_RSRC2:TGID_Y_EN: 0
; COMPUTE_PGM_RSRC2:TGID_Z_EN: 0
; COMPUTE_PGM_RSRC2:TIDIG_COMP_CNT: 0
; COMPUTE_PGM_RSRC3_GFX90A:ACCUM_OFFSET: 0
; COMPUTE_PGM_RSRC3_GFX90A:TG_SPLIT: 0
	.section	.text._ZN7rocprim17ROCPRIM_400000_NS6detail17trampoline_kernelINS0_14default_configENS1_38merge_sort_block_merge_config_selectorIiiEEZZNS1_27merge_sort_block_merge_implIS3_PiS7_jNS1_19radix_merge_compareILb0ELb1EiNS0_19identity_decomposerEEEEE10hipError_tT0_T1_T2_jT3_P12ihipStream_tbPNSt15iterator_traitsISC_E10value_typeEPNSI_ISD_E10value_typeEPSE_NS1_7vsmem_tEENKUlT_SC_SD_SE_E_clIS7_S7_S7_S7_EESB_SR_SC_SD_SE_EUlSR_E1_NS1_11comp_targetILNS1_3genE5ELNS1_11target_archE942ELNS1_3gpuE9ELNS1_3repE0EEENS1_36merge_oddeven_config_static_selectorELNS0_4arch9wavefront6targetE1EEEvSD_,"axG",@progbits,_ZN7rocprim17ROCPRIM_400000_NS6detail17trampoline_kernelINS0_14default_configENS1_38merge_sort_block_merge_config_selectorIiiEEZZNS1_27merge_sort_block_merge_implIS3_PiS7_jNS1_19radix_merge_compareILb0ELb1EiNS0_19identity_decomposerEEEEE10hipError_tT0_T1_T2_jT3_P12ihipStream_tbPNSt15iterator_traitsISC_E10value_typeEPNSI_ISD_E10value_typeEPSE_NS1_7vsmem_tEENKUlT_SC_SD_SE_E_clIS7_S7_S7_S7_EESB_SR_SC_SD_SE_EUlSR_E1_NS1_11comp_targetILNS1_3genE5ELNS1_11target_archE942ELNS1_3gpuE9ELNS1_3repE0EEENS1_36merge_oddeven_config_static_selectorELNS0_4arch9wavefront6targetE1EEEvSD_,comdat
	.protected	_ZN7rocprim17ROCPRIM_400000_NS6detail17trampoline_kernelINS0_14default_configENS1_38merge_sort_block_merge_config_selectorIiiEEZZNS1_27merge_sort_block_merge_implIS3_PiS7_jNS1_19radix_merge_compareILb0ELb1EiNS0_19identity_decomposerEEEEE10hipError_tT0_T1_T2_jT3_P12ihipStream_tbPNSt15iterator_traitsISC_E10value_typeEPNSI_ISD_E10value_typeEPSE_NS1_7vsmem_tEENKUlT_SC_SD_SE_E_clIS7_S7_S7_S7_EESB_SR_SC_SD_SE_EUlSR_E1_NS1_11comp_targetILNS1_3genE5ELNS1_11target_archE942ELNS1_3gpuE9ELNS1_3repE0EEENS1_36merge_oddeven_config_static_selectorELNS0_4arch9wavefront6targetE1EEEvSD_ ; -- Begin function _ZN7rocprim17ROCPRIM_400000_NS6detail17trampoline_kernelINS0_14default_configENS1_38merge_sort_block_merge_config_selectorIiiEEZZNS1_27merge_sort_block_merge_implIS3_PiS7_jNS1_19radix_merge_compareILb0ELb1EiNS0_19identity_decomposerEEEEE10hipError_tT0_T1_T2_jT3_P12ihipStream_tbPNSt15iterator_traitsISC_E10value_typeEPNSI_ISD_E10value_typeEPSE_NS1_7vsmem_tEENKUlT_SC_SD_SE_E_clIS7_S7_S7_S7_EESB_SR_SC_SD_SE_EUlSR_E1_NS1_11comp_targetILNS1_3genE5ELNS1_11target_archE942ELNS1_3gpuE9ELNS1_3repE0EEENS1_36merge_oddeven_config_static_selectorELNS0_4arch9wavefront6targetE1EEEvSD_
	.globl	_ZN7rocprim17ROCPRIM_400000_NS6detail17trampoline_kernelINS0_14default_configENS1_38merge_sort_block_merge_config_selectorIiiEEZZNS1_27merge_sort_block_merge_implIS3_PiS7_jNS1_19radix_merge_compareILb0ELb1EiNS0_19identity_decomposerEEEEE10hipError_tT0_T1_T2_jT3_P12ihipStream_tbPNSt15iterator_traitsISC_E10value_typeEPNSI_ISD_E10value_typeEPSE_NS1_7vsmem_tEENKUlT_SC_SD_SE_E_clIS7_S7_S7_S7_EESB_SR_SC_SD_SE_EUlSR_E1_NS1_11comp_targetILNS1_3genE5ELNS1_11target_archE942ELNS1_3gpuE9ELNS1_3repE0EEENS1_36merge_oddeven_config_static_selectorELNS0_4arch9wavefront6targetE1EEEvSD_
	.p2align	8
	.type	_ZN7rocprim17ROCPRIM_400000_NS6detail17trampoline_kernelINS0_14default_configENS1_38merge_sort_block_merge_config_selectorIiiEEZZNS1_27merge_sort_block_merge_implIS3_PiS7_jNS1_19radix_merge_compareILb0ELb1EiNS0_19identity_decomposerEEEEE10hipError_tT0_T1_T2_jT3_P12ihipStream_tbPNSt15iterator_traitsISC_E10value_typeEPNSI_ISD_E10value_typeEPSE_NS1_7vsmem_tEENKUlT_SC_SD_SE_E_clIS7_S7_S7_S7_EESB_SR_SC_SD_SE_EUlSR_E1_NS1_11comp_targetILNS1_3genE5ELNS1_11target_archE942ELNS1_3gpuE9ELNS1_3repE0EEENS1_36merge_oddeven_config_static_selectorELNS0_4arch9wavefront6targetE1EEEvSD_,@function
_ZN7rocprim17ROCPRIM_400000_NS6detail17trampoline_kernelINS0_14default_configENS1_38merge_sort_block_merge_config_selectorIiiEEZZNS1_27merge_sort_block_merge_implIS3_PiS7_jNS1_19radix_merge_compareILb0ELb1EiNS0_19identity_decomposerEEEEE10hipError_tT0_T1_T2_jT3_P12ihipStream_tbPNSt15iterator_traitsISC_E10value_typeEPNSI_ISD_E10value_typeEPSE_NS1_7vsmem_tEENKUlT_SC_SD_SE_E_clIS7_S7_S7_S7_EESB_SR_SC_SD_SE_EUlSR_E1_NS1_11comp_targetILNS1_3genE5ELNS1_11target_archE942ELNS1_3gpuE9ELNS1_3repE0EEENS1_36merge_oddeven_config_static_selectorELNS0_4arch9wavefront6targetE1EEEvSD_: ; @_ZN7rocprim17ROCPRIM_400000_NS6detail17trampoline_kernelINS0_14default_configENS1_38merge_sort_block_merge_config_selectorIiiEEZZNS1_27merge_sort_block_merge_implIS3_PiS7_jNS1_19radix_merge_compareILb0ELb1EiNS0_19identity_decomposerEEEEE10hipError_tT0_T1_T2_jT3_P12ihipStream_tbPNSt15iterator_traitsISC_E10value_typeEPNSI_ISD_E10value_typeEPSE_NS1_7vsmem_tEENKUlT_SC_SD_SE_E_clIS7_S7_S7_S7_EESB_SR_SC_SD_SE_EUlSR_E1_NS1_11comp_targetILNS1_3genE5ELNS1_11target_archE942ELNS1_3gpuE9ELNS1_3repE0EEENS1_36merge_oddeven_config_static_selectorELNS0_4arch9wavefront6targetE1EEEvSD_
; %bb.0:
	.section	.rodata,"a",@progbits
	.p2align	6, 0x0
	.amdhsa_kernel _ZN7rocprim17ROCPRIM_400000_NS6detail17trampoline_kernelINS0_14default_configENS1_38merge_sort_block_merge_config_selectorIiiEEZZNS1_27merge_sort_block_merge_implIS3_PiS7_jNS1_19radix_merge_compareILb0ELb1EiNS0_19identity_decomposerEEEEE10hipError_tT0_T1_T2_jT3_P12ihipStream_tbPNSt15iterator_traitsISC_E10value_typeEPNSI_ISD_E10value_typeEPSE_NS1_7vsmem_tEENKUlT_SC_SD_SE_E_clIS7_S7_S7_S7_EESB_SR_SC_SD_SE_EUlSR_E1_NS1_11comp_targetILNS1_3genE5ELNS1_11target_archE942ELNS1_3gpuE9ELNS1_3repE0EEENS1_36merge_oddeven_config_static_selectorELNS0_4arch9wavefront6targetE1EEEvSD_
		.amdhsa_group_segment_fixed_size 0
		.amdhsa_private_segment_fixed_size 0
		.amdhsa_kernarg_size 48
		.amdhsa_user_sgpr_count 6
		.amdhsa_user_sgpr_private_segment_buffer 1
		.amdhsa_user_sgpr_dispatch_ptr 0
		.amdhsa_user_sgpr_queue_ptr 0
		.amdhsa_user_sgpr_kernarg_segment_ptr 1
		.amdhsa_user_sgpr_dispatch_id 0
		.amdhsa_user_sgpr_flat_scratch_init 0
		.amdhsa_user_sgpr_kernarg_preload_length 0
		.amdhsa_user_sgpr_kernarg_preload_offset 0
		.amdhsa_user_sgpr_private_segment_size 0
		.amdhsa_uses_dynamic_stack 0
		.amdhsa_system_sgpr_private_segment_wavefront_offset 0
		.amdhsa_system_sgpr_workgroup_id_x 1
		.amdhsa_system_sgpr_workgroup_id_y 0
		.amdhsa_system_sgpr_workgroup_id_z 0
		.amdhsa_system_sgpr_workgroup_info 0
		.amdhsa_system_vgpr_workitem_id 0
		.amdhsa_next_free_vgpr 1
		.amdhsa_next_free_sgpr 0
		.amdhsa_accum_offset 4
		.amdhsa_reserve_vcc 0
		.amdhsa_reserve_flat_scratch 0
		.amdhsa_float_round_mode_32 0
		.amdhsa_float_round_mode_16_64 0
		.amdhsa_float_denorm_mode_32 3
		.amdhsa_float_denorm_mode_16_64 3
		.amdhsa_dx10_clamp 1
		.amdhsa_ieee_mode 1
		.amdhsa_fp16_overflow 0
		.amdhsa_tg_split 0
		.amdhsa_exception_fp_ieee_invalid_op 0
		.amdhsa_exception_fp_denorm_src 0
		.amdhsa_exception_fp_ieee_div_zero 0
		.amdhsa_exception_fp_ieee_overflow 0
		.amdhsa_exception_fp_ieee_underflow 0
		.amdhsa_exception_fp_ieee_inexact 0
		.amdhsa_exception_int_div_zero 0
	.end_amdhsa_kernel
	.section	.text._ZN7rocprim17ROCPRIM_400000_NS6detail17trampoline_kernelINS0_14default_configENS1_38merge_sort_block_merge_config_selectorIiiEEZZNS1_27merge_sort_block_merge_implIS3_PiS7_jNS1_19radix_merge_compareILb0ELb1EiNS0_19identity_decomposerEEEEE10hipError_tT0_T1_T2_jT3_P12ihipStream_tbPNSt15iterator_traitsISC_E10value_typeEPNSI_ISD_E10value_typeEPSE_NS1_7vsmem_tEENKUlT_SC_SD_SE_E_clIS7_S7_S7_S7_EESB_SR_SC_SD_SE_EUlSR_E1_NS1_11comp_targetILNS1_3genE5ELNS1_11target_archE942ELNS1_3gpuE9ELNS1_3repE0EEENS1_36merge_oddeven_config_static_selectorELNS0_4arch9wavefront6targetE1EEEvSD_,"axG",@progbits,_ZN7rocprim17ROCPRIM_400000_NS6detail17trampoline_kernelINS0_14default_configENS1_38merge_sort_block_merge_config_selectorIiiEEZZNS1_27merge_sort_block_merge_implIS3_PiS7_jNS1_19radix_merge_compareILb0ELb1EiNS0_19identity_decomposerEEEEE10hipError_tT0_T1_T2_jT3_P12ihipStream_tbPNSt15iterator_traitsISC_E10value_typeEPNSI_ISD_E10value_typeEPSE_NS1_7vsmem_tEENKUlT_SC_SD_SE_E_clIS7_S7_S7_S7_EESB_SR_SC_SD_SE_EUlSR_E1_NS1_11comp_targetILNS1_3genE5ELNS1_11target_archE942ELNS1_3gpuE9ELNS1_3repE0EEENS1_36merge_oddeven_config_static_selectorELNS0_4arch9wavefront6targetE1EEEvSD_,comdat
.Lfunc_end343:
	.size	_ZN7rocprim17ROCPRIM_400000_NS6detail17trampoline_kernelINS0_14default_configENS1_38merge_sort_block_merge_config_selectorIiiEEZZNS1_27merge_sort_block_merge_implIS3_PiS7_jNS1_19radix_merge_compareILb0ELb1EiNS0_19identity_decomposerEEEEE10hipError_tT0_T1_T2_jT3_P12ihipStream_tbPNSt15iterator_traitsISC_E10value_typeEPNSI_ISD_E10value_typeEPSE_NS1_7vsmem_tEENKUlT_SC_SD_SE_E_clIS7_S7_S7_S7_EESB_SR_SC_SD_SE_EUlSR_E1_NS1_11comp_targetILNS1_3genE5ELNS1_11target_archE942ELNS1_3gpuE9ELNS1_3repE0EEENS1_36merge_oddeven_config_static_selectorELNS0_4arch9wavefront6targetE1EEEvSD_, .Lfunc_end343-_ZN7rocprim17ROCPRIM_400000_NS6detail17trampoline_kernelINS0_14default_configENS1_38merge_sort_block_merge_config_selectorIiiEEZZNS1_27merge_sort_block_merge_implIS3_PiS7_jNS1_19radix_merge_compareILb0ELb1EiNS0_19identity_decomposerEEEEE10hipError_tT0_T1_T2_jT3_P12ihipStream_tbPNSt15iterator_traitsISC_E10value_typeEPNSI_ISD_E10value_typeEPSE_NS1_7vsmem_tEENKUlT_SC_SD_SE_E_clIS7_S7_S7_S7_EESB_SR_SC_SD_SE_EUlSR_E1_NS1_11comp_targetILNS1_3genE5ELNS1_11target_archE942ELNS1_3gpuE9ELNS1_3repE0EEENS1_36merge_oddeven_config_static_selectorELNS0_4arch9wavefront6targetE1EEEvSD_
                                        ; -- End function
	.section	.AMDGPU.csdata,"",@progbits
; Kernel info:
; codeLenInByte = 0
; NumSgprs: 4
; NumVgprs: 0
; NumAgprs: 0
; TotalNumVgprs: 0
; ScratchSize: 0
; MemoryBound: 0
; FloatMode: 240
; IeeeMode: 1
; LDSByteSize: 0 bytes/workgroup (compile time only)
; SGPRBlocks: 0
; VGPRBlocks: 0
; NumSGPRsForWavesPerEU: 4
; NumVGPRsForWavesPerEU: 1
; AccumOffset: 4
; Occupancy: 8
; WaveLimiterHint : 0
; COMPUTE_PGM_RSRC2:SCRATCH_EN: 0
; COMPUTE_PGM_RSRC2:USER_SGPR: 6
; COMPUTE_PGM_RSRC2:TRAP_HANDLER: 0
; COMPUTE_PGM_RSRC2:TGID_X_EN: 1
; COMPUTE_PGM_RSRC2:TGID_Y_EN: 0
; COMPUTE_PGM_RSRC2:TGID_Z_EN: 0
; COMPUTE_PGM_RSRC2:TIDIG_COMP_CNT: 0
; COMPUTE_PGM_RSRC3_GFX90A:ACCUM_OFFSET: 0
; COMPUTE_PGM_RSRC3_GFX90A:TG_SPLIT: 0
	.section	.text._ZN7rocprim17ROCPRIM_400000_NS6detail17trampoline_kernelINS0_14default_configENS1_38merge_sort_block_merge_config_selectorIiiEEZZNS1_27merge_sort_block_merge_implIS3_PiS7_jNS1_19radix_merge_compareILb0ELb1EiNS0_19identity_decomposerEEEEE10hipError_tT0_T1_T2_jT3_P12ihipStream_tbPNSt15iterator_traitsISC_E10value_typeEPNSI_ISD_E10value_typeEPSE_NS1_7vsmem_tEENKUlT_SC_SD_SE_E_clIS7_S7_S7_S7_EESB_SR_SC_SD_SE_EUlSR_E1_NS1_11comp_targetILNS1_3genE4ELNS1_11target_archE910ELNS1_3gpuE8ELNS1_3repE0EEENS1_36merge_oddeven_config_static_selectorELNS0_4arch9wavefront6targetE1EEEvSD_,"axG",@progbits,_ZN7rocprim17ROCPRIM_400000_NS6detail17trampoline_kernelINS0_14default_configENS1_38merge_sort_block_merge_config_selectorIiiEEZZNS1_27merge_sort_block_merge_implIS3_PiS7_jNS1_19radix_merge_compareILb0ELb1EiNS0_19identity_decomposerEEEEE10hipError_tT0_T1_T2_jT3_P12ihipStream_tbPNSt15iterator_traitsISC_E10value_typeEPNSI_ISD_E10value_typeEPSE_NS1_7vsmem_tEENKUlT_SC_SD_SE_E_clIS7_S7_S7_S7_EESB_SR_SC_SD_SE_EUlSR_E1_NS1_11comp_targetILNS1_3genE4ELNS1_11target_archE910ELNS1_3gpuE8ELNS1_3repE0EEENS1_36merge_oddeven_config_static_selectorELNS0_4arch9wavefront6targetE1EEEvSD_,comdat
	.protected	_ZN7rocprim17ROCPRIM_400000_NS6detail17trampoline_kernelINS0_14default_configENS1_38merge_sort_block_merge_config_selectorIiiEEZZNS1_27merge_sort_block_merge_implIS3_PiS7_jNS1_19radix_merge_compareILb0ELb1EiNS0_19identity_decomposerEEEEE10hipError_tT0_T1_T2_jT3_P12ihipStream_tbPNSt15iterator_traitsISC_E10value_typeEPNSI_ISD_E10value_typeEPSE_NS1_7vsmem_tEENKUlT_SC_SD_SE_E_clIS7_S7_S7_S7_EESB_SR_SC_SD_SE_EUlSR_E1_NS1_11comp_targetILNS1_3genE4ELNS1_11target_archE910ELNS1_3gpuE8ELNS1_3repE0EEENS1_36merge_oddeven_config_static_selectorELNS0_4arch9wavefront6targetE1EEEvSD_ ; -- Begin function _ZN7rocprim17ROCPRIM_400000_NS6detail17trampoline_kernelINS0_14default_configENS1_38merge_sort_block_merge_config_selectorIiiEEZZNS1_27merge_sort_block_merge_implIS3_PiS7_jNS1_19radix_merge_compareILb0ELb1EiNS0_19identity_decomposerEEEEE10hipError_tT0_T1_T2_jT3_P12ihipStream_tbPNSt15iterator_traitsISC_E10value_typeEPNSI_ISD_E10value_typeEPSE_NS1_7vsmem_tEENKUlT_SC_SD_SE_E_clIS7_S7_S7_S7_EESB_SR_SC_SD_SE_EUlSR_E1_NS1_11comp_targetILNS1_3genE4ELNS1_11target_archE910ELNS1_3gpuE8ELNS1_3repE0EEENS1_36merge_oddeven_config_static_selectorELNS0_4arch9wavefront6targetE1EEEvSD_
	.globl	_ZN7rocprim17ROCPRIM_400000_NS6detail17trampoline_kernelINS0_14default_configENS1_38merge_sort_block_merge_config_selectorIiiEEZZNS1_27merge_sort_block_merge_implIS3_PiS7_jNS1_19radix_merge_compareILb0ELb1EiNS0_19identity_decomposerEEEEE10hipError_tT0_T1_T2_jT3_P12ihipStream_tbPNSt15iterator_traitsISC_E10value_typeEPNSI_ISD_E10value_typeEPSE_NS1_7vsmem_tEENKUlT_SC_SD_SE_E_clIS7_S7_S7_S7_EESB_SR_SC_SD_SE_EUlSR_E1_NS1_11comp_targetILNS1_3genE4ELNS1_11target_archE910ELNS1_3gpuE8ELNS1_3repE0EEENS1_36merge_oddeven_config_static_selectorELNS0_4arch9wavefront6targetE1EEEvSD_
	.p2align	8
	.type	_ZN7rocprim17ROCPRIM_400000_NS6detail17trampoline_kernelINS0_14default_configENS1_38merge_sort_block_merge_config_selectorIiiEEZZNS1_27merge_sort_block_merge_implIS3_PiS7_jNS1_19radix_merge_compareILb0ELb1EiNS0_19identity_decomposerEEEEE10hipError_tT0_T1_T2_jT3_P12ihipStream_tbPNSt15iterator_traitsISC_E10value_typeEPNSI_ISD_E10value_typeEPSE_NS1_7vsmem_tEENKUlT_SC_SD_SE_E_clIS7_S7_S7_S7_EESB_SR_SC_SD_SE_EUlSR_E1_NS1_11comp_targetILNS1_3genE4ELNS1_11target_archE910ELNS1_3gpuE8ELNS1_3repE0EEENS1_36merge_oddeven_config_static_selectorELNS0_4arch9wavefront6targetE1EEEvSD_,@function
_ZN7rocprim17ROCPRIM_400000_NS6detail17trampoline_kernelINS0_14default_configENS1_38merge_sort_block_merge_config_selectorIiiEEZZNS1_27merge_sort_block_merge_implIS3_PiS7_jNS1_19radix_merge_compareILb0ELb1EiNS0_19identity_decomposerEEEEE10hipError_tT0_T1_T2_jT3_P12ihipStream_tbPNSt15iterator_traitsISC_E10value_typeEPNSI_ISD_E10value_typeEPSE_NS1_7vsmem_tEENKUlT_SC_SD_SE_E_clIS7_S7_S7_S7_EESB_SR_SC_SD_SE_EUlSR_E1_NS1_11comp_targetILNS1_3genE4ELNS1_11target_archE910ELNS1_3gpuE8ELNS1_3repE0EEENS1_36merge_oddeven_config_static_selectorELNS0_4arch9wavefront6targetE1EEEvSD_: ; @_ZN7rocprim17ROCPRIM_400000_NS6detail17trampoline_kernelINS0_14default_configENS1_38merge_sort_block_merge_config_selectorIiiEEZZNS1_27merge_sort_block_merge_implIS3_PiS7_jNS1_19radix_merge_compareILb0ELb1EiNS0_19identity_decomposerEEEEE10hipError_tT0_T1_T2_jT3_P12ihipStream_tbPNSt15iterator_traitsISC_E10value_typeEPNSI_ISD_E10value_typeEPSE_NS1_7vsmem_tEENKUlT_SC_SD_SE_E_clIS7_S7_S7_S7_EESB_SR_SC_SD_SE_EUlSR_E1_NS1_11comp_targetILNS1_3genE4ELNS1_11target_archE910ELNS1_3gpuE8ELNS1_3repE0EEENS1_36merge_oddeven_config_static_selectorELNS0_4arch9wavefront6targetE1EEEvSD_
; %bb.0:
	s_load_dword s21, s[4:5], 0x20
	s_waitcnt lgkmcnt(0)
	s_lshr_b32 s2, s21, 8
	s_cmp_lg_u32 s6, s2
	s_cselect_b64 s[0:1], -1, 0
	s_cmp_eq_u32 s6, s2
	s_cselect_b64 s[16:17], -1, 0
	s_lshl_b32 s18, s6, 8
	s_sub_i32 s2, s21, s18
	v_cmp_gt_u32_e64 s[2:3], s2, v0
	s_or_b64 s[0:1], s[0:1], s[2:3]
	s_and_saveexec_b64 s[8:9], s[0:1]
	s_cbranch_execz .LBB344_26
; %bb.1:
	s_load_dwordx8 s[8:15], s[4:5], 0x0
	s_mov_b32 s19, 0
	s_lshl_b64 s[0:1], s[18:19], 2
	v_lshlrev_b32_e32 v1, 2, v0
	v_add_u32_e32 v2, s18, v0
	s_waitcnt lgkmcnt(0)
	s_add_u32 s22, s8, s0
	s_addc_u32 s23, s9, s1
	s_add_u32 s0, s12, s0
	s_addc_u32 s1, s13, s1
	global_load_dword v4, v1, s[0:1]
	global_load_dword v5, v1, s[22:23]
	s_load_dword s22, s[4:5], 0x24
	s_waitcnt lgkmcnt(0)
	s_lshr_b32 s0, s22, 8
	s_sub_i32 s1, 0, s0
	s_and_b32 s1, s6, s1
	s_and_b32 s0, s1, s0
	s_lshl_b32 s23, s1, 8
	s_sub_i32 s12, 0, s22
	s_cmp_eq_u32 s0, 0
	s_cselect_b64 s[0:1], -1, 0
	s_and_b64 s[6:7], s[0:1], exec
	s_cselect_b32 s20, s22, s12
	s_add_i32 s20, s20, s23
	s_cmp_lt_u32 s20, s21
	s_cbranch_scc1 .LBB344_6
; %bb.2:
	s_and_b64 vcc, exec, s[16:17]
	s_cbranch_vccz .LBB344_7
; %bb.3:
	v_cmp_gt_u32_e32 vcc, s21, v2
	s_mov_b64 s[12:13], 0
	s_mov_b64 s[6:7], 0
                                        ; implicit-def: $vgpr0_vgpr1
	s_and_saveexec_b64 s[18:19], vcc
	s_cbranch_execz .LBB344_5
; %bb.4:
	v_mov_b32_e32 v3, 0
	v_lshlrev_b64 v[6:7], 2, v[2:3]
	v_mov_b32_e32 v1, s15
	v_add_co_u32_e32 v0, vcc, s14, v6
	v_addc_co_u32_e32 v1, vcc, v1, v7, vcc
	v_mov_b32_e32 v3, s11
	v_add_co_u32_e32 v6, vcc, s10, v6
	s_mov_b64 s[6:7], exec
	v_addc_co_u32_e32 v7, vcc, v3, v7, vcc
	s_waitcnt vmcnt(0)
	global_store_dword v[6:7], v5, off
.LBB344_5:
	s_or_b64 exec, exec, s[18:19]
	s_and_b64 vcc, exec, s[12:13]
	s_cbranch_vccnz .LBB344_8
	s_branch .LBB344_9
.LBB344_6:
	s_mov_b64 s[6:7], 0
                                        ; implicit-def: $vgpr0_vgpr1
	s_cbranch_execnz .LBB344_10
	s_branch .LBB344_24
.LBB344_7:
	s_mov_b64 s[6:7], 0
                                        ; implicit-def: $vgpr0_vgpr1
	s_cbranch_execz .LBB344_9
.LBB344_8:
	v_mov_b32_e32 v3, 0
	v_lshlrev_b64 v[0:1], 2, v[2:3]
	v_mov_b32_e32 v3, s11
	v_add_co_u32_e32 v6, vcc, s10, v0
	v_addc_co_u32_e32 v7, vcc, v3, v1, vcc
	v_mov_b32_e32 v3, s15
	v_add_co_u32_e32 v0, vcc, s14, v0
	v_addc_co_u32_e32 v1, vcc, v3, v1, vcc
	s_or_b64 s[6:7], s[6:7], exec
	s_waitcnt vmcnt(0)
	global_store_dword v[6:7], v5, off
.LBB344_9:
	s_branch .LBB344_24
.LBB344_10:
	s_load_dword s12, s[4:5], 0x28
	s_min_u32 s13, s20, s21
	s_add_i32 s4, s13, s22
	s_min_u32 s18, s4, s21
	s_min_u32 s4, s23, s13
	s_add_i32 s23, s23, s13
	v_subrev_u32_e32 v0, s23, v2
	v_add_u32_e32 v2, s4, v0
	s_and_b64 vcc, exec, s[16:17]
	s_cbranch_vccz .LBB344_18
; %bb.11:
                                        ; implicit-def: $vgpr0_vgpr1
	s_and_saveexec_b64 s[4:5], s[2:3]
	s_cbranch_execz .LBB344_17
; %bb.12:
	s_cmp_ge_u32 s20, s18
	v_mov_b32_e32 v3, s13
	s_cbranch_scc1 .LBB344_16
; %bb.13:
	s_waitcnt vmcnt(0) lgkmcnt(0)
	v_and_b32_e32 v6, s12, v5
	s_mov_b64 s[2:3], 0
	v_mov_b32_e32 v7, s18
	v_mov_b32_e32 v3, s13
	v_mov_b32_e32 v1, 0
	v_mov_b32_e32 v8, s9
.LBB344_14:                             ; =>This Inner Loop Header: Depth=1
	v_add_u32_e32 v0, v3, v7
	v_lshrrev_b32_e32 v0, 1, v0
	v_lshlrev_b64 v[10:11], 2, v[0:1]
	v_add_co_u32_e32 v10, vcc, s8, v10
	v_addc_co_u32_e32 v11, vcc, v8, v11, vcc
	global_load_dword v9, v[10:11], off
	v_add_u32_e32 v10, 1, v0
	s_waitcnt vmcnt(0)
	v_and_b32_e32 v9, s12, v9
	v_cmp_gt_i32_e32 vcc, v6, v9
	v_cndmask_b32_e64 v11, 0, 1, vcc
	v_cmp_le_i32_e32 vcc, v9, v6
	v_cndmask_b32_e64 v9, 0, 1, vcc
	v_cndmask_b32_e64 v9, v9, v11, s[0:1]
	v_and_b32_e32 v9, 1, v9
	v_cmp_eq_u32_e32 vcc, 1, v9
	v_cndmask_b32_e32 v7, v0, v7, vcc
	v_cndmask_b32_e32 v3, v3, v10, vcc
	v_cmp_ge_u32_e32 vcc, v3, v7
	s_or_b64 s[2:3], vcc, s[2:3]
	s_andn2_b64 exec, exec, s[2:3]
	s_cbranch_execnz .LBB344_14
; %bb.15:
	s_or_b64 exec, exec, s[2:3]
.LBB344_16:
	v_add_u32_e32 v0, v3, v2
	v_mov_b32_e32 v1, 0
	v_lshlrev_b64 v[0:1], 2, v[0:1]
	v_mov_b32_e32 v3, s11
	v_add_co_u32_e32 v6, vcc, s10, v0
	v_addc_co_u32_e32 v7, vcc, v3, v1, vcc
	v_mov_b32_e32 v3, s15
	v_add_co_u32_e32 v0, vcc, s14, v0
	s_waitcnt vmcnt(0)
	global_store_dword v[6:7], v5, off
	v_addc_co_u32_e32 v1, vcc, v3, v1, vcc
	s_or_b64 s[6:7], s[6:7], exec
.LBB344_17:
	s_or_b64 exec, exec, s[4:5]
	s_branch .LBB344_24
.LBB344_18:
                                        ; implicit-def: $vgpr0_vgpr1
	s_cbranch_execz .LBB344_24
; %bb.19:
	s_cmp_ge_u32 s20, s18
	v_mov_b32_e32 v3, s13
	s_cbranch_scc1 .LBB344_23
; %bb.20:
	s_waitcnt vmcnt(0) lgkmcnt(0)
	v_and_b32_e32 v6, s12, v5
	s_mov_b64 s[2:3], 0
	v_mov_b32_e32 v7, s18
	v_mov_b32_e32 v3, s13
	;; [unrolled: 1-line block ×4, first 2 shown]
.LBB344_21:                             ; =>This Inner Loop Header: Depth=1
	v_add_u32_e32 v0, v3, v7
	v_lshrrev_b32_e32 v0, 1, v0
	v_lshlrev_b64 v[10:11], 2, v[0:1]
	v_add_co_u32_e32 v10, vcc, s8, v10
	v_addc_co_u32_e32 v11, vcc, v8, v11, vcc
	global_load_dword v9, v[10:11], off
	v_add_u32_e32 v10, 1, v0
	s_waitcnt vmcnt(0)
	v_and_b32_e32 v9, s12, v9
	v_cmp_gt_i32_e32 vcc, v6, v9
	v_cndmask_b32_e64 v11, 0, 1, vcc
	v_cmp_le_i32_e32 vcc, v9, v6
	v_cndmask_b32_e64 v9, 0, 1, vcc
	v_cndmask_b32_e64 v9, v9, v11, s[0:1]
	v_and_b32_e32 v9, 1, v9
	v_cmp_eq_u32_e32 vcc, 1, v9
	v_cndmask_b32_e32 v7, v0, v7, vcc
	v_cndmask_b32_e32 v3, v3, v10, vcc
	v_cmp_ge_u32_e32 vcc, v3, v7
	s_or_b64 s[2:3], vcc, s[2:3]
	s_andn2_b64 exec, exec, s[2:3]
	s_cbranch_execnz .LBB344_21
; %bb.22:
	s_or_b64 exec, exec, s[2:3]
.LBB344_23:
	v_add_u32_e32 v0, v3, v2
	v_mov_b32_e32 v1, 0
	v_lshlrev_b64 v[0:1], 2, v[0:1]
	v_mov_b32_e32 v3, s11
	v_add_co_u32_e32 v2, vcc, s10, v0
	v_addc_co_u32_e32 v3, vcc, v3, v1, vcc
	s_waitcnt vmcnt(0)
	global_store_dword v[2:3], v5, off
	v_mov_b32_e32 v2, s15
	v_add_co_u32_e32 v0, vcc, s14, v0
	v_addc_co_u32_e32 v1, vcc, v2, v1, vcc
	s_mov_b64 s[6:7], -1
.LBB344_24:
	s_and_b64 exec, exec, s[6:7]
	s_cbranch_execz .LBB344_26
; %bb.25:
	s_waitcnt vmcnt(1)
	global_store_dword v[0:1], v4, off
.LBB344_26:
	s_endpgm
	.section	.rodata,"a",@progbits
	.p2align	6, 0x0
	.amdhsa_kernel _ZN7rocprim17ROCPRIM_400000_NS6detail17trampoline_kernelINS0_14default_configENS1_38merge_sort_block_merge_config_selectorIiiEEZZNS1_27merge_sort_block_merge_implIS3_PiS7_jNS1_19radix_merge_compareILb0ELb1EiNS0_19identity_decomposerEEEEE10hipError_tT0_T1_T2_jT3_P12ihipStream_tbPNSt15iterator_traitsISC_E10value_typeEPNSI_ISD_E10value_typeEPSE_NS1_7vsmem_tEENKUlT_SC_SD_SE_E_clIS7_S7_S7_S7_EESB_SR_SC_SD_SE_EUlSR_E1_NS1_11comp_targetILNS1_3genE4ELNS1_11target_archE910ELNS1_3gpuE8ELNS1_3repE0EEENS1_36merge_oddeven_config_static_selectorELNS0_4arch9wavefront6targetE1EEEvSD_
		.amdhsa_group_segment_fixed_size 0
		.amdhsa_private_segment_fixed_size 0
		.amdhsa_kernarg_size 48
		.amdhsa_user_sgpr_count 6
		.amdhsa_user_sgpr_private_segment_buffer 1
		.amdhsa_user_sgpr_dispatch_ptr 0
		.amdhsa_user_sgpr_queue_ptr 0
		.amdhsa_user_sgpr_kernarg_segment_ptr 1
		.amdhsa_user_sgpr_dispatch_id 0
		.amdhsa_user_sgpr_flat_scratch_init 0
		.amdhsa_user_sgpr_kernarg_preload_length 0
		.amdhsa_user_sgpr_kernarg_preload_offset 0
		.amdhsa_user_sgpr_private_segment_size 0
		.amdhsa_uses_dynamic_stack 0
		.amdhsa_system_sgpr_private_segment_wavefront_offset 0
		.amdhsa_system_sgpr_workgroup_id_x 1
		.amdhsa_system_sgpr_workgroup_id_y 0
		.amdhsa_system_sgpr_workgroup_id_z 0
		.amdhsa_system_sgpr_workgroup_info 0
		.amdhsa_system_vgpr_workitem_id 0
		.amdhsa_next_free_vgpr 12
		.amdhsa_next_free_sgpr 24
		.amdhsa_accum_offset 12
		.amdhsa_reserve_vcc 1
		.amdhsa_reserve_flat_scratch 0
		.amdhsa_float_round_mode_32 0
		.amdhsa_float_round_mode_16_64 0
		.amdhsa_float_denorm_mode_32 3
		.amdhsa_float_denorm_mode_16_64 3
		.amdhsa_dx10_clamp 1
		.amdhsa_ieee_mode 1
		.amdhsa_fp16_overflow 0
		.amdhsa_tg_split 0
		.amdhsa_exception_fp_ieee_invalid_op 0
		.amdhsa_exception_fp_denorm_src 0
		.amdhsa_exception_fp_ieee_div_zero 0
		.amdhsa_exception_fp_ieee_overflow 0
		.amdhsa_exception_fp_ieee_underflow 0
		.amdhsa_exception_fp_ieee_inexact 0
		.amdhsa_exception_int_div_zero 0
	.end_amdhsa_kernel
	.section	.text._ZN7rocprim17ROCPRIM_400000_NS6detail17trampoline_kernelINS0_14default_configENS1_38merge_sort_block_merge_config_selectorIiiEEZZNS1_27merge_sort_block_merge_implIS3_PiS7_jNS1_19radix_merge_compareILb0ELb1EiNS0_19identity_decomposerEEEEE10hipError_tT0_T1_T2_jT3_P12ihipStream_tbPNSt15iterator_traitsISC_E10value_typeEPNSI_ISD_E10value_typeEPSE_NS1_7vsmem_tEENKUlT_SC_SD_SE_E_clIS7_S7_S7_S7_EESB_SR_SC_SD_SE_EUlSR_E1_NS1_11comp_targetILNS1_3genE4ELNS1_11target_archE910ELNS1_3gpuE8ELNS1_3repE0EEENS1_36merge_oddeven_config_static_selectorELNS0_4arch9wavefront6targetE1EEEvSD_,"axG",@progbits,_ZN7rocprim17ROCPRIM_400000_NS6detail17trampoline_kernelINS0_14default_configENS1_38merge_sort_block_merge_config_selectorIiiEEZZNS1_27merge_sort_block_merge_implIS3_PiS7_jNS1_19radix_merge_compareILb0ELb1EiNS0_19identity_decomposerEEEEE10hipError_tT0_T1_T2_jT3_P12ihipStream_tbPNSt15iterator_traitsISC_E10value_typeEPNSI_ISD_E10value_typeEPSE_NS1_7vsmem_tEENKUlT_SC_SD_SE_E_clIS7_S7_S7_S7_EESB_SR_SC_SD_SE_EUlSR_E1_NS1_11comp_targetILNS1_3genE4ELNS1_11target_archE910ELNS1_3gpuE8ELNS1_3repE0EEENS1_36merge_oddeven_config_static_selectorELNS0_4arch9wavefront6targetE1EEEvSD_,comdat
.Lfunc_end344:
	.size	_ZN7rocprim17ROCPRIM_400000_NS6detail17trampoline_kernelINS0_14default_configENS1_38merge_sort_block_merge_config_selectorIiiEEZZNS1_27merge_sort_block_merge_implIS3_PiS7_jNS1_19radix_merge_compareILb0ELb1EiNS0_19identity_decomposerEEEEE10hipError_tT0_T1_T2_jT3_P12ihipStream_tbPNSt15iterator_traitsISC_E10value_typeEPNSI_ISD_E10value_typeEPSE_NS1_7vsmem_tEENKUlT_SC_SD_SE_E_clIS7_S7_S7_S7_EESB_SR_SC_SD_SE_EUlSR_E1_NS1_11comp_targetILNS1_3genE4ELNS1_11target_archE910ELNS1_3gpuE8ELNS1_3repE0EEENS1_36merge_oddeven_config_static_selectorELNS0_4arch9wavefront6targetE1EEEvSD_, .Lfunc_end344-_ZN7rocprim17ROCPRIM_400000_NS6detail17trampoline_kernelINS0_14default_configENS1_38merge_sort_block_merge_config_selectorIiiEEZZNS1_27merge_sort_block_merge_implIS3_PiS7_jNS1_19radix_merge_compareILb0ELb1EiNS0_19identity_decomposerEEEEE10hipError_tT0_T1_T2_jT3_P12ihipStream_tbPNSt15iterator_traitsISC_E10value_typeEPNSI_ISD_E10value_typeEPSE_NS1_7vsmem_tEENKUlT_SC_SD_SE_E_clIS7_S7_S7_S7_EESB_SR_SC_SD_SE_EUlSR_E1_NS1_11comp_targetILNS1_3genE4ELNS1_11target_archE910ELNS1_3gpuE8ELNS1_3repE0EEENS1_36merge_oddeven_config_static_selectorELNS0_4arch9wavefront6targetE1EEEvSD_
                                        ; -- End function
	.section	.AMDGPU.csdata,"",@progbits
; Kernel info:
; codeLenInByte = 860
; NumSgprs: 28
; NumVgprs: 12
; NumAgprs: 0
; TotalNumVgprs: 12
; ScratchSize: 0
; MemoryBound: 0
; FloatMode: 240
; IeeeMode: 1
; LDSByteSize: 0 bytes/workgroup (compile time only)
; SGPRBlocks: 3
; VGPRBlocks: 1
; NumSGPRsForWavesPerEU: 28
; NumVGPRsForWavesPerEU: 12
; AccumOffset: 12
; Occupancy: 8
; WaveLimiterHint : 0
; COMPUTE_PGM_RSRC2:SCRATCH_EN: 0
; COMPUTE_PGM_RSRC2:USER_SGPR: 6
; COMPUTE_PGM_RSRC2:TRAP_HANDLER: 0
; COMPUTE_PGM_RSRC2:TGID_X_EN: 1
; COMPUTE_PGM_RSRC2:TGID_Y_EN: 0
; COMPUTE_PGM_RSRC2:TGID_Z_EN: 0
; COMPUTE_PGM_RSRC2:TIDIG_COMP_CNT: 0
; COMPUTE_PGM_RSRC3_GFX90A:ACCUM_OFFSET: 2
; COMPUTE_PGM_RSRC3_GFX90A:TG_SPLIT: 0
	.section	.text._ZN7rocprim17ROCPRIM_400000_NS6detail17trampoline_kernelINS0_14default_configENS1_38merge_sort_block_merge_config_selectorIiiEEZZNS1_27merge_sort_block_merge_implIS3_PiS7_jNS1_19radix_merge_compareILb0ELb1EiNS0_19identity_decomposerEEEEE10hipError_tT0_T1_T2_jT3_P12ihipStream_tbPNSt15iterator_traitsISC_E10value_typeEPNSI_ISD_E10value_typeEPSE_NS1_7vsmem_tEENKUlT_SC_SD_SE_E_clIS7_S7_S7_S7_EESB_SR_SC_SD_SE_EUlSR_E1_NS1_11comp_targetILNS1_3genE3ELNS1_11target_archE908ELNS1_3gpuE7ELNS1_3repE0EEENS1_36merge_oddeven_config_static_selectorELNS0_4arch9wavefront6targetE1EEEvSD_,"axG",@progbits,_ZN7rocprim17ROCPRIM_400000_NS6detail17trampoline_kernelINS0_14default_configENS1_38merge_sort_block_merge_config_selectorIiiEEZZNS1_27merge_sort_block_merge_implIS3_PiS7_jNS1_19radix_merge_compareILb0ELb1EiNS0_19identity_decomposerEEEEE10hipError_tT0_T1_T2_jT3_P12ihipStream_tbPNSt15iterator_traitsISC_E10value_typeEPNSI_ISD_E10value_typeEPSE_NS1_7vsmem_tEENKUlT_SC_SD_SE_E_clIS7_S7_S7_S7_EESB_SR_SC_SD_SE_EUlSR_E1_NS1_11comp_targetILNS1_3genE3ELNS1_11target_archE908ELNS1_3gpuE7ELNS1_3repE0EEENS1_36merge_oddeven_config_static_selectorELNS0_4arch9wavefront6targetE1EEEvSD_,comdat
	.protected	_ZN7rocprim17ROCPRIM_400000_NS6detail17trampoline_kernelINS0_14default_configENS1_38merge_sort_block_merge_config_selectorIiiEEZZNS1_27merge_sort_block_merge_implIS3_PiS7_jNS1_19radix_merge_compareILb0ELb1EiNS0_19identity_decomposerEEEEE10hipError_tT0_T1_T2_jT3_P12ihipStream_tbPNSt15iterator_traitsISC_E10value_typeEPNSI_ISD_E10value_typeEPSE_NS1_7vsmem_tEENKUlT_SC_SD_SE_E_clIS7_S7_S7_S7_EESB_SR_SC_SD_SE_EUlSR_E1_NS1_11comp_targetILNS1_3genE3ELNS1_11target_archE908ELNS1_3gpuE7ELNS1_3repE0EEENS1_36merge_oddeven_config_static_selectorELNS0_4arch9wavefront6targetE1EEEvSD_ ; -- Begin function _ZN7rocprim17ROCPRIM_400000_NS6detail17trampoline_kernelINS0_14default_configENS1_38merge_sort_block_merge_config_selectorIiiEEZZNS1_27merge_sort_block_merge_implIS3_PiS7_jNS1_19radix_merge_compareILb0ELb1EiNS0_19identity_decomposerEEEEE10hipError_tT0_T1_T2_jT3_P12ihipStream_tbPNSt15iterator_traitsISC_E10value_typeEPNSI_ISD_E10value_typeEPSE_NS1_7vsmem_tEENKUlT_SC_SD_SE_E_clIS7_S7_S7_S7_EESB_SR_SC_SD_SE_EUlSR_E1_NS1_11comp_targetILNS1_3genE3ELNS1_11target_archE908ELNS1_3gpuE7ELNS1_3repE0EEENS1_36merge_oddeven_config_static_selectorELNS0_4arch9wavefront6targetE1EEEvSD_
	.globl	_ZN7rocprim17ROCPRIM_400000_NS6detail17trampoline_kernelINS0_14default_configENS1_38merge_sort_block_merge_config_selectorIiiEEZZNS1_27merge_sort_block_merge_implIS3_PiS7_jNS1_19radix_merge_compareILb0ELb1EiNS0_19identity_decomposerEEEEE10hipError_tT0_T1_T2_jT3_P12ihipStream_tbPNSt15iterator_traitsISC_E10value_typeEPNSI_ISD_E10value_typeEPSE_NS1_7vsmem_tEENKUlT_SC_SD_SE_E_clIS7_S7_S7_S7_EESB_SR_SC_SD_SE_EUlSR_E1_NS1_11comp_targetILNS1_3genE3ELNS1_11target_archE908ELNS1_3gpuE7ELNS1_3repE0EEENS1_36merge_oddeven_config_static_selectorELNS0_4arch9wavefront6targetE1EEEvSD_
	.p2align	8
	.type	_ZN7rocprim17ROCPRIM_400000_NS6detail17trampoline_kernelINS0_14default_configENS1_38merge_sort_block_merge_config_selectorIiiEEZZNS1_27merge_sort_block_merge_implIS3_PiS7_jNS1_19radix_merge_compareILb0ELb1EiNS0_19identity_decomposerEEEEE10hipError_tT0_T1_T2_jT3_P12ihipStream_tbPNSt15iterator_traitsISC_E10value_typeEPNSI_ISD_E10value_typeEPSE_NS1_7vsmem_tEENKUlT_SC_SD_SE_E_clIS7_S7_S7_S7_EESB_SR_SC_SD_SE_EUlSR_E1_NS1_11comp_targetILNS1_3genE3ELNS1_11target_archE908ELNS1_3gpuE7ELNS1_3repE0EEENS1_36merge_oddeven_config_static_selectorELNS0_4arch9wavefront6targetE1EEEvSD_,@function
_ZN7rocprim17ROCPRIM_400000_NS6detail17trampoline_kernelINS0_14default_configENS1_38merge_sort_block_merge_config_selectorIiiEEZZNS1_27merge_sort_block_merge_implIS3_PiS7_jNS1_19radix_merge_compareILb0ELb1EiNS0_19identity_decomposerEEEEE10hipError_tT0_T1_T2_jT3_P12ihipStream_tbPNSt15iterator_traitsISC_E10value_typeEPNSI_ISD_E10value_typeEPSE_NS1_7vsmem_tEENKUlT_SC_SD_SE_E_clIS7_S7_S7_S7_EESB_SR_SC_SD_SE_EUlSR_E1_NS1_11comp_targetILNS1_3genE3ELNS1_11target_archE908ELNS1_3gpuE7ELNS1_3repE0EEENS1_36merge_oddeven_config_static_selectorELNS0_4arch9wavefront6targetE1EEEvSD_: ; @_ZN7rocprim17ROCPRIM_400000_NS6detail17trampoline_kernelINS0_14default_configENS1_38merge_sort_block_merge_config_selectorIiiEEZZNS1_27merge_sort_block_merge_implIS3_PiS7_jNS1_19radix_merge_compareILb0ELb1EiNS0_19identity_decomposerEEEEE10hipError_tT0_T1_T2_jT3_P12ihipStream_tbPNSt15iterator_traitsISC_E10value_typeEPNSI_ISD_E10value_typeEPSE_NS1_7vsmem_tEENKUlT_SC_SD_SE_E_clIS7_S7_S7_S7_EESB_SR_SC_SD_SE_EUlSR_E1_NS1_11comp_targetILNS1_3genE3ELNS1_11target_archE908ELNS1_3gpuE7ELNS1_3repE0EEENS1_36merge_oddeven_config_static_selectorELNS0_4arch9wavefront6targetE1EEEvSD_
; %bb.0:
	.section	.rodata,"a",@progbits
	.p2align	6, 0x0
	.amdhsa_kernel _ZN7rocprim17ROCPRIM_400000_NS6detail17trampoline_kernelINS0_14default_configENS1_38merge_sort_block_merge_config_selectorIiiEEZZNS1_27merge_sort_block_merge_implIS3_PiS7_jNS1_19radix_merge_compareILb0ELb1EiNS0_19identity_decomposerEEEEE10hipError_tT0_T1_T2_jT3_P12ihipStream_tbPNSt15iterator_traitsISC_E10value_typeEPNSI_ISD_E10value_typeEPSE_NS1_7vsmem_tEENKUlT_SC_SD_SE_E_clIS7_S7_S7_S7_EESB_SR_SC_SD_SE_EUlSR_E1_NS1_11comp_targetILNS1_3genE3ELNS1_11target_archE908ELNS1_3gpuE7ELNS1_3repE0EEENS1_36merge_oddeven_config_static_selectorELNS0_4arch9wavefront6targetE1EEEvSD_
		.amdhsa_group_segment_fixed_size 0
		.amdhsa_private_segment_fixed_size 0
		.amdhsa_kernarg_size 48
		.amdhsa_user_sgpr_count 6
		.amdhsa_user_sgpr_private_segment_buffer 1
		.amdhsa_user_sgpr_dispatch_ptr 0
		.amdhsa_user_sgpr_queue_ptr 0
		.amdhsa_user_sgpr_kernarg_segment_ptr 1
		.amdhsa_user_sgpr_dispatch_id 0
		.amdhsa_user_sgpr_flat_scratch_init 0
		.amdhsa_user_sgpr_kernarg_preload_length 0
		.amdhsa_user_sgpr_kernarg_preload_offset 0
		.amdhsa_user_sgpr_private_segment_size 0
		.amdhsa_uses_dynamic_stack 0
		.amdhsa_system_sgpr_private_segment_wavefront_offset 0
		.amdhsa_system_sgpr_workgroup_id_x 1
		.amdhsa_system_sgpr_workgroup_id_y 0
		.amdhsa_system_sgpr_workgroup_id_z 0
		.amdhsa_system_sgpr_workgroup_info 0
		.amdhsa_system_vgpr_workitem_id 0
		.amdhsa_next_free_vgpr 1
		.amdhsa_next_free_sgpr 0
		.amdhsa_accum_offset 4
		.amdhsa_reserve_vcc 0
		.amdhsa_reserve_flat_scratch 0
		.amdhsa_float_round_mode_32 0
		.amdhsa_float_round_mode_16_64 0
		.amdhsa_float_denorm_mode_32 3
		.amdhsa_float_denorm_mode_16_64 3
		.amdhsa_dx10_clamp 1
		.amdhsa_ieee_mode 1
		.amdhsa_fp16_overflow 0
		.amdhsa_tg_split 0
		.amdhsa_exception_fp_ieee_invalid_op 0
		.amdhsa_exception_fp_denorm_src 0
		.amdhsa_exception_fp_ieee_div_zero 0
		.amdhsa_exception_fp_ieee_overflow 0
		.amdhsa_exception_fp_ieee_underflow 0
		.amdhsa_exception_fp_ieee_inexact 0
		.amdhsa_exception_int_div_zero 0
	.end_amdhsa_kernel
	.section	.text._ZN7rocprim17ROCPRIM_400000_NS6detail17trampoline_kernelINS0_14default_configENS1_38merge_sort_block_merge_config_selectorIiiEEZZNS1_27merge_sort_block_merge_implIS3_PiS7_jNS1_19radix_merge_compareILb0ELb1EiNS0_19identity_decomposerEEEEE10hipError_tT0_T1_T2_jT3_P12ihipStream_tbPNSt15iterator_traitsISC_E10value_typeEPNSI_ISD_E10value_typeEPSE_NS1_7vsmem_tEENKUlT_SC_SD_SE_E_clIS7_S7_S7_S7_EESB_SR_SC_SD_SE_EUlSR_E1_NS1_11comp_targetILNS1_3genE3ELNS1_11target_archE908ELNS1_3gpuE7ELNS1_3repE0EEENS1_36merge_oddeven_config_static_selectorELNS0_4arch9wavefront6targetE1EEEvSD_,"axG",@progbits,_ZN7rocprim17ROCPRIM_400000_NS6detail17trampoline_kernelINS0_14default_configENS1_38merge_sort_block_merge_config_selectorIiiEEZZNS1_27merge_sort_block_merge_implIS3_PiS7_jNS1_19radix_merge_compareILb0ELb1EiNS0_19identity_decomposerEEEEE10hipError_tT0_T1_T2_jT3_P12ihipStream_tbPNSt15iterator_traitsISC_E10value_typeEPNSI_ISD_E10value_typeEPSE_NS1_7vsmem_tEENKUlT_SC_SD_SE_E_clIS7_S7_S7_S7_EESB_SR_SC_SD_SE_EUlSR_E1_NS1_11comp_targetILNS1_3genE3ELNS1_11target_archE908ELNS1_3gpuE7ELNS1_3repE0EEENS1_36merge_oddeven_config_static_selectorELNS0_4arch9wavefront6targetE1EEEvSD_,comdat
.Lfunc_end345:
	.size	_ZN7rocprim17ROCPRIM_400000_NS6detail17trampoline_kernelINS0_14default_configENS1_38merge_sort_block_merge_config_selectorIiiEEZZNS1_27merge_sort_block_merge_implIS3_PiS7_jNS1_19radix_merge_compareILb0ELb1EiNS0_19identity_decomposerEEEEE10hipError_tT0_T1_T2_jT3_P12ihipStream_tbPNSt15iterator_traitsISC_E10value_typeEPNSI_ISD_E10value_typeEPSE_NS1_7vsmem_tEENKUlT_SC_SD_SE_E_clIS7_S7_S7_S7_EESB_SR_SC_SD_SE_EUlSR_E1_NS1_11comp_targetILNS1_3genE3ELNS1_11target_archE908ELNS1_3gpuE7ELNS1_3repE0EEENS1_36merge_oddeven_config_static_selectorELNS0_4arch9wavefront6targetE1EEEvSD_, .Lfunc_end345-_ZN7rocprim17ROCPRIM_400000_NS6detail17trampoline_kernelINS0_14default_configENS1_38merge_sort_block_merge_config_selectorIiiEEZZNS1_27merge_sort_block_merge_implIS3_PiS7_jNS1_19radix_merge_compareILb0ELb1EiNS0_19identity_decomposerEEEEE10hipError_tT0_T1_T2_jT3_P12ihipStream_tbPNSt15iterator_traitsISC_E10value_typeEPNSI_ISD_E10value_typeEPSE_NS1_7vsmem_tEENKUlT_SC_SD_SE_E_clIS7_S7_S7_S7_EESB_SR_SC_SD_SE_EUlSR_E1_NS1_11comp_targetILNS1_3genE3ELNS1_11target_archE908ELNS1_3gpuE7ELNS1_3repE0EEENS1_36merge_oddeven_config_static_selectorELNS0_4arch9wavefront6targetE1EEEvSD_
                                        ; -- End function
	.section	.AMDGPU.csdata,"",@progbits
; Kernel info:
; codeLenInByte = 0
; NumSgprs: 4
; NumVgprs: 0
; NumAgprs: 0
; TotalNumVgprs: 0
; ScratchSize: 0
; MemoryBound: 0
; FloatMode: 240
; IeeeMode: 1
; LDSByteSize: 0 bytes/workgroup (compile time only)
; SGPRBlocks: 0
; VGPRBlocks: 0
; NumSGPRsForWavesPerEU: 4
; NumVGPRsForWavesPerEU: 1
; AccumOffset: 4
; Occupancy: 8
; WaveLimiterHint : 0
; COMPUTE_PGM_RSRC2:SCRATCH_EN: 0
; COMPUTE_PGM_RSRC2:USER_SGPR: 6
; COMPUTE_PGM_RSRC2:TRAP_HANDLER: 0
; COMPUTE_PGM_RSRC2:TGID_X_EN: 1
; COMPUTE_PGM_RSRC2:TGID_Y_EN: 0
; COMPUTE_PGM_RSRC2:TGID_Z_EN: 0
; COMPUTE_PGM_RSRC2:TIDIG_COMP_CNT: 0
; COMPUTE_PGM_RSRC3_GFX90A:ACCUM_OFFSET: 0
; COMPUTE_PGM_RSRC3_GFX90A:TG_SPLIT: 0
	.section	.text._ZN7rocprim17ROCPRIM_400000_NS6detail17trampoline_kernelINS0_14default_configENS1_38merge_sort_block_merge_config_selectorIiiEEZZNS1_27merge_sort_block_merge_implIS3_PiS7_jNS1_19radix_merge_compareILb0ELb1EiNS0_19identity_decomposerEEEEE10hipError_tT0_T1_T2_jT3_P12ihipStream_tbPNSt15iterator_traitsISC_E10value_typeEPNSI_ISD_E10value_typeEPSE_NS1_7vsmem_tEENKUlT_SC_SD_SE_E_clIS7_S7_S7_S7_EESB_SR_SC_SD_SE_EUlSR_E1_NS1_11comp_targetILNS1_3genE2ELNS1_11target_archE906ELNS1_3gpuE6ELNS1_3repE0EEENS1_36merge_oddeven_config_static_selectorELNS0_4arch9wavefront6targetE1EEEvSD_,"axG",@progbits,_ZN7rocprim17ROCPRIM_400000_NS6detail17trampoline_kernelINS0_14default_configENS1_38merge_sort_block_merge_config_selectorIiiEEZZNS1_27merge_sort_block_merge_implIS3_PiS7_jNS1_19radix_merge_compareILb0ELb1EiNS0_19identity_decomposerEEEEE10hipError_tT0_T1_T2_jT3_P12ihipStream_tbPNSt15iterator_traitsISC_E10value_typeEPNSI_ISD_E10value_typeEPSE_NS1_7vsmem_tEENKUlT_SC_SD_SE_E_clIS7_S7_S7_S7_EESB_SR_SC_SD_SE_EUlSR_E1_NS1_11comp_targetILNS1_3genE2ELNS1_11target_archE906ELNS1_3gpuE6ELNS1_3repE0EEENS1_36merge_oddeven_config_static_selectorELNS0_4arch9wavefront6targetE1EEEvSD_,comdat
	.protected	_ZN7rocprim17ROCPRIM_400000_NS6detail17trampoline_kernelINS0_14default_configENS1_38merge_sort_block_merge_config_selectorIiiEEZZNS1_27merge_sort_block_merge_implIS3_PiS7_jNS1_19radix_merge_compareILb0ELb1EiNS0_19identity_decomposerEEEEE10hipError_tT0_T1_T2_jT3_P12ihipStream_tbPNSt15iterator_traitsISC_E10value_typeEPNSI_ISD_E10value_typeEPSE_NS1_7vsmem_tEENKUlT_SC_SD_SE_E_clIS7_S7_S7_S7_EESB_SR_SC_SD_SE_EUlSR_E1_NS1_11comp_targetILNS1_3genE2ELNS1_11target_archE906ELNS1_3gpuE6ELNS1_3repE0EEENS1_36merge_oddeven_config_static_selectorELNS0_4arch9wavefront6targetE1EEEvSD_ ; -- Begin function _ZN7rocprim17ROCPRIM_400000_NS6detail17trampoline_kernelINS0_14default_configENS1_38merge_sort_block_merge_config_selectorIiiEEZZNS1_27merge_sort_block_merge_implIS3_PiS7_jNS1_19radix_merge_compareILb0ELb1EiNS0_19identity_decomposerEEEEE10hipError_tT0_T1_T2_jT3_P12ihipStream_tbPNSt15iterator_traitsISC_E10value_typeEPNSI_ISD_E10value_typeEPSE_NS1_7vsmem_tEENKUlT_SC_SD_SE_E_clIS7_S7_S7_S7_EESB_SR_SC_SD_SE_EUlSR_E1_NS1_11comp_targetILNS1_3genE2ELNS1_11target_archE906ELNS1_3gpuE6ELNS1_3repE0EEENS1_36merge_oddeven_config_static_selectorELNS0_4arch9wavefront6targetE1EEEvSD_
	.globl	_ZN7rocprim17ROCPRIM_400000_NS6detail17trampoline_kernelINS0_14default_configENS1_38merge_sort_block_merge_config_selectorIiiEEZZNS1_27merge_sort_block_merge_implIS3_PiS7_jNS1_19radix_merge_compareILb0ELb1EiNS0_19identity_decomposerEEEEE10hipError_tT0_T1_T2_jT3_P12ihipStream_tbPNSt15iterator_traitsISC_E10value_typeEPNSI_ISD_E10value_typeEPSE_NS1_7vsmem_tEENKUlT_SC_SD_SE_E_clIS7_S7_S7_S7_EESB_SR_SC_SD_SE_EUlSR_E1_NS1_11comp_targetILNS1_3genE2ELNS1_11target_archE906ELNS1_3gpuE6ELNS1_3repE0EEENS1_36merge_oddeven_config_static_selectorELNS0_4arch9wavefront6targetE1EEEvSD_
	.p2align	8
	.type	_ZN7rocprim17ROCPRIM_400000_NS6detail17trampoline_kernelINS0_14default_configENS1_38merge_sort_block_merge_config_selectorIiiEEZZNS1_27merge_sort_block_merge_implIS3_PiS7_jNS1_19radix_merge_compareILb0ELb1EiNS0_19identity_decomposerEEEEE10hipError_tT0_T1_T2_jT3_P12ihipStream_tbPNSt15iterator_traitsISC_E10value_typeEPNSI_ISD_E10value_typeEPSE_NS1_7vsmem_tEENKUlT_SC_SD_SE_E_clIS7_S7_S7_S7_EESB_SR_SC_SD_SE_EUlSR_E1_NS1_11comp_targetILNS1_3genE2ELNS1_11target_archE906ELNS1_3gpuE6ELNS1_3repE0EEENS1_36merge_oddeven_config_static_selectorELNS0_4arch9wavefront6targetE1EEEvSD_,@function
_ZN7rocprim17ROCPRIM_400000_NS6detail17trampoline_kernelINS0_14default_configENS1_38merge_sort_block_merge_config_selectorIiiEEZZNS1_27merge_sort_block_merge_implIS3_PiS7_jNS1_19radix_merge_compareILb0ELb1EiNS0_19identity_decomposerEEEEE10hipError_tT0_T1_T2_jT3_P12ihipStream_tbPNSt15iterator_traitsISC_E10value_typeEPNSI_ISD_E10value_typeEPSE_NS1_7vsmem_tEENKUlT_SC_SD_SE_E_clIS7_S7_S7_S7_EESB_SR_SC_SD_SE_EUlSR_E1_NS1_11comp_targetILNS1_3genE2ELNS1_11target_archE906ELNS1_3gpuE6ELNS1_3repE0EEENS1_36merge_oddeven_config_static_selectorELNS0_4arch9wavefront6targetE1EEEvSD_: ; @_ZN7rocprim17ROCPRIM_400000_NS6detail17trampoline_kernelINS0_14default_configENS1_38merge_sort_block_merge_config_selectorIiiEEZZNS1_27merge_sort_block_merge_implIS3_PiS7_jNS1_19radix_merge_compareILb0ELb1EiNS0_19identity_decomposerEEEEE10hipError_tT0_T1_T2_jT3_P12ihipStream_tbPNSt15iterator_traitsISC_E10value_typeEPNSI_ISD_E10value_typeEPSE_NS1_7vsmem_tEENKUlT_SC_SD_SE_E_clIS7_S7_S7_S7_EESB_SR_SC_SD_SE_EUlSR_E1_NS1_11comp_targetILNS1_3genE2ELNS1_11target_archE906ELNS1_3gpuE6ELNS1_3repE0EEENS1_36merge_oddeven_config_static_selectorELNS0_4arch9wavefront6targetE1EEEvSD_
; %bb.0:
	.section	.rodata,"a",@progbits
	.p2align	6, 0x0
	.amdhsa_kernel _ZN7rocprim17ROCPRIM_400000_NS6detail17trampoline_kernelINS0_14default_configENS1_38merge_sort_block_merge_config_selectorIiiEEZZNS1_27merge_sort_block_merge_implIS3_PiS7_jNS1_19radix_merge_compareILb0ELb1EiNS0_19identity_decomposerEEEEE10hipError_tT0_T1_T2_jT3_P12ihipStream_tbPNSt15iterator_traitsISC_E10value_typeEPNSI_ISD_E10value_typeEPSE_NS1_7vsmem_tEENKUlT_SC_SD_SE_E_clIS7_S7_S7_S7_EESB_SR_SC_SD_SE_EUlSR_E1_NS1_11comp_targetILNS1_3genE2ELNS1_11target_archE906ELNS1_3gpuE6ELNS1_3repE0EEENS1_36merge_oddeven_config_static_selectorELNS0_4arch9wavefront6targetE1EEEvSD_
		.amdhsa_group_segment_fixed_size 0
		.amdhsa_private_segment_fixed_size 0
		.amdhsa_kernarg_size 48
		.amdhsa_user_sgpr_count 6
		.amdhsa_user_sgpr_private_segment_buffer 1
		.amdhsa_user_sgpr_dispatch_ptr 0
		.amdhsa_user_sgpr_queue_ptr 0
		.amdhsa_user_sgpr_kernarg_segment_ptr 1
		.amdhsa_user_sgpr_dispatch_id 0
		.amdhsa_user_sgpr_flat_scratch_init 0
		.amdhsa_user_sgpr_kernarg_preload_length 0
		.amdhsa_user_sgpr_kernarg_preload_offset 0
		.amdhsa_user_sgpr_private_segment_size 0
		.amdhsa_uses_dynamic_stack 0
		.amdhsa_system_sgpr_private_segment_wavefront_offset 0
		.amdhsa_system_sgpr_workgroup_id_x 1
		.amdhsa_system_sgpr_workgroup_id_y 0
		.amdhsa_system_sgpr_workgroup_id_z 0
		.amdhsa_system_sgpr_workgroup_info 0
		.amdhsa_system_vgpr_workitem_id 0
		.amdhsa_next_free_vgpr 1
		.amdhsa_next_free_sgpr 0
		.amdhsa_accum_offset 4
		.amdhsa_reserve_vcc 0
		.amdhsa_reserve_flat_scratch 0
		.amdhsa_float_round_mode_32 0
		.amdhsa_float_round_mode_16_64 0
		.amdhsa_float_denorm_mode_32 3
		.amdhsa_float_denorm_mode_16_64 3
		.amdhsa_dx10_clamp 1
		.amdhsa_ieee_mode 1
		.amdhsa_fp16_overflow 0
		.amdhsa_tg_split 0
		.amdhsa_exception_fp_ieee_invalid_op 0
		.amdhsa_exception_fp_denorm_src 0
		.amdhsa_exception_fp_ieee_div_zero 0
		.amdhsa_exception_fp_ieee_overflow 0
		.amdhsa_exception_fp_ieee_underflow 0
		.amdhsa_exception_fp_ieee_inexact 0
		.amdhsa_exception_int_div_zero 0
	.end_amdhsa_kernel
	.section	.text._ZN7rocprim17ROCPRIM_400000_NS6detail17trampoline_kernelINS0_14default_configENS1_38merge_sort_block_merge_config_selectorIiiEEZZNS1_27merge_sort_block_merge_implIS3_PiS7_jNS1_19radix_merge_compareILb0ELb1EiNS0_19identity_decomposerEEEEE10hipError_tT0_T1_T2_jT3_P12ihipStream_tbPNSt15iterator_traitsISC_E10value_typeEPNSI_ISD_E10value_typeEPSE_NS1_7vsmem_tEENKUlT_SC_SD_SE_E_clIS7_S7_S7_S7_EESB_SR_SC_SD_SE_EUlSR_E1_NS1_11comp_targetILNS1_3genE2ELNS1_11target_archE906ELNS1_3gpuE6ELNS1_3repE0EEENS1_36merge_oddeven_config_static_selectorELNS0_4arch9wavefront6targetE1EEEvSD_,"axG",@progbits,_ZN7rocprim17ROCPRIM_400000_NS6detail17trampoline_kernelINS0_14default_configENS1_38merge_sort_block_merge_config_selectorIiiEEZZNS1_27merge_sort_block_merge_implIS3_PiS7_jNS1_19radix_merge_compareILb0ELb1EiNS0_19identity_decomposerEEEEE10hipError_tT0_T1_T2_jT3_P12ihipStream_tbPNSt15iterator_traitsISC_E10value_typeEPNSI_ISD_E10value_typeEPSE_NS1_7vsmem_tEENKUlT_SC_SD_SE_E_clIS7_S7_S7_S7_EESB_SR_SC_SD_SE_EUlSR_E1_NS1_11comp_targetILNS1_3genE2ELNS1_11target_archE906ELNS1_3gpuE6ELNS1_3repE0EEENS1_36merge_oddeven_config_static_selectorELNS0_4arch9wavefront6targetE1EEEvSD_,comdat
.Lfunc_end346:
	.size	_ZN7rocprim17ROCPRIM_400000_NS6detail17trampoline_kernelINS0_14default_configENS1_38merge_sort_block_merge_config_selectorIiiEEZZNS1_27merge_sort_block_merge_implIS3_PiS7_jNS1_19radix_merge_compareILb0ELb1EiNS0_19identity_decomposerEEEEE10hipError_tT0_T1_T2_jT3_P12ihipStream_tbPNSt15iterator_traitsISC_E10value_typeEPNSI_ISD_E10value_typeEPSE_NS1_7vsmem_tEENKUlT_SC_SD_SE_E_clIS7_S7_S7_S7_EESB_SR_SC_SD_SE_EUlSR_E1_NS1_11comp_targetILNS1_3genE2ELNS1_11target_archE906ELNS1_3gpuE6ELNS1_3repE0EEENS1_36merge_oddeven_config_static_selectorELNS0_4arch9wavefront6targetE1EEEvSD_, .Lfunc_end346-_ZN7rocprim17ROCPRIM_400000_NS6detail17trampoline_kernelINS0_14default_configENS1_38merge_sort_block_merge_config_selectorIiiEEZZNS1_27merge_sort_block_merge_implIS3_PiS7_jNS1_19radix_merge_compareILb0ELb1EiNS0_19identity_decomposerEEEEE10hipError_tT0_T1_T2_jT3_P12ihipStream_tbPNSt15iterator_traitsISC_E10value_typeEPNSI_ISD_E10value_typeEPSE_NS1_7vsmem_tEENKUlT_SC_SD_SE_E_clIS7_S7_S7_S7_EESB_SR_SC_SD_SE_EUlSR_E1_NS1_11comp_targetILNS1_3genE2ELNS1_11target_archE906ELNS1_3gpuE6ELNS1_3repE0EEENS1_36merge_oddeven_config_static_selectorELNS0_4arch9wavefront6targetE1EEEvSD_
                                        ; -- End function
	.section	.AMDGPU.csdata,"",@progbits
; Kernel info:
; codeLenInByte = 0
; NumSgprs: 4
; NumVgprs: 0
; NumAgprs: 0
; TotalNumVgprs: 0
; ScratchSize: 0
; MemoryBound: 0
; FloatMode: 240
; IeeeMode: 1
; LDSByteSize: 0 bytes/workgroup (compile time only)
; SGPRBlocks: 0
; VGPRBlocks: 0
; NumSGPRsForWavesPerEU: 4
; NumVGPRsForWavesPerEU: 1
; AccumOffset: 4
; Occupancy: 8
; WaveLimiterHint : 0
; COMPUTE_PGM_RSRC2:SCRATCH_EN: 0
; COMPUTE_PGM_RSRC2:USER_SGPR: 6
; COMPUTE_PGM_RSRC2:TRAP_HANDLER: 0
; COMPUTE_PGM_RSRC2:TGID_X_EN: 1
; COMPUTE_PGM_RSRC2:TGID_Y_EN: 0
; COMPUTE_PGM_RSRC2:TGID_Z_EN: 0
; COMPUTE_PGM_RSRC2:TIDIG_COMP_CNT: 0
; COMPUTE_PGM_RSRC3_GFX90A:ACCUM_OFFSET: 0
; COMPUTE_PGM_RSRC3_GFX90A:TG_SPLIT: 0
	.section	.text._ZN7rocprim17ROCPRIM_400000_NS6detail17trampoline_kernelINS0_14default_configENS1_38merge_sort_block_merge_config_selectorIiiEEZZNS1_27merge_sort_block_merge_implIS3_PiS7_jNS1_19radix_merge_compareILb0ELb1EiNS0_19identity_decomposerEEEEE10hipError_tT0_T1_T2_jT3_P12ihipStream_tbPNSt15iterator_traitsISC_E10value_typeEPNSI_ISD_E10value_typeEPSE_NS1_7vsmem_tEENKUlT_SC_SD_SE_E_clIS7_S7_S7_S7_EESB_SR_SC_SD_SE_EUlSR_E1_NS1_11comp_targetILNS1_3genE9ELNS1_11target_archE1100ELNS1_3gpuE3ELNS1_3repE0EEENS1_36merge_oddeven_config_static_selectorELNS0_4arch9wavefront6targetE1EEEvSD_,"axG",@progbits,_ZN7rocprim17ROCPRIM_400000_NS6detail17trampoline_kernelINS0_14default_configENS1_38merge_sort_block_merge_config_selectorIiiEEZZNS1_27merge_sort_block_merge_implIS3_PiS7_jNS1_19radix_merge_compareILb0ELb1EiNS0_19identity_decomposerEEEEE10hipError_tT0_T1_T2_jT3_P12ihipStream_tbPNSt15iterator_traitsISC_E10value_typeEPNSI_ISD_E10value_typeEPSE_NS1_7vsmem_tEENKUlT_SC_SD_SE_E_clIS7_S7_S7_S7_EESB_SR_SC_SD_SE_EUlSR_E1_NS1_11comp_targetILNS1_3genE9ELNS1_11target_archE1100ELNS1_3gpuE3ELNS1_3repE0EEENS1_36merge_oddeven_config_static_selectorELNS0_4arch9wavefront6targetE1EEEvSD_,comdat
	.protected	_ZN7rocprim17ROCPRIM_400000_NS6detail17trampoline_kernelINS0_14default_configENS1_38merge_sort_block_merge_config_selectorIiiEEZZNS1_27merge_sort_block_merge_implIS3_PiS7_jNS1_19radix_merge_compareILb0ELb1EiNS0_19identity_decomposerEEEEE10hipError_tT0_T1_T2_jT3_P12ihipStream_tbPNSt15iterator_traitsISC_E10value_typeEPNSI_ISD_E10value_typeEPSE_NS1_7vsmem_tEENKUlT_SC_SD_SE_E_clIS7_S7_S7_S7_EESB_SR_SC_SD_SE_EUlSR_E1_NS1_11comp_targetILNS1_3genE9ELNS1_11target_archE1100ELNS1_3gpuE3ELNS1_3repE0EEENS1_36merge_oddeven_config_static_selectorELNS0_4arch9wavefront6targetE1EEEvSD_ ; -- Begin function _ZN7rocprim17ROCPRIM_400000_NS6detail17trampoline_kernelINS0_14default_configENS1_38merge_sort_block_merge_config_selectorIiiEEZZNS1_27merge_sort_block_merge_implIS3_PiS7_jNS1_19radix_merge_compareILb0ELb1EiNS0_19identity_decomposerEEEEE10hipError_tT0_T1_T2_jT3_P12ihipStream_tbPNSt15iterator_traitsISC_E10value_typeEPNSI_ISD_E10value_typeEPSE_NS1_7vsmem_tEENKUlT_SC_SD_SE_E_clIS7_S7_S7_S7_EESB_SR_SC_SD_SE_EUlSR_E1_NS1_11comp_targetILNS1_3genE9ELNS1_11target_archE1100ELNS1_3gpuE3ELNS1_3repE0EEENS1_36merge_oddeven_config_static_selectorELNS0_4arch9wavefront6targetE1EEEvSD_
	.globl	_ZN7rocprim17ROCPRIM_400000_NS6detail17trampoline_kernelINS0_14default_configENS1_38merge_sort_block_merge_config_selectorIiiEEZZNS1_27merge_sort_block_merge_implIS3_PiS7_jNS1_19radix_merge_compareILb0ELb1EiNS0_19identity_decomposerEEEEE10hipError_tT0_T1_T2_jT3_P12ihipStream_tbPNSt15iterator_traitsISC_E10value_typeEPNSI_ISD_E10value_typeEPSE_NS1_7vsmem_tEENKUlT_SC_SD_SE_E_clIS7_S7_S7_S7_EESB_SR_SC_SD_SE_EUlSR_E1_NS1_11comp_targetILNS1_3genE9ELNS1_11target_archE1100ELNS1_3gpuE3ELNS1_3repE0EEENS1_36merge_oddeven_config_static_selectorELNS0_4arch9wavefront6targetE1EEEvSD_
	.p2align	8
	.type	_ZN7rocprim17ROCPRIM_400000_NS6detail17trampoline_kernelINS0_14default_configENS1_38merge_sort_block_merge_config_selectorIiiEEZZNS1_27merge_sort_block_merge_implIS3_PiS7_jNS1_19radix_merge_compareILb0ELb1EiNS0_19identity_decomposerEEEEE10hipError_tT0_T1_T2_jT3_P12ihipStream_tbPNSt15iterator_traitsISC_E10value_typeEPNSI_ISD_E10value_typeEPSE_NS1_7vsmem_tEENKUlT_SC_SD_SE_E_clIS7_S7_S7_S7_EESB_SR_SC_SD_SE_EUlSR_E1_NS1_11comp_targetILNS1_3genE9ELNS1_11target_archE1100ELNS1_3gpuE3ELNS1_3repE0EEENS1_36merge_oddeven_config_static_selectorELNS0_4arch9wavefront6targetE1EEEvSD_,@function
_ZN7rocprim17ROCPRIM_400000_NS6detail17trampoline_kernelINS0_14default_configENS1_38merge_sort_block_merge_config_selectorIiiEEZZNS1_27merge_sort_block_merge_implIS3_PiS7_jNS1_19radix_merge_compareILb0ELb1EiNS0_19identity_decomposerEEEEE10hipError_tT0_T1_T2_jT3_P12ihipStream_tbPNSt15iterator_traitsISC_E10value_typeEPNSI_ISD_E10value_typeEPSE_NS1_7vsmem_tEENKUlT_SC_SD_SE_E_clIS7_S7_S7_S7_EESB_SR_SC_SD_SE_EUlSR_E1_NS1_11comp_targetILNS1_3genE9ELNS1_11target_archE1100ELNS1_3gpuE3ELNS1_3repE0EEENS1_36merge_oddeven_config_static_selectorELNS0_4arch9wavefront6targetE1EEEvSD_: ; @_ZN7rocprim17ROCPRIM_400000_NS6detail17trampoline_kernelINS0_14default_configENS1_38merge_sort_block_merge_config_selectorIiiEEZZNS1_27merge_sort_block_merge_implIS3_PiS7_jNS1_19radix_merge_compareILb0ELb1EiNS0_19identity_decomposerEEEEE10hipError_tT0_T1_T2_jT3_P12ihipStream_tbPNSt15iterator_traitsISC_E10value_typeEPNSI_ISD_E10value_typeEPSE_NS1_7vsmem_tEENKUlT_SC_SD_SE_E_clIS7_S7_S7_S7_EESB_SR_SC_SD_SE_EUlSR_E1_NS1_11comp_targetILNS1_3genE9ELNS1_11target_archE1100ELNS1_3gpuE3ELNS1_3repE0EEENS1_36merge_oddeven_config_static_selectorELNS0_4arch9wavefront6targetE1EEEvSD_
; %bb.0:
	.section	.rodata,"a",@progbits
	.p2align	6, 0x0
	.amdhsa_kernel _ZN7rocprim17ROCPRIM_400000_NS6detail17trampoline_kernelINS0_14default_configENS1_38merge_sort_block_merge_config_selectorIiiEEZZNS1_27merge_sort_block_merge_implIS3_PiS7_jNS1_19radix_merge_compareILb0ELb1EiNS0_19identity_decomposerEEEEE10hipError_tT0_T1_T2_jT3_P12ihipStream_tbPNSt15iterator_traitsISC_E10value_typeEPNSI_ISD_E10value_typeEPSE_NS1_7vsmem_tEENKUlT_SC_SD_SE_E_clIS7_S7_S7_S7_EESB_SR_SC_SD_SE_EUlSR_E1_NS1_11comp_targetILNS1_3genE9ELNS1_11target_archE1100ELNS1_3gpuE3ELNS1_3repE0EEENS1_36merge_oddeven_config_static_selectorELNS0_4arch9wavefront6targetE1EEEvSD_
		.amdhsa_group_segment_fixed_size 0
		.amdhsa_private_segment_fixed_size 0
		.amdhsa_kernarg_size 48
		.amdhsa_user_sgpr_count 6
		.amdhsa_user_sgpr_private_segment_buffer 1
		.amdhsa_user_sgpr_dispatch_ptr 0
		.amdhsa_user_sgpr_queue_ptr 0
		.amdhsa_user_sgpr_kernarg_segment_ptr 1
		.amdhsa_user_sgpr_dispatch_id 0
		.amdhsa_user_sgpr_flat_scratch_init 0
		.amdhsa_user_sgpr_kernarg_preload_length 0
		.amdhsa_user_sgpr_kernarg_preload_offset 0
		.amdhsa_user_sgpr_private_segment_size 0
		.amdhsa_uses_dynamic_stack 0
		.amdhsa_system_sgpr_private_segment_wavefront_offset 0
		.amdhsa_system_sgpr_workgroup_id_x 1
		.amdhsa_system_sgpr_workgroup_id_y 0
		.amdhsa_system_sgpr_workgroup_id_z 0
		.amdhsa_system_sgpr_workgroup_info 0
		.amdhsa_system_vgpr_workitem_id 0
		.amdhsa_next_free_vgpr 1
		.amdhsa_next_free_sgpr 0
		.amdhsa_accum_offset 4
		.amdhsa_reserve_vcc 0
		.amdhsa_reserve_flat_scratch 0
		.amdhsa_float_round_mode_32 0
		.amdhsa_float_round_mode_16_64 0
		.amdhsa_float_denorm_mode_32 3
		.amdhsa_float_denorm_mode_16_64 3
		.amdhsa_dx10_clamp 1
		.amdhsa_ieee_mode 1
		.amdhsa_fp16_overflow 0
		.amdhsa_tg_split 0
		.amdhsa_exception_fp_ieee_invalid_op 0
		.amdhsa_exception_fp_denorm_src 0
		.amdhsa_exception_fp_ieee_div_zero 0
		.amdhsa_exception_fp_ieee_overflow 0
		.amdhsa_exception_fp_ieee_underflow 0
		.amdhsa_exception_fp_ieee_inexact 0
		.amdhsa_exception_int_div_zero 0
	.end_amdhsa_kernel
	.section	.text._ZN7rocprim17ROCPRIM_400000_NS6detail17trampoline_kernelINS0_14default_configENS1_38merge_sort_block_merge_config_selectorIiiEEZZNS1_27merge_sort_block_merge_implIS3_PiS7_jNS1_19radix_merge_compareILb0ELb1EiNS0_19identity_decomposerEEEEE10hipError_tT0_T1_T2_jT3_P12ihipStream_tbPNSt15iterator_traitsISC_E10value_typeEPNSI_ISD_E10value_typeEPSE_NS1_7vsmem_tEENKUlT_SC_SD_SE_E_clIS7_S7_S7_S7_EESB_SR_SC_SD_SE_EUlSR_E1_NS1_11comp_targetILNS1_3genE9ELNS1_11target_archE1100ELNS1_3gpuE3ELNS1_3repE0EEENS1_36merge_oddeven_config_static_selectorELNS0_4arch9wavefront6targetE1EEEvSD_,"axG",@progbits,_ZN7rocprim17ROCPRIM_400000_NS6detail17trampoline_kernelINS0_14default_configENS1_38merge_sort_block_merge_config_selectorIiiEEZZNS1_27merge_sort_block_merge_implIS3_PiS7_jNS1_19radix_merge_compareILb0ELb1EiNS0_19identity_decomposerEEEEE10hipError_tT0_T1_T2_jT3_P12ihipStream_tbPNSt15iterator_traitsISC_E10value_typeEPNSI_ISD_E10value_typeEPSE_NS1_7vsmem_tEENKUlT_SC_SD_SE_E_clIS7_S7_S7_S7_EESB_SR_SC_SD_SE_EUlSR_E1_NS1_11comp_targetILNS1_3genE9ELNS1_11target_archE1100ELNS1_3gpuE3ELNS1_3repE0EEENS1_36merge_oddeven_config_static_selectorELNS0_4arch9wavefront6targetE1EEEvSD_,comdat
.Lfunc_end347:
	.size	_ZN7rocprim17ROCPRIM_400000_NS6detail17trampoline_kernelINS0_14default_configENS1_38merge_sort_block_merge_config_selectorIiiEEZZNS1_27merge_sort_block_merge_implIS3_PiS7_jNS1_19radix_merge_compareILb0ELb1EiNS0_19identity_decomposerEEEEE10hipError_tT0_T1_T2_jT3_P12ihipStream_tbPNSt15iterator_traitsISC_E10value_typeEPNSI_ISD_E10value_typeEPSE_NS1_7vsmem_tEENKUlT_SC_SD_SE_E_clIS7_S7_S7_S7_EESB_SR_SC_SD_SE_EUlSR_E1_NS1_11comp_targetILNS1_3genE9ELNS1_11target_archE1100ELNS1_3gpuE3ELNS1_3repE0EEENS1_36merge_oddeven_config_static_selectorELNS0_4arch9wavefront6targetE1EEEvSD_, .Lfunc_end347-_ZN7rocprim17ROCPRIM_400000_NS6detail17trampoline_kernelINS0_14default_configENS1_38merge_sort_block_merge_config_selectorIiiEEZZNS1_27merge_sort_block_merge_implIS3_PiS7_jNS1_19radix_merge_compareILb0ELb1EiNS0_19identity_decomposerEEEEE10hipError_tT0_T1_T2_jT3_P12ihipStream_tbPNSt15iterator_traitsISC_E10value_typeEPNSI_ISD_E10value_typeEPSE_NS1_7vsmem_tEENKUlT_SC_SD_SE_E_clIS7_S7_S7_S7_EESB_SR_SC_SD_SE_EUlSR_E1_NS1_11comp_targetILNS1_3genE9ELNS1_11target_archE1100ELNS1_3gpuE3ELNS1_3repE0EEENS1_36merge_oddeven_config_static_selectorELNS0_4arch9wavefront6targetE1EEEvSD_
                                        ; -- End function
	.section	.AMDGPU.csdata,"",@progbits
; Kernel info:
; codeLenInByte = 0
; NumSgprs: 4
; NumVgprs: 0
; NumAgprs: 0
; TotalNumVgprs: 0
; ScratchSize: 0
; MemoryBound: 0
; FloatMode: 240
; IeeeMode: 1
; LDSByteSize: 0 bytes/workgroup (compile time only)
; SGPRBlocks: 0
; VGPRBlocks: 0
; NumSGPRsForWavesPerEU: 4
; NumVGPRsForWavesPerEU: 1
; AccumOffset: 4
; Occupancy: 8
; WaveLimiterHint : 0
; COMPUTE_PGM_RSRC2:SCRATCH_EN: 0
; COMPUTE_PGM_RSRC2:USER_SGPR: 6
; COMPUTE_PGM_RSRC2:TRAP_HANDLER: 0
; COMPUTE_PGM_RSRC2:TGID_X_EN: 1
; COMPUTE_PGM_RSRC2:TGID_Y_EN: 0
; COMPUTE_PGM_RSRC2:TGID_Z_EN: 0
; COMPUTE_PGM_RSRC2:TIDIG_COMP_CNT: 0
; COMPUTE_PGM_RSRC3_GFX90A:ACCUM_OFFSET: 0
; COMPUTE_PGM_RSRC3_GFX90A:TG_SPLIT: 0
	.section	.text._ZN7rocprim17ROCPRIM_400000_NS6detail17trampoline_kernelINS0_14default_configENS1_38merge_sort_block_merge_config_selectorIiiEEZZNS1_27merge_sort_block_merge_implIS3_PiS7_jNS1_19radix_merge_compareILb0ELb1EiNS0_19identity_decomposerEEEEE10hipError_tT0_T1_T2_jT3_P12ihipStream_tbPNSt15iterator_traitsISC_E10value_typeEPNSI_ISD_E10value_typeEPSE_NS1_7vsmem_tEENKUlT_SC_SD_SE_E_clIS7_S7_S7_S7_EESB_SR_SC_SD_SE_EUlSR_E1_NS1_11comp_targetILNS1_3genE8ELNS1_11target_archE1030ELNS1_3gpuE2ELNS1_3repE0EEENS1_36merge_oddeven_config_static_selectorELNS0_4arch9wavefront6targetE1EEEvSD_,"axG",@progbits,_ZN7rocprim17ROCPRIM_400000_NS6detail17trampoline_kernelINS0_14default_configENS1_38merge_sort_block_merge_config_selectorIiiEEZZNS1_27merge_sort_block_merge_implIS3_PiS7_jNS1_19radix_merge_compareILb0ELb1EiNS0_19identity_decomposerEEEEE10hipError_tT0_T1_T2_jT3_P12ihipStream_tbPNSt15iterator_traitsISC_E10value_typeEPNSI_ISD_E10value_typeEPSE_NS1_7vsmem_tEENKUlT_SC_SD_SE_E_clIS7_S7_S7_S7_EESB_SR_SC_SD_SE_EUlSR_E1_NS1_11comp_targetILNS1_3genE8ELNS1_11target_archE1030ELNS1_3gpuE2ELNS1_3repE0EEENS1_36merge_oddeven_config_static_selectorELNS0_4arch9wavefront6targetE1EEEvSD_,comdat
	.protected	_ZN7rocprim17ROCPRIM_400000_NS6detail17trampoline_kernelINS0_14default_configENS1_38merge_sort_block_merge_config_selectorIiiEEZZNS1_27merge_sort_block_merge_implIS3_PiS7_jNS1_19radix_merge_compareILb0ELb1EiNS0_19identity_decomposerEEEEE10hipError_tT0_T1_T2_jT3_P12ihipStream_tbPNSt15iterator_traitsISC_E10value_typeEPNSI_ISD_E10value_typeEPSE_NS1_7vsmem_tEENKUlT_SC_SD_SE_E_clIS7_S7_S7_S7_EESB_SR_SC_SD_SE_EUlSR_E1_NS1_11comp_targetILNS1_3genE8ELNS1_11target_archE1030ELNS1_3gpuE2ELNS1_3repE0EEENS1_36merge_oddeven_config_static_selectorELNS0_4arch9wavefront6targetE1EEEvSD_ ; -- Begin function _ZN7rocprim17ROCPRIM_400000_NS6detail17trampoline_kernelINS0_14default_configENS1_38merge_sort_block_merge_config_selectorIiiEEZZNS1_27merge_sort_block_merge_implIS3_PiS7_jNS1_19radix_merge_compareILb0ELb1EiNS0_19identity_decomposerEEEEE10hipError_tT0_T1_T2_jT3_P12ihipStream_tbPNSt15iterator_traitsISC_E10value_typeEPNSI_ISD_E10value_typeEPSE_NS1_7vsmem_tEENKUlT_SC_SD_SE_E_clIS7_S7_S7_S7_EESB_SR_SC_SD_SE_EUlSR_E1_NS1_11comp_targetILNS1_3genE8ELNS1_11target_archE1030ELNS1_3gpuE2ELNS1_3repE0EEENS1_36merge_oddeven_config_static_selectorELNS0_4arch9wavefront6targetE1EEEvSD_
	.globl	_ZN7rocprim17ROCPRIM_400000_NS6detail17trampoline_kernelINS0_14default_configENS1_38merge_sort_block_merge_config_selectorIiiEEZZNS1_27merge_sort_block_merge_implIS3_PiS7_jNS1_19radix_merge_compareILb0ELb1EiNS0_19identity_decomposerEEEEE10hipError_tT0_T1_T2_jT3_P12ihipStream_tbPNSt15iterator_traitsISC_E10value_typeEPNSI_ISD_E10value_typeEPSE_NS1_7vsmem_tEENKUlT_SC_SD_SE_E_clIS7_S7_S7_S7_EESB_SR_SC_SD_SE_EUlSR_E1_NS1_11comp_targetILNS1_3genE8ELNS1_11target_archE1030ELNS1_3gpuE2ELNS1_3repE0EEENS1_36merge_oddeven_config_static_selectorELNS0_4arch9wavefront6targetE1EEEvSD_
	.p2align	8
	.type	_ZN7rocprim17ROCPRIM_400000_NS6detail17trampoline_kernelINS0_14default_configENS1_38merge_sort_block_merge_config_selectorIiiEEZZNS1_27merge_sort_block_merge_implIS3_PiS7_jNS1_19radix_merge_compareILb0ELb1EiNS0_19identity_decomposerEEEEE10hipError_tT0_T1_T2_jT3_P12ihipStream_tbPNSt15iterator_traitsISC_E10value_typeEPNSI_ISD_E10value_typeEPSE_NS1_7vsmem_tEENKUlT_SC_SD_SE_E_clIS7_S7_S7_S7_EESB_SR_SC_SD_SE_EUlSR_E1_NS1_11comp_targetILNS1_3genE8ELNS1_11target_archE1030ELNS1_3gpuE2ELNS1_3repE0EEENS1_36merge_oddeven_config_static_selectorELNS0_4arch9wavefront6targetE1EEEvSD_,@function
_ZN7rocprim17ROCPRIM_400000_NS6detail17trampoline_kernelINS0_14default_configENS1_38merge_sort_block_merge_config_selectorIiiEEZZNS1_27merge_sort_block_merge_implIS3_PiS7_jNS1_19radix_merge_compareILb0ELb1EiNS0_19identity_decomposerEEEEE10hipError_tT0_T1_T2_jT3_P12ihipStream_tbPNSt15iterator_traitsISC_E10value_typeEPNSI_ISD_E10value_typeEPSE_NS1_7vsmem_tEENKUlT_SC_SD_SE_E_clIS7_S7_S7_S7_EESB_SR_SC_SD_SE_EUlSR_E1_NS1_11comp_targetILNS1_3genE8ELNS1_11target_archE1030ELNS1_3gpuE2ELNS1_3repE0EEENS1_36merge_oddeven_config_static_selectorELNS0_4arch9wavefront6targetE1EEEvSD_: ; @_ZN7rocprim17ROCPRIM_400000_NS6detail17trampoline_kernelINS0_14default_configENS1_38merge_sort_block_merge_config_selectorIiiEEZZNS1_27merge_sort_block_merge_implIS3_PiS7_jNS1_19radix_merge_compareILb0ELb1EiNS0_19identity_decomposerEEEEE10hipError_tT0_T1_T2_jT3_P12ihipStream_tbPNSt15iterator_traitsISC_E10value_typeEPNSI_ISD_E10value_typeEPSE_NS1_7vsmem_tEENKUlT_SC_SD_SE_E_clIS7_S7_S7_S7_EESB_SR_SC_SD_SE_EUlSR_E1_NS1_11comp_targetILNS1_3genE8ELNS1_11target_archE1030ELNS1_3gpuE2ELNS1_3repE0EEENS1_36merge_oddeven_config_static_selectorELNS0_4arch9wavefront6targetE1EEEvSD_
; %bb.0:
	.section	.rodata,"a",@progbits
	.p2align	6, 0x0
	.amdhsa_kernel _ZN7rocprim17ROCPRIM_400000_NS6detail17trampoline_kernelINS0_14default_configENS1_38merge_sort_block_merge_config_selectorIiiEEZZNS1_27merge_sort_block_merge_implIS3_PiS7_jNS1_19radix_merge_compareILb0ELb1EiNS0_19identity_decomposerEEEEE10hipError_tT0_T1_T2_jT3_P12ihipStream_tbPNSt15iterator_traitsISC_E10value_typeEPNSI_ISD_E10value_typeEPSE_NS1_7vsmem_tEENKUlT_SC_SD_SE_E_clIS7_S7_S7_S7_EESB_SR_SC_SD_SE_EUlSR_E1_NS1_11comp_targetILNS1_3genE8ELNS1_11target_archE1030ELNS1_3gpuE2ELNS1_3repE0EEENS1_36merge_oddeven_config_static_selectorELNS0_4arch9wavefront6targetE1EEEvSD_
		.amdhsa_group_segment_fixed_size 0
		.amdhsa_private_segment_fixed_size 0
		.amdhsa_kernarg_size 48
		.amdhsa_user_sgpr_count 6
		.amdhsa_user_sgpr_private_segment_buffer 1
		.amdhsa_user_sgpr_dispatch_ptr 0
		.amdhsa_user_sgpr_queue_ptr 0
		.amdhsa_user_sgpr_kernarg_segment_ptr 1
		.amdhsa_user_sgpr_dispatch_id 0
		.amdhsa_user_sgpr_flat_scratch_init 0
		.amdhsa_user_sgpr_kernarg_preload_length 0
		.amdhsa_user_sgpr_kernarg_preload_offset 0
		.amdhsa_user_sgpr_private_segment_size 0
		.amdhsa_uses_dynamic_stack 0
		.amdhsa_system_sgpr_private_segment_wavefront_offset 0
		.amdhsa_system_sgpr_workgroup_id_x 1
		.amdhsa_system_sgpr_workgroup_id_y 0
		.amdhsa_system_sgpr_workgroup_id_z 0
		.amdhsa_system_sgpr_workgroup_info 0
		.amdhsa_system_vgpr_workitem_id 0
		.amdhsa_next_free_vgpr 1
		.amdhsa_next_free_sgpr 0
		.amdhsa_accum_offset 4
		.amdhsa_reserve_vcc 0
		.amdhsa_reserve_flat_scratch 0
		.amdhsa_float_round_mode_32 0
		.amdhsa_float_round_mode_16_64 0
		.amdhsa_float_denorm_mode_32 3
		.amdhsa_float_denorm_mode_16_64 3
		.amdhsa_dx10_clamp 1
		.amdhsa_ieee_mode 1
		.amdhsa_fp16_overflow 0
		.amdhsa_tg_split 0
		.amdhsa_exception_fp_ieee_invalid_op 0
		.amdhsa_exception_fp_denorm_src 0
		.amdhsa_exception_fp_ieee_div_zero 0
		.amdhsa_exception_fp_ieee_overflow 0
		.amdhsa_exception_fp_ieee_underflow 0
		.amdhsa_exception_fp_ieee_inexact 0
		.amdhsa_exception_int_div_zero 0
	.end_amdhsa_kernel
	.section	.text._ZN7rocprim17ROCPRIM_400000_NS6detail17trampoline_kernelINS0_14default_configENS1_38merge_sort_block_merge_config_selectorIiiEEZZNS1_27merge_sort_block_merge_implIS3_PiS7_jNS1_19radix_merge_compareILb0ELb1EiNS0_19identity_decomposerEEEEE10hipError_tT0_T1_T2_jT3_P12ihipStream_tbPNSt15iterator_traitsISC_E10value_typeEPNSI_ISD_E10value_typeEPSE_NS1_7vsmem_tEENKUlT_SC_SD_SE_E_clIS7_S7_S7_S7_EESB_SR_SC_SD_SE_EUlSR_E1_NS1_11comp_targetILNS1_3genE8ELNS1_11target_archE1030ELNS1_3gpuE2ELNS1_3repE0EEENS1_36merge_oddeven_config_static_selectorELNS0_4arch9wavefront6targetE1EEEvSD_,"axG",@progbits,_ZN7rocprim17ROCPRIM_400000_NS6detail17trampoline_kernelINS0_14default_configENS1_38merge_sort_block_merge_config_selectorIiiEEZZNS1_27merge_sort_block_merge_implIS3_PiS7_jNS1_19radix_merge_compareILb0ELb1EiNS0_19identity_decomposerEEEEE10hipError_tT0_T1_T2_jT3_P12ihipStream_tbPNSt15iterator_traitsISC_E10value_typeEPNSI_ISD_E10value_typeEPSE_NS1_7vsmem_tEENKUlT_SC_SD_SE_E_clIS7_S7_S7_S7_EESB_SR_SC_SD_SE_EUlSR_E1_NS1_11comp_targetILNS1_3genE8ELNS1_11target_archE1030ELNS1_3gpuE2ELNS1_3repE0EEENS1_36merge_oddeven_config_static_selectorELNS0_4arch9wavefront6targetE1EEEvSD_,comdat
.Lfunc_end348:
	.size	_ZN7rocprim17ROCPRIM_400000_NS6detail17trampoline_kernelINS0_14default_configENS1_38merge_sort_block_merge_config_selectorIiiEEZZNS1_27merge_sort_block_merge_implIS3_PiS7_jNS1_19radix_merge_compareILb0ELb1EiNS0_19identity_decomposerEEEEE10hipError_tT0_T1_T2_jT3_P12ihipStream_tbPNSt15iterator_traitsISC_E10value_typeEPNSI_ISD_E10value_typeEPSE_NS1_7vsmem_tEENKUlT_SC_SD_SE_E_clIS7_S7_S7_S7_EESB_SR_SC_SD_SE_EUlSR_E1_NS1_11comp_targetILNS1_3genE8ELNS1_11target_archE1030ELNS1_3gpuE2ELNS1_3repE0EEENS1_36merge_oddeven_config_static_selectorELNS0_4arch9wavefront6targetE1EEEvSD_, .Lfunc_end348-_ZN7rocprim17ROCPRIM_400000_NS6detail17trampoline_kernelINS0_14default_configENS1_38merge_sort_block_merge_config_selectorIiiEEZZNS1_27merge_sort_block_merge_implIS3_PiS7_jNS1_19radix_merge_compareILb0ELb1EiNS0_19identity_decomposerEEEEE10hipError_tT0_T1_T2_jT3_P12ihipStream_tbPNSt15iterator_traitsISC_E10value_typeEPNSI_ISD_E10value_typeEPSE_NS1_7vsmem_tEENKUlT_SC_SD_SE_E_clIS7_S7_S7_S7_EESB_SR_SC_SD_SE_EUlSR_E1_NS1_11comp_targetILNS1_3genE8ELNS1_11target_archE1030ELNS1_3gpuE2ELNS1_3repE0EEENS1_36merge_oddeven_config_static_selectorELNS0_4arch9wavefront6targetE1EEEvSD_
                                        ; -- End function
	.section	.AMDGPU.csdata,"",@progbits
; Kernel info:
; codeLenInByte = 0
; NumSgprs: 4
; NumVgprs: 0
; NumAgprs: 0
; TotalNumVgprs: 0
; ScratchSize: 0
; MemoryBound: 0
; FloatMode: 240
; IeeeMode: 1
; LDSByteSize: 0 bytes/workgroup (compile time only)
; SGPRBlocks: 0
; VGPRBlocks: 0
; NumSGPRsForWavesPerEU: 4
; NumVGPRsForWavesPerEU: 1
; AccumOffset: 4
; Occupancy: 8
; WaveLimiterHint : 0
; COMPUTE_PGM_RSRC2:SCRATCH_EN: 0
; COMPUTE_PGM_RSRC2:USER_SGPR: 6
; COMPUTE_PGM_RSRC2:TRAP_HANDLER: 0
; COMPUTE_PGM_RSRC2:TGID_X_EN: 1
; COMPUTE_PGM_RSRC2:TGID_Y_EN: 0
; COMPUTE_PGM_RSRC2:TGID_Z_EN: 0
; COMPUTE_PGM_RSRC2:TIDIG_COMP_CNT: 0
; COMPUTE_PGM_RSRC3_GFX90A:ACCUM_OFFSET: 0
; COMPUTE_PGM_RSRC3_GFX90A:TG_SPLIT: 0
	.section	.text._ZN7rocprim17ROCPRIM_400000_NS6detail17trampoline_kernelINS0_14default_configENS1_35radix_sort_onesweep_config_selectorIiiEEZNS1_34radix_sort_onesweep_global_offsetsIS3_Lb0EPiS7_jNS0_19identity_decomposerEEE10hipError_tT1_T2_PT3_SC_jT4_jjP12ihipStream_tbEUlT_E_NS1_11comp_targetILNS1_3genE0ELNS1_11target_archE4294967295ELNS1_3gpuE0ELNS1_3repE0EEENS1_52radix_sort_onesweep_histogram_config_static_selectorELNS0_4arch9wavefront6targetE1EEEvSA_,"axG",@progbits,_ZN7rocprim17ROCPRIM_400000_NS6detail17trampoline_kernelINS0_14default_configENS1_35radix_sort_onesweep_config_selectorIiiEEZNS1_34radix_sort_onesweep_global_offsetsIS3_Lb0EPiS7_jNS0_19identity_decomposerEEE10hipError_tT1_T2_PT3_SC_jT4_jjP12ihipStream_tbEUlT_E_NS1_11comp_targetILNS1_3genE0ELNS1_11target_archE4294967295ELNS1_3gpuE0ELNS1_3repE0EEENS1_52radix_sort_onesweep_histogram_config_static_selectorELNS0_4arch9wavefront6targetE1EEEvSA_,comdat
	.protected	_ZN7rocprim17ROCPRIM_400000_NS6detail17trampoline_kernelINS0_14default_configENS1_35radix_sort_onesweep_config_selectorIiiEEZNS1_34radix_sort_onesweep_global_offsetsIS3_Lb0EPiS7_jNS0_19identity_decomposerEEE10hipError_tT1_T2_PT3_SC_jT4_jjP12ihipStream_tbEUlT_E_NS1_11comp_targetILNS1_3genE0ELNS1_11target_archE4294967295ELNS1_3gpuE0ELNS1_3repE0EEENS1_52radix_sort_onesweep_histogram_config_static_selectorELNS0_4arch9wavefront6targetE1EEEvSA_ ; -- Begin function _ZN7rocprim17ROCPRIM_400000_NS6detail17trampoline_kernelINS0_14default_configENS1_35radix_sort_onesweep_config_selectorIiiEEZNS1_34radix_sort_onesweep_global_offsetsIS3_Lb0EPiS7_jNS0_19identity_decomposerEEE10hipError_tT1_T2_PT3_SC_jT4_jjP12ihipStream_tbEUlT_E_NS1_11comp_targetILNS1_3genE0ELNS1_11target_archE4294967295ELNS1_3gpuE0ELNS1_3repE0EEENS1_52radix_sort_onesweep_histogram_config_static_selectorELNS0_4arch9wavefront6targetE1EEEvSA_
	.globl	_ZN7rocprim17ROCPRIM_400000_NS6detail17trampoline_kernelINS0_14default_configENS1_35radix_sort_onesweep_config_selectorIiiEEZNS1_34radix_sort_onesweep_global_offsetsIS3_Lb0EPiS7_jNS0_19identity_decomposerEEE10hipError_tT1_T2_PT3_SC_jT4_jjP12ihipStream_tbEUlT_E_NS1_11comp_targetILNS1_3genE0ELNS1_11target_archE4294967295ELNS1_3gpuE0ELNS1_3repE0EEENS1_52radix_sort_onesweep_histogram_config_static_selectorELNS0_4arch9wavefront6targetE1EEEvSA_
	.p2align	8
	.type	_ZN7rocprim17ROCPRIM_400000_NS6detail17trampoline_kernelINS0_14default_configENS1_35radix_sort_onesweep_config_selectorIiiEEZNS1_34radix_sort_onesweep_global_offsetsIS3_Lb0EPiS7_jNS0_19identity_decomposerEEE10hipError_tT1_T2_PT3_SC_jT4_jjP12ihipStream_tbEUlT_E_NS1_11comp_targetILNS1_3genE0ELNS1_11target_archE4294967295ELNS1_3gpuE0ELNS1_3repE0EEENS1_52radix_sort_onesweep_histogram_config_static_selectorELNS0_4arch9wavefront6targetE1EEEvSA_,@function
_ZN7rocprim17ROCPRIM_400000_NS6detail17trampoline_kernelINS0_14default_configENS1_35radix_sort_onesweep_config_selectorIiiEEZNS1_34radix_sort_onesweep_global_offsetsIS3_Lb0EPiS7_jNS0_19identity_decomposerEEE10hipError_tT1_T2_PT3_SC_jT4_jjP12ihipStream_tbEUlT_E_NS1_11comp_targetILNS1_3genE0ELNS1_11target_archE4294967295ELNS1_3gpuE0ELNS1_3repE0EEENS1_52radix_sort_onesweep_histogram_config_static_selectorELNS0_4arch9wavefront6targetE1EEEvSA_: ; @_ZN7rocprim17ROCPRIM_400000_NS6detail17trampoline_kernelINS0_14default_configENS1_35radix_sort_onesweep_config_selectorIiiEEZNS1_34radix_sort_onesweep_global_offsetsIS3_Lb0EPiS7_jNS0_19identity_decomposerEEE10hipError_tT1_T2_PT3_SC_jT4_jjP12ihipStream_tbEUlT_E_NS1_11comp_targetILNS1_3genE0ELNS1_11target_archE4294967295ELNS1_3gpuE0ELNS1_3repE0EEENS1_52radix_sort_onesweep_histogram_config_static_selectorELNS0_4arch9wavefront6targetE1EEEvSA_
; %bb.0:
	.section	.rodata,"a",@progbits
	.p2align	6, 0x0
	.amdhsa_kernel _ZN7rocprim17ROCPRIM_400000_NS6detail17trampoline_kernelINS0_14default_configENS1_35radix_sort_onesweep_config_selectorIiiEEZNS1_34radix_sort_onesweep_global_offsetsIS3_Lb0EPiS7_jNS0_19identity_decomposerEEE10hipError_tT1_T2_PT3_SC_jT4_jjP12ihipStream_tbEUlT_E_NS1_11comp_targetILNS1_3genE0ELNS1_11target_archE4294967295ELNS1_3gpuE0ELNS1_3repE0EEENS1_52radix_sort_onesweep_histogram_config_static_selectorELNS0_4arch9wavefront6targetE1EEEvSA_
		.amdhsa_group_segment_fixed_size 0
		.amdhsa_private_segment_fixed_size 0
		.amdhsa_kernarg_size 40
		.amdhsa_user_sgpr_count 6
		.amdhsa_user_sgpr_private_segment_buffer 1
		.amdhsa_user_sgpr_dispatch_ptr 0
		.amdhsa_user_sgpr_queue_ptr 0
		.amdhsa_user_sgpr_kernarg_segment_ptr 1
		.amdhsa_user_sgpr_dispatch_id 0
		.amdhsa_user_sgpr_flat_scratch_init 0
		.amdhsa_user_sgpr_kernarg_preload_length 0
		.amdhsa_user_sgpr_kernarg_preload_offset 0
		.amdhsa_user_sgpr_private_segment_size 0
		.amdhsa_uses_dynamic_stack 0
		.amdhsa_system_sgpr_private_segment_wavefront_offset 0
		.amdhsa_system_sgpr_workgroup_id_x 1
		.amdhsa_system_sgpr_workgroup_id_y 0
		.amdhsa_system_sgpr_workgroup_id_z 0
		.amdhsa_system_sgpr_workgroup_info 0
		.amdhsa_system_vgpr_workitem_id 0
		.amdhsa_next_free_vgpr 1
		.amdhsa_next_free_sgpr 0
		.amdhsa_accum_offset 4
		.amdhsa_reserve_vcc 0
		.amdhsa_reserve_flat_scratch 0
		.amdhsa_float_round_mode_32 0
		.amdhsa_float_round_mode_16_64 0
		.amdhsa_float_denorm_mode_32 3
		.amdhsa_float_denorm_mode_16_64 3
		.amdhsa_dx10_clamp 1
		.amdhsa_ieee_mode 1
		.amdhsa_fp16_overflow 0
		.amdhsa_tg_split 0
		.amdhsa_exception_fp_ieee_invalid_op 0
		.amdhsa_exception_fp_denorm_src 0
		.amdhsa_exception_fp_ieee_div_zero 0
		.amdhsa_exception_fp_ieee_overflow 0
		.amdhsa_exception_fp_ieee_underflow 0
		.amdhsa_exception_fp_ieee_inexact 0
		.amdhsa_exception_int_div_zero 0
	.end_amdhsa_kernel
	.section	.text._ZN7rocprim17ROCPRIM_400000_NS6detail17trampoline_kernelINS0_14default_configENS1_35radix_sort_onesweep_config_selectorIiiEEZNS1_34radix_sort_onesweep_global_offsetsIS3_Lb0EPiS7_jNS0_19identity_decomposerEEE10hipError_tT1_T2_PT3_SC_jT4_jjP12ihipStream_tbEUlT_E_NS1_11comp_targetILNS1_3genE0ELNS1_11target_archE4294967295ELNS1_3gpuE0ELNS1_3repE0EEENS1_52radix_sort_onesweep_histogram_config_static_selectorELNS0_4arch9wavefront6targetE1EEEvSA_,"axG",@progbits,_ZN7rocprim17ROCPRIM_400000_NS6detail17trampoline_kernelINS0_14default_configENS1_35radix_sort_onesweep_config_selectorIiiEEZNS1_34radix_sort_onesweep_global_offsetsIS3_Lb0EPiS7_jNS0_19identity_decomposerEEE10hipError_tT1_T2_PT3_SC_jT4_jjP12ihipStream_tbEUlT_E_NS1_11comp_targetILNS1_3genE0ELNS1_11target_archE4294967295ELNS1_3gpuE0ELNS1_3repE0EEENS1_52radix_sort_onesweep_histogram_config_static_selectorELNS0_4arch9wavefront6targetE1EEEvSA_,comdat
.Lfunc_end349:
	.size	_ZN7rocprim17ROCPRIM_400000_NS6detail17trampoline_kernelINS0_14default_configENS1_35radix_sort_onesweep_config_selectorIiiEEZNS1_34radix_sort_onesweep_global_offsetsIS3_Lb0EPiS7_jNS0_19identity_decomposerEEE10hipError_tT1_T2_PT3_SC_jT4_jjP12ihipStream_tbEUlT_E_NS1_11comp_targetILNS1_3genE0ELNS1_11target_archE4294967295ELNS1_3gpuE0ELNS1_3repE0EEENS1_52radix_sort_onesweep_histogram_config_static_selectorELNS0_4arch9wavefront6targetE1EEEvSA_, .Lfunc_end349-_ZN7rocprim17ROCPRIM_400000_NS6detail17trampoline_kernelINS0_14default_configENS1_35radix_sort_onesweep_config_selectorIiiEEZNS1_34radix_sort_onesweep_global_offsetsIS3_Lb0EPiS7_jNS0_19identity_decomposerEEE10hipError_tT1_T2_PT3_SC_jT4_jjP12ihipStream_tbEUlT_E_NS1_11comp_targetILNS1_3genE0ELNS1_11target_archE4294967295ELNS1_3gpuE0ELNS1_3repE0EEENS1_52radix_sort_onesweep_histogram_config_static_selectorELNS0_4arch9wavefront6targetE1EEEvSA_
                                        ; -- End function
	.section	.AMDGPU.csdata,"",@progbits
; Kernel info:
; codeLenInByte = 0
; NumSgprs: 4
; NumVgprs: 0
; NumAgprs: 0
; TotalNumVgprs: 0
; ScratchSize: 0
; MemoryBound: 0
; FloatMode: 240
; IeeeMode: 1
; LDSByteSize: 0 bytes/workgroup (compile time only)
; SGPRBlocks: 0
; VGPRBlocks: 0
; NumSGPRsForWavesPerEU: 4
; NumVGPRsForWavesPerEU: 1
; AccumOffset: 4
; Occupancy: 8
; WaveLimiterHint : 0
; COMPUTE_PGM_RSRC2:SCRATCH_EN: 0
; COMPUTE_PGM_RSRC2:USER_SGPR: 6
; COMPUTE_PGM_RSRC2:TRAP_HANDLER: 0
; COMPUTE_PGM_RSRC2:TGID_X_EN: 1
; COMPUTE_PGM_RSRC2:TGID_Y_EN: 0
; COMPUTE_PGM_RSRC2:TGID_Z_EN: 0
; COMPUTE_PGM_RSRC2:TIDIG_COMP_CNT: 0
; COMPUTE_PGM_RSRC3_GFX90A:ACCUM_OFFSET: 0
; COMPUTE_PGM_RSRC3_GFX90A:TG_SPLIT: 0
	.section	.text._ZN7rocprim17ROCPRIM_400000_NS6detail17trampoline_kernelINS0_14default_configENS1_35radix_sort_onesweep_config_selectorIiiEEZNS1_34radix_sort_onesweep_global_offsetsIS3_Lb0EPiS7_jNS0_19identity_decomposerEEE10hipError_tT1_T2_PT3_SC_jT4_jjP12ihipStream_tbEUlT_E_NS1_11comp_targetILNS1_3genE6ELNS1_11target_archE950ELNS1_3gpuE13ELNS1_3repE0EEENS1_52radix_sort_onesweep_histogram_config_static_selectorELNS0_4arch9wavefront6targetE1EEEvSA_,"axG",@progbits,_ZN7rocprim17ROCPRIM_400000_NS6detail17trampoline_kernelINS0_14default_configENS1_35radix_sort_onesweep_config_selectorIiiEEZNS1_34radix_sort_onesweep_global_offsetsIS3_Lb0EPiS7_jNS0_19identity_decomposerEEE10hipError_tT1_T2_PT3_SC_jT4_jjP12ihipStream_tbEUlT_E_NS1_11comp_targetILNS1_3genE6ELNS1_11target_archE950ELNS1_3gpuE13ELNS1_3repE0EEENS1_52radix_sort_onesweep_histogram_config_static_selectorELNS0_4arch9wavefront6targetE1EEEvSA_,comdat
	.protected	_ZN7rocprim17ROCPRIM_400000_NS6detail17trampoline_kernelINS0_14default_configENS1_35radix_sort_onesweep_config_selectorIiiEEZNS1_34radix_sort_onesweep_global_offsetsIS3_Lb0EPiS7_jNS0_19identity_decomposerEEE10hipError_tT1_T2_PT3_SC_jT4_jjP12ihipStream_tbEUlT_E_NS1_11comp_targetILNS1_3genE6ELNS1_11target_archE950ELNS1_3gpuE13ELNS1_3repE0EEENS1_52radix_sort_onesweep_histogram_config_static_selectorELNS0_4arch9wavefront6targetE1EEEvSA_ ; -- Begin function _ZN7rocprim17ROCPRIM_400000_NS6detail17trampoline_kernelINS0_14default_configENS1_35radix_sort_onesweep_config_selectorIiiEEZNS1_34radix_sort_onesweep_global_offsetsIS3_Lb0EPiS7_jNS0_19identity_decomposerEEE10hipError_tT1_T2_PT3_SC_jT4_jjP12ihipStream_tbEUlT_E_NS1_11comp_targetILNS1_3genE6ELNS1_11target_archE950ELNS1_3gpuE13ELNS1_3repE0EEENS1_52radix_sort_onesweep_histogram_config_static_selectorELNS0_4arch9wavefront6targetE1EEEvSA_
	.globl	_ZN7rocprim17ROCPRIM_400000_NS6detail17trampoline_kernelINS0_14default_configENS1_35radix_sort_onesweep_config_selectorIiiEEZNS1_34radix_sort_onesweep_global_offsetsIS3_Lb0EPiS7_jNS0_19identity_decomposerEEE10hipError_tT1_T2_PT3_SC_jT4_jjP12ihipStream_tbEUlT_E_NS1_11comp_targetILNS1_3genE6ELNS1_11target_archE950ELNS1_3gpuE13ELNS1_3repE0EEENS1_52radix_sort_onesweep_histogram_config_static_selectorELNS0_4arch9wavefront6targetE1EEEvSA_
	.p2align	8
	.type	_ZN7rocprim17ROCPRIM_400000_NS6detail17trampoline_kernelINS0_14default_configENS1_35radix_sort_onesweep_config_selectorIiiEEZNS1_34radix_sort_onesweep_global_offsetsIS3_Lb0EPiS7_jNS0_19identity_decomposerEEE10hipError_tT1_T2_PT3_SC_jT4_jjP12ihipStream_tbEUlT_E_NS1_11comp_targetILNS1_3genE6ELNS1_11target_archE950ELNS1_3gpuE13ELNS1_3repE0EEENS1_52radix_sort_onesweep_histogram_config_static_selectorELNS0_4arch9wavefront6targetE1EEEvSA_,@function
_ZN7rocprim17ROCPRIM_400000_NS6detail17trampoline_kernelINS0_14default_configENS1_35radix_sort_onesweep_config_selectorIiiEEZNS1_34radix_sort_onesweep_global_offsetsIS3_Lb0EPiS7_jNS0_19identity_decomposerEEE10hipError_tT1_T2_PT3_SC_jT4_jjP12ihipStream_tbEUlT_E_NS1_11comp_targetILNS1_3genE6ELNS1_11target_archE950ELNS1_3gpuE13ELNS1_3repE0EEENS1_52radix_sort_onesweep_histogram_config_static_selectorELNS0_4arch9wavefront6targetE1EEEvSA_: ; @_ZN7rocprim17ROCPRIM_400000_NS6detail17trampoline_kernelINS0_14default_configENS1_35radix_sort_onesweep_config_selectorIiiEEZNS1_34radix_sort_onesweep_global_offsetsIS3_Lb0EPiS7_jNS0_19identity_decomposerEEE10hipError_tT1_T2_PT3_SC_jT4_jjP12ihipStream_tbEUlT_E_NS1_11comp_targetILNS1_3genE6ELNS1_11target_archE950ELNS1_3gpuE13ELNS1_3repE0EEENS1_52radix_sort_onesweep_histogram_config_static_selectorELNS0_4arch9wavefront6targetE1EEEvSA_
; %bb.0:
	.section	.rodata,"a",@progbits
	.p2align	6, 0x0
	.amdhsa_kernel _ZN7rocprim17ROCPRIM_400000_NS6detail17trampoline_kernelINS0_14default_configENS1_35radix_sort_onesweep_config_selectorIiiEEZNS1_34radix_sort_onesweep_global_offsetsIS3_Lb0EPiS7_jNS0_19identity_decomposerEEE10hipError_tT1_T2_PT3_SC_jT4_jjP12ihipStream_tbEUlT_E_NS1_11comp_targetILNS1_3genE6ELNS1_11target_archE950ELNS1_3gpuE13ELNS1_3repE0EEENS1_52radix_sort_onesweep_histogram_config_static_selectorELNS0_4arch9wavefront6targetE1EEEvSA_
		.amdhsa_group_segment_fixed_size 0
		.amdhsa_private_segment_fixed_size 0
		.amdhsa_kernarg_size 40
		.amdhsa_user_sgpr_count 6
		.amdhsa_user_sgpr_private_segment_buffer 1
		.amdhsa_user_sgpr_dispatch_ptr 0
		.amdhsa_user_sgpr_queue_ptr 0
		.amdhsa_user_sgpr_kernarg_segment_ptr 1
		.amdhsa_user_sgpr_dispatch_id 0
		.amdhsa_user_sgpr_flat_scratch_init 0
		.amdhsa_user_sgpr_kernarg_preload_length 0
		.amdhsa_user_sgpr_kernarg_preload_offset 0
		.amdhsa_user_sgpr_private_segment_size 0
		.amdhsa_uses_dynamic_stack 0
		.amdhsa_system_sgpr_private_segment_wavefront_offset 0
		.amdhsa_system_sgpr_workgroup_id_x 1
		.amdhsa_system_sgpr_workgroup_id_y 0
		.amdhsa_system_sgpr_workgroup_id_z 0
		.amdhsa_system_sgpr_workgroup_info 0
		.amdhsa_system_vgpr_workitem_id 0
		.amdhsa_next_free_vgpr 1
		.amdhsa_next_free_sgpr 0
		.amdhsa_accum_offset 4
		.amdhsa_reserve_vcc 0
		.amdhsa_reserve_flat_scratch 0
		.amdhsa_float_round_mode_32 0
		.amdhsa_float_round_mode_16_64 0
		.amdhsa_float_denorm_mode_32 3
		.amdhsa_float_denorm_mode_16_64 3
		.amdhsa_dx10_clamp 1
		.amdhsa_ieee_mode 1
		.amdhsa_fp16_overflow 0
		.amdhsa_tg_split 0
		.amdhsa_exception_fp_ieee_invalid_op 0
		.amdhsa_exception_fp_denorm_src 0
		.amdhsa_exception_fp_ieee_div_zero 0
		.amdhsa_exception_fp_ieee_overflow 0
		.amdhsa_exception_fp_ieee_underflow 0
		.amdhsa_exception_fp_ieee_inexact 0
		.amdhsa_exception_int_div_zero 0
	.end_amdhsa_kernel
	.section	.text._ZN7rocprim17ROCPRIM_400000_NS6detail17trampoline_kernelINS0_14default_configENS1_35radix_sort_onesweep_config_selectorIiiEEZNS1_34radix_sort_onesweep_global_offsetsIS3_Lb0EPiS7_jNS0_19identity_decomposerEEE10hipError_tT1_T2_PT3_SC_jT4_jjP12ihipStream_tbEUlT_E_NS1_11comp_targetILNS1_3genE6ELNS1_11target_archE950ELNS1_3gpuE13ELNS1_3repE0EEENS1_52radix_sort_onesweep_histogram_config_static_selectorELNS0_4arch9wavefront6targetE1EEEvSA_,"axG",@progbits,_ZN7rocprim17ROCPRIM_400000_NS6detail17trampoline_kernelINS0_14default_configENS1_35radix_sort_onesweep_config_selectorIiiEEZNS1_34radix_sort_onesweep_global_offsetsIS3_Lb0EPiS7_jNS0_19identity_decomposerEEE10hipError_tT1_T2_PT3_SC_jT4_jjP12ihipStream_tbEUlT_E_NS1_11comp_targetILNS1_3genE6ELNS1_11target_archE950ELNS1_3gpuE13ELNS1_3repE0EEENS1_52radix_sort_onesweep_histogram_config_static_selectorELNS0_4arch9wavefront6targetE1EEEvSA_,comdat
.Lfunc_end350:
	.size	_ZN7rocprim17ROCPRIM_400000_NS6detail17trampoline_kernelINS0_14default_configENS1_35radix_sort_onesweep_config_selectorIiiEEZNS1_34radix_sort_onesweep_global_offsetsIS3_Lb0EPiS7_jNS0_19identity_decomposerEEE10hipError_tT1_T2_PT3_SC_jT4_jjP12ihipStream_tbEUlT_E_NS1_11comp_targetILNS1_3genE6ELNS1_11target_archE950ELNS1_3gpuE13ELNS1_3repE0EEENS1_52radix_sort_onesweep_histogram_config_static_selectorELNS0_4arch9wavefront6targetE1EEEvSA_, .Lfunc_end350-_ZN7rocprim17ROCPRIM_400000_NS6detail17trampoline_kernelINS0_14default_configENS1_35radix_sort_onesweep_config_selectorIiiEEZNS1_34radix_sort_onesweep_global_offsetsIS3_Lb0EPiS7_jNS0_19identity_decomposerEEE10hipError_tT1_T2_PT3_SC_jT4_jjP12ihipStream_tbEUlT_E_NS1_11comp_targetILNS1_3genE6ELNS1_11target_archE950ELNS1_3gpuE13ELNS1_3repE0EEENS1_52radix_sort_onesweep_histogram_config_static_selectorELNS0_4arch9wavefront6targetE1EEEvSA_
                                        ; -- End function
	.section	.AMDGPU.csdata,"",@progbits
; Kernel info:
; codeLenInByte = 0
; NumSgprs: 4
; NumVgprs: 0
; NumAgprs: 0
; TotalNumVgprs: 0
; ScratchSize: 0
; MemoryBound: 0
; FloatMode: 240
; IeeeMode: 1
; LDSByteSize: 0 bytes/workgroup (compile time only)
; SGPRBlocks: 0
; VGPRBlocks: 0
; NumSGPRsForWavesPerEU: 4
; NumVGPRsForWavesPerEU: 1
; AccumOffset: 4
; Occupancy: 8
; WaveLimiterHint : 0
; COMPUTE_PGM_RSRC2:SCRATCH_EN: 0
; COMPUTE_PGM_RSRC2:USER_SGPR: 6
; COMPUTE_PGM_RSRC2:TRAP_HANDLER: 0
; COMPUTE_PGM_RSRC2:TGID_X_EN: 1
; COMPUTE_PGM_RSRC2:TGID_Y_EN: 0
; COMPUTE_PGM_RSRC2:TGID_Z_EN: 0
; COMPUTE_PGM_RSRC2:TIDIG_COMP_CNT: 0
; COMPUTE_PGM_RSRC3_GFX90A:ACCUM_OFFSET: 0
; COMPUTE_PGM_RSRC3_GFX90A:TG_SPLIT: 0
	.section	.text._ZN7rocprim17ROCPRIM_400000_NS6detail17trampoline_kernelINS0_14default_configENS1_35radix_sort_onesweep_config_selectorIiiEEZNS1_34radix_sort_onesweep_global_offsetsIS3_Lb0EPiS7_jNS0_19identity_decomposerEEE10hipError_tT1_T2_PT3_SC_jT4_jjP12ihipStream_tbEUlT_E_NS1_11comp_targetILNS1_3genE5ELNS1_11target_archE942ELNS1_3gpuE9ELNS1_3repE0EEENS1_52radix_sort_onesweep_histogram_config_static_selectorELNS0_4arch9wavefront6targetE1EEEvSA_,"axG",@progbits,_ZN7rocprim17ROCPRIM_400000_NS6detail17trampoline_kernelINS0_14default_configENS1_35radix_sort_onesweep_config_selectorIiiEEZNS1_34radix_sort_onesweep_global_offsetsIS3_Lb0EPiS7_jNS0_19identity_decomposerEEE10hipError_tT1_T2_PT3_SC_jT4_jjP12ihipStream_tbEUlT_E_NS1_11comp_targetILNS1_3genE5ELNS1_11target_archE942ELNS1_3gpuE9ELNS1_3repE0EEENS1_52radix_sort_onesweep_histogram_config_static_selectorELNS0_4arch9wavefront6targetE1EEEvSA_,comdat
	.protected	_ZN7rocprim17ROCPRIM_400000_NS6detail17trampoline_kernelINS0_14default_configENS1_35radix_sort_onesweep_config_selectorIiiEEZNS1_34radix_sort_onesweep_global_offsetsIS3_Lb0EPiS7_jNS0_19identity_decomposerEEE10hipError_tT1_T2_PT3_SC_jT4_jjP12ihipStream_tbEUlT_E_NS1_11comp_targetILNS1_3genE5ELNS1_11target_archE942ELNS1_3gpuE9ELNS1_3repE0EEENS1_52radix_sort_onesweep_histogram_config_static_selectorELNS0_4arch9wavefront6targetE1EEEvSA_ ; -- Begin function _ZN7rocprim17ROCPRIM_400000_NS6detail17trampoline_kernelINS0_14default_configENS1_35radix_sort_onesweep_config_selectorIiiEEZNS1_34radix_sort_onesweep_global_offsetsIS3_Lb0EPiS7_jNS0_19identity_decomposerEEE10hipError_tT1_T2_PT3_SC_jT4_jjP12ihipStream_tbEUlT_E_NS1_11comp_targetILNS1_3genE5ELNS1_11target_archE942ELNS1_3gpuE9ELNS1_3repE0EEENS1_52radix_sort_onesweep_histogram_config_static_selectorELNS0_4arch9wavefront6targetE1EEEvSA_
	.globl	_ZN7rocprim17ROCPRIM_400000_NS6detail17trampoline_kernelINS0_14default_configENS1_35radix_sort_onesweep_config_selectorIiiEEZNS1_34radix_sort_onesweep_global_offsetsIS3_Lb0EPiS7_jNS0_19identity_decomposerEEE10hipError_tT1_T2_PT3_SC_jT4_jjP12ihipStream_tbEUlT_E_NS1_11comp_targetILNS1_3genE5ELNS1_11target_archE942ELNS1_3gpuE9ELNS1_3repE0EEENS1_52radix_sort_onesweep_histogram_config_static_selectorELNS0_4arch9wavefront6targetE1EEEvSA_
	.p2align	8
	.type	_ZN7rocprim17ROCPRIM_400000_NS6detail17trampoline_kernelINS0_14default_configENS1_35radix_sort_onesweep_config_selectorIiiEEZNS1_34radix_sort_onesweep_global_offsetsIS3_Lb0EPiS7_jNS0_19identity_decomposerEEE10hipError_tT1_T2_PT3_SC_jT4_jjP12ihipStream_tbEUlT_E_NS1_11comp_targetILNS1_3genE5ELNS1_11target_archE942ELNS1_3gpuE9ELNS1_3repE0EEENS1_52radix_sort_onesweep_histogram_config_static_selectorELNS0_4arch9wavefront6targetE1EEEvSA_,@function
_ZN7rocprim17ROCPRIM_400000_NS6detail17trampoline_kernelINS0_14default_configENS1_35radix_sort_onesweep_config_selectorIiiEEZNS1_34radix_sort_onesweep_global_offsetsIS3_Lb0EPiS7_jNS0_19identity_decomposerEEE10hipError_tT1_T2_PT3_SC_jT4_jjP12ihipStream_tbEUlT_E_NS1_11comp_targetILNS1_3genE5ELNS1_11target_archE942ELNS1_3gpuE9ELNS1_3repE0EEENS1_52radix_sort_onesweep_histogram_config_static_selectorELNS0_4arch9wavefront6targetE1EEEvSA_: ; @_ZN7rocprim17ROCPRIM_400000_NS6detail17trampoline_kernelINS0_14default_configENS1_35radix_sort_onesweep_config_selectorIiiEEZNS1_34radix_sort_onesweep_global_offsetsIS3_Lb0EPiS7_jNS0_19identity_decomposerEEE10hipError_tT1_T2_PT3_SC_jT4_jjP12ihipStream_tbEUlT_E_NS1_11comp_targetILNS1_3genE5ELNS1_11target_archE942ELNS1_3gpuE9ELNS1_3repE0EEENS1_52radix_sort_onesweep_histogram_config_static_selectorELNS0_4arch9wavefront6targetE1EEEvSA_
; %bb.0:
	.section	.rodata,"a",@progbits
	.p2align	6, 0x0
	.amdhsa_kernel _ZN7rocprim17ROCPRIM_400000_NS6detail17trampoline_kernelINS0_14default_configENS1_35radix_sort_onesweep_config_selectorIiiEEZNS1_34radix_sort_onesweep_global_offsetsIS3_Lb0EPiS7_jNS0_19identity_decomposerEEE10hipError_tT1_T2_PT3_SC_jT4_jjP12ihipStream_tbEUlT_E_NS1_11comp_targetILNS1_3genE5ELNS1_11target_archE942ELNS1_3gpuE9ELNS1_3repE0EEENS1_52radix_sort_onesweep_histogram_config_static_selectorELNS0_4arch9wavefront6targetE1EEEvSA_
		.amdhsa_group_segment_fixed_size 0
		.amdhsa_private_segment_fixed_size 0
		.amdhsa_kernarg_size 40
		.amdhsa_user_sgpr_count 6
		.amdhsa_user_sgpr_private_segment_buffer 1
		.amdhsa_user_sgpr_dispatch_ptr 0
		.amdhsa_user_sgpr_queue_ptr 0
		.amdhsa_user_sgpr_kernarg_segment_ptr 1
		.amdhsa_user_sgpr_dispatch_id 0
		.amdhsa_user_sgpr_flat_scratch_init 0
		.amdhsa_user_sgpr_kernarg_preload_length 0
		.amdhsa_user_sgpr_kernarg_preload_offset 0
		.amdhsa_user_sgpr_private_segment_size 0
		.amdhsa_uses_dynamic_stack 0
		.amdhsa_system_sgpr_private_segment_wavefront_offset 0
		.amdhsa_system_sgpr_workgroup_id_x 1
		.amdhsa_system_sgpr_workgroup_id_y 0
		.amdhsa_system_sgpr_workgroup_id_z 0
		.amdhsa_system_sgpr_workgroup_info 0
		.amdhsa_system_vgpr_workitem_id 0
		.amdhsa_next_free_vgpr 1
		.amdhsa_next_free_sgpr 0
		.amdhsa_accum_offset 4
		.amdhsa_reserve_vcc 0
		.amdhsa_reserve_flat_scratch 0
		.amdhsa_float_round_mode_32 0
		.amdhsa_float_round_mode_16_64 0
		.amdhsa_float_denorm_mode_32 3
		.amdhsa_float_denorm_mode_16_64 3
		.amdhsa_dx10_clamp 1
		.amdhsa_ieee_mode 1
		.amdhsa_fp16_overflow 0
		.amdhsa_tg_split 0
		.amdhsa_exception_fp_ieee_invalid_op 0
		.amdhsa_exception_fp_denorm_src 0
		.amdhsa_exception_fp_ieee_div_zero 0
		.amdhsa_exception_fp_ieee_overflow 0
		.amdhsa_exception_fp_ieee_underflow 0
		.amdhsa_exception_fp_ieee_inexact 0
		.amdhsa_exception_int_div_zero 0
	.end_amdhsa_kernel
	.section	.text._ZN7rocprim17ROCPRIM_400000_NS6detail17trampoline_kernelINS0_14default_configENS1_35radix_sort_onesweep_config_selectorIiiEEZNS1_34radix_sort_onesweep_global_offsetsIS3_Lb0EPiS7_jNS0_19identity_decomposerEEE10hipError_tT1_T2_PT3_SC_jT4_jjP12ihipStream_tbEUlT_E_NS1_11comp_targetILNS1_3genE5ELNS1_11target_archE942ELNS1_3gpuE9ELNS1_3repE0EEENS1_52radix_sort_onesweep_histogram_config_static_selectorELNS0_4arch9wavefront6targetE1EEEvSA_,"axG",@progbits,_ZN7rocprim17ROCPRIM_400000_NS6detail17trampoline_kernelINS0_14default_configENS1_35radix_sort_onesweep_config_selectorIiiEEZNS1_34radix_sort_onesweep_global_offsetsIS3_Lb0EPiS7_jNS0_19identity_decomposerEEE10hipError_tT1_T2_PT3_SC_jT4_jjP12ihipStream_tbEUlT_E_NS1_11comp_targetILNS1_3genE5ELNS1_11target_archE942ELNS1_3gpuE9ELNS1_3repE0EEENS1_52radix_sort_onesweep_histogram_config_static_selectorELNS0_4arch9wavefront6targetE1EEEvSA_,comdat
.Lfunc_end351:
	.size	_ZN7rocprim17ROCPRIM_400000_NS6detail17trampoline_kernelINS0_14default_configENS1_35radix_sort_onesweep_config_selectorIiiEEZNS1_34radix_sort_onesweep_global_offsetsIS3_Lb0EPiS7_jNS0_19identity_decomposerEEE10hipError_tT1_T2_PT3_SC_jT4_jjP12ihipStream_tbEUlT_E_NS1_11comp_targetILNS1_3genE5ELNS1_11target_archE942ELNS1_3gpuE9ELNS1_3repE0EEENS1_52radix_sort_onesweep_histogram_config_static_selectorELNS0_4arch9wavefront6targetE1EEEvSA_, .Lfunc_end351-_ZN7rocprim17ROCPRIM_400000_NS6detail17trampoline_kernelINS0_14default_configENS1_35radix_sort_onesweep_config_selectorIiiEEZNS1_34radix_sort_onesweep_global_offsetsIS3_Lb0EPiS7_jNS0_19identity_decomposerEEE10hipError_tT1_T2_PT3_SC_jT4_jjP12ihipStream_tbEUlT_E_NS1_11comp_targetILNS1_3genE5ELNS1_11target_archE942ELNS1_3gpuE9ELNS1_3repE0EEENS1_52radix_sort_onesweep_histogram_config_static_selectorELNS0_4arch9wavefront6targetE1EEEvSA_
                                        ; -- End function
	.section	.AMDGPU.csdata,"",@progbits
; Kernel info:
; codeLenInByte = 0
; NumSgprs: 4
; NumVgprs: 0
; NumAgprs: 0
; TotalNumVgprs: 0
; ScratchSize: 0
; MemoryBound: 0
; FloatMode: 240
; IeeeMode: 1
; LDSByteSize: 0 bytes/workgroup (compile time only)
; SGPRBlocks: 0
; VGPRBlocks: 0
; NumSGPRsForWavesPerEU: 4
; NumVGPRsForWavesPerEU: 1
; AccumOffset: 4
; Occupancy: 8
; WaveLimiterHint : 0
; COMPUTE_PGM_RSRC2:SCRATCH_EN: 0
; COMPUTE_PGM_RSRC2:USER_SGPR: 6
; COMPUTE_PGM_RSRC2:TRAP_HANDLER: 0
; COMPUTE_PGM_RSRC2:TGID_X_EN: 1
; COMPUTE_PGM_RSRC2:TGID_Y_EN: 0
; COMPUTE_PGM_RSRC2:TGID_Z_EN: 0
; COMPUTE_PGM_RSRC2:TIDIG_COMP_CNT: 0
; COMPUTE_PGM_RSRC3_GFX90A:ACCUM_OFFSET: 0
; COMPUTE_PGM_RSRC3_GFX90A:TG_SPLIT: 0
	.section	.text._ZN7rocprim17ROCPRIM_400000_NS6detail17trampoline_kernelINS0_14default_configENS1_35radix_sort_onesweep_config_selectorIiiEEZNS1_34radix_sort_onesweep_global_offsetsIS3_Lb0EPiS7_jNS0_19identity_decomposerEEE10hipError_tT1_T2_PT3_SC_jT4_jjP12ihipStream_tbEUlT_E_NS1_11comp_targetILNS1_3genE2ELNS1_11target_archE906ELNS1_3gpuE6ELNS1_3repE0EEENS1_52radix_sort_onesweep_histogram_config_static_selectorELNS0_4arch9wavefront6targetE1EEEvSA_,"axG",@progbits,_ZN7rocprim17ROCPRIM_400000_NS6detail17trampoline_kernelINS0_14default_configENS1_35radix_sort_onesweep_config_selectorIiiEEZNS1_34radix_sort_onesweep_global_offsetsIS3_Lb0EPiS7_jNS0_19identity_decomposerEEE10hipError_tT1_T2_PT3_SC_jT4_jjP12ihipStream_tbEUlT_E_NS1_11comp_targetILNS1_3genE2ELNS1_11target_archE906ELNS1_3gpuE6ELNS1_3repE0EEENS1_52radix_sort_onesweep_histogram_config_static_selectorELNS0_4arch9wavefront6targetE1EEEvSA_,comdat
	.protected	_ZN7rocprim17ROCPRIM_400000_NS6detail17trampoline_kernelINS0_14default_configENS1_35radix_sort_onesweep_config_selectorIiiEEZNS1_34radix_sort_onesweep_global_offsetsIS3_Lb0EPiS7_jNS0_19identity_decomposerEEE10hipError_tT1_T2_PT3_SC_jT4_jjP12ihipStream_tbEUlT_E_NS1_11comp_targetILNS1_3genE2ELNS1_11target_archE906ELNS1_3gpuE6ELNS1_3repE0EEENS1_52radix_sort_onesweep_histogram_config_static_selectorELNS0_4arch9wavefront6targetE1EEEvSA_ ; -- Begin function _ZN7rocprim17ROCPRIM_400000_NS6detail17trampoline_kernelINS0_14default_configENS1_35radix_sort_onesweep_config_selectorIiiEEZNS1_34radix_sort_onesweep_global_offsetsIS3_Lb0EPiS7_jNS0_19identity_decomposerEEE10hipError_tT1_T2_PT3_SC_jT4_jjP12ihipStream_tbEUlT_E_NS1_11comp_targetILNS1_3genE2ELNS1_11target_archE906ELNS1_3gpuE6ELNS1_3repE0EEENS1_52radix_sort_onesweep_histogram_config_static_selectorELNS0_4arch9wavefront6targetE1EEEvSA_
	.globl	_ZN7rocprim17ROCPRIM_400000_NS6detail17trampoline_kernelINS0_14default_configENS1_35radix_sort_onesweep_config_selectorIiiEEZNS1_34radix_sort_onesweep_global_offsetsIS3_Lb0EPiS7_jNS0_19identity_decomposerEEE10hipError_tT1_T2_PT3_SC_jT4_jjP12ihipStream_tbEUlT_E_NS1_11comp_targetILNS1_3genE2ELNS1_11target_archE906ELNS1_3gpuE6ELNS1_3repE0EEENS1_52radix_sort_onesweep_histogram_config_static_selectorELNS0_4arch9wavefront6targetE1EEEvSA_
	.p2align	8
	.type	_ZN7rocprim17ROCPRIM_400000_NS6detail17trampoline_kernelINS0_14default_configENS1_35radix_sort_onesweep_config_selectorIiiEEZNS1_34radix_sort_onesweep_global_offsetsIS3_Lb0EPiS7_jNS0_19identity_decomposerEEE10hipError_tT1_T2_PT3_SC_jT4_jjP12ihipStream_tbEUlT_E_NS1_11comp_targetILNS1_3genE2ELNS1_11target_archE906ELNS1_3gpuE6ELNS1_3repE0EEENS1_52radix_sort_onesweep_histogram_config_static_selectorELNS0_4arch9wavefront6targetE1EEEvSA_,@function
_ZN7rocprim17ROCPRIM_400000_NS6detail17trampoline_kernelINS0_14default_configENS1_35radix_sort_onesweep_config_selectorIiiEEZNS1_34radix_sort_onesweep_global_offsetsIS3_Lb0EPiS7_jNS0_19identity_decomposerEEE10hipError_tT1_T2_PT3_SC_jT4_jjP12ihipStream_tbEUlT_E_NS1_11comp_targetILNS1_3genE2ELNS1_11target_archE906ELNS1_3gpuE6ELNS1_3repE0EEENS1_52radix_sort_onesweep_histogram_config_static_selectorELNS0_4arch9wavefront6targetE1EEEvSA_: ; @_ZN7rocprim17ROCPRIM_400000_NS6detail17trampoline_kernelINS0_14default_configENS1_35radix_sort_onesweep_config_selectorIiiEEZNS1_34radix_sort_onesweep_global_offsetsIS3_Lb0EPiS7_jNS0_19identity_decomposerEEE10hipError_tT1_T2_PT3_SC_jT4_jjP12ihipStream_tbEUlT_E_NS1_11comp_targetILNS1_3genE2ELNS1_11target_archE906ELNS1_3gpuE6ELNS1_3repE0EEENS1_52radix_sort_onesweep_histogram_config_static_selectorELNS0_4arch9wavefront6targetE1EEEvSA_
; %bb.0:
	.section	.rodata,"a",@progbits
	.p2align	6, 0x0
	.amdhsa_kernel _ZN7rocprim17ROCPRIM_400000_NS6detail17trampoline_kernelINS0_14default_configENS1_35radix_sort_onesweep_config_selectorIiiEEZNS1_34radix_sort_onesweep_global_offsetsIS3_Lb0EPiS7_jNS0_19identity_decomposerEEE10hipError_tT1_T2_PT3_SC_jT4_jjP12ihipStream_tbEUlT_E_NS1_11comp_targetILNS1_3genE2ELNS1_11target_archE906ELNS1_3gpuE6ELNS1_3repE0EEENS1_52radix_sort_onesweep_histogram_config_static_selectorELNS0_4arch9wavefront6targetE1EEEvSA_
		.amdhsa_group_segment_fixed_size 0
		.amdhsa_private_segment_fixed_size 0
		.amdhsa_kernarg_size 40
		.amdhsa_user_sgpr_count 6
		.amdhsa_user_sgpr_private_segment_buffer 1
		.amdhsa_user_sgpr_dispatch_ptr 0
		.amdhsa_user_sgpr_queue_ptr 0
		.amdhsa_user_sgpr_kernarg_segment_ptr 1
		.amdhsa_user_sgpr_dispatch_id 0
		.amdhsa_user_sgpr_flat_scratch_init 0
		.amdhsa_user_sgpr_kernarg_preload_length 0
		.amdhsa_user_sgpr_kernarg_preload_offset 0
		.amdhsa_user_sgpr_private_segment_size 0
		.amdhsa_uses_dynamic_stack 0
		.amdhsa_system_sgpr_private_segment_wavefront_offset 0
		.amdhsa_system_sgpr_workgroup_id_x 1
		.amdhsa_system_sgpr_workgroup_id_y 0
		.amdhsa_system_sgpr_workgroup_id_z 0
		.amdhsa_system_sgpr_workgroup_info 0
		.amdhsa_system_vgpr_workitem_id 0
		.amdhsa_next_free_vgpr 1
		.amdhsa_next_free_sgpr 0
		.amdhsa_accum_offset 4
		.amdhsa_reserve_vcc 0
		.amdhsa_reserve_flat_scratch 0
		.amdhsa_float_round_mode_32 0
		.amdhsa_float_round_mode_16_64 0
		.amdhsa_float_denorm_mode_32 3
		.amdhsa_float_denorm_mode_16_64 3
		.amdhsa_dx10_clamp 1
		.amdhsa_ieee_mode 1
		.amdhsa_fp16_overflow 0
		.amdhsa_tg_split 0
		.amdhsa_exception_fp_ieee_invalid_op 0
		.amdhsa_exception_fp_denorm_src 0
		.amdhsa_exception_fp_ieee_div_zero 0
		.amdhsa_exception_fp_ieee_overflow 0
		.amdhsa_exception_fp_ieee_underflow 0
		.amdhsa_exception_fp_ieee_inexact 0
		.amdhsa_exception_int_div_zero 0
	.end_amdhsa_kernel
	.section	.text._ZN7rocprim17ROCPRIM_400000_NS6detail17trampoline_kernelINS0_14default_configENS1_35radix_sort_onesweep_config_selectorIiiEEZNS1_34radix_sort_onesweep_global_offsetsIS3_Lb0EPiS7_jNS0_19identity_decomposerEEE10hipError_tT1_T2_PT3_SC_jT4_jjP12ihipStream_tbEUlT_E_NS1_11comp_targetILNS1_3genE2ELNS1_11target_archE906ELNS1_3gpuE6ELNS1_3repE0EEENS1_52radix_sort_onesweep_histogram_config_static_selectorELNS0_4arch9wavefront6targetE1EEEvSA_,"axG",@progbits,_ZN7rocprim17ROCPRIM_400000_NS6detail17trampoline_kernelINS0_14default_configENS1_35radix_sort_onesweep_config_selectorIiiEEZNS1_34radix_sort_onesweep_global_offsetsIS3_Lb0EPiS7_jNS0_19identity_decomposerEEE10hipError_tT1_T2_PT3_SC_jT4_jjP12ihipStream_tbEUlT_E_NS1_11comp_targetILNS1_3genE2ELNS1_11target_archE906ELNS1_3gpuE6ELNS1_3repE0EEENS1_52radix_sort_onesweep_histogram_config_static_selectorELNS0_4arch9wavefront6targetE1EEEvSA_,comdat
.Lfunc_end352:
	.size	_ZN7rocprim17ROCPRIM_400000_NS6detail17trampoline_kernelINS0_14default_configENS1_35radix_sort_onesweep_config_selectorIiiEEZNS1_34radix_sort_onesweep_global_offsetsIS3_Lb0EPiS7_jNS0_19identity_decomposerEEE10hipError_tT1_T2_PT3_SC_jT4_jjP12ihipStream_tbEUlT_E_NS1_11comp_targetILNS1_3genE2ELNS1_11target_archE906ELNS1_3gpuE6ELNS1_3repE0EEENS1_52radix_sort_onesweep_histogram_config_static_selectorELNS0_4arch9wavefront6targetE1EEEvSA_, .Lfunc_end352-_ZN7rocprim17ROCPRIM_400000_NS6detail17trampoline_kernelINS0_14default_configENS1_35radix_sort_onesweep_config_selectorIiiEEZNS1_34radix_sort_onesweep_global_offsetsIS3_Lb0EPiS7_jNS0_19identity_decomposerEEE10hipError_tT1_T2_PT3_SC_jT4_jjP12ihipStream_tbEUlT_E_NS1_11comp_targetILNS1_3genE2ELNS1_11target_archE906ELNS1_3gpuE6ELNS1_3repE0EEENS1_52radix_sort_onesweep_histogram_config_static_selectorELNS0_4arch9wavefront6targetE1EEEvSA_
                                        ; -- End function
	.section	.AMDGPU.csdata,"",@progbits
; Kernel info:
; codeLenInByte = 0
; NumSgprs: 4
; NumVgprs: 0
; NumAgprs: 0
; TotalNumVgprs: 0
; ScratchSize: 0
; MemoryBound: 0
; FloatMode: 240
; IeeeMode: 1
; LDSByteSize: 0 bytes/workgroup (compile time only)
; SGPRBlocks: 0
; VGPRBlocks: 0
; NumSGPRsForWavesPerEU: 4
; NumVGPRsForWavesPerEU: 1
; AccumOffset: 4
; Occupancy: 8
; WaveLimiterHint : 0
; COMPUTE_PGM_RSRC2:SCRATCH_EN: 0
; COMPUTE_PGM_RSRC2:USER_SGPR: 6
; COMPUTE_PGM_RSRC2:TRAP_HANDLER: 0
; COMPUTE_PGM_RSRC2:TGID_X_EN: 1
; COMPUTE_PGM_RSRC2:TGID_Y_EN: 0
; COMPUTE_PGM_RSRC2:TGID_Z_EN: 0
; COMPUTE_PGM_RSRC2:TIDIG_COMP_CNT: 0
; COMPUTE_PGM_RSRC3_GFX90A:ACCUM_OFFSET: 0
; COMPUTE_PGM_RSRC3_GFX90A:TG_SPLIT: 0
	.section	.text._ZN7rocprim17ROCPRIM_400000_NS6detail17trampoline_kernelINS0_14default_configENS1_35radix_sort_onesweep_config_selectorIiiEEZNS1_34radix_sort_onesweep_global_offsetsIS3_Lb0EPiS7_jNS0_19identity_decomposerEEE10hipError_tT1_T2_PT3_SC_jT4_jjP12ihipStream_tbEUlT_E_NS1_11comp_targetILNS1_3genE4ELNS1_11target_archE910ELNS1_3gpuE8ELNS1_3repE0EEENS1_52radix_sort_onesweep_histogram_config_static_selectorELNS0_4arch9wavefront6targetE1EEEvSA_,"axG",@progbits,_ZN7rocprim17ROCPRIM_400000_NS6detail17trampoline_kernelINS0_14default_configENS1_35radix_sort_onesweep_config_selectorIiiEEZNS1_34radix_sort_onesweep_global_offsetsIS3_Lb0EPiS7_jNS0_19identity_decomposerEEE10hipError_tT1_T2_PT3_SC_jT4_jjP12ihipStream_tbEUlT_E_NS1_11comp_targetILNS1_3genE4ELNS1_11target_archE910ELNS1_3gpuE8ELNS1_3repE0EEENS1_52radix_sort_onesweep_histogram_config_static_selectorELNS0_4arch9wavefront6targetE1EEEvSA_,comdat
	.protected	_ZN7rocprim17ROCPRIM_400000_NS6detail17trampoline_kernelINS0_14default_configENS1_35radix_sort_onesweep_config_selectorIiiEEZNS1_34radix_sort_onesweep_global_offsetsIS3_Lb0EPiS7_jNS0_19identity_decomposerEEE10hipError_tT1_T2_PT3_SC_jT4_jjP12ihipStream_tbEUlT_E_NS1_11comp_targetILNS1_3genE4ELNS1_11target_archE910ELNS1_3gpuE8ELNS1_3repE0EEENS1_52radix_sort_onesweep_histogram_config_static_selectorELNS0_4arch9wavefront6targetE1EEEvSA_ ; -- Begin function _ZN7rocprim17ROCPRIM_400000_NS6detail17trampoline_kernelINS0_14default_configENS1_35radix_sort_onesweep_config_selectorIiiEEZNS1_34radix_sort_onesweep_global_offsetsIS3_Lb0EPiS7_jNS0_19identity_decomposerEEE10hipError_tT1_T2_PT3_SC_jT4_jjP12ihipStream_tbEUlT_E_NS1_11comp_targetILNS1_3genE4ELNS1_11target_archE910ELNS1_3gpuE8ELNS1_3repE0EEENS1_52radix_sort_onesweep_histogram_config_static_selectorELNS0_4arch9wavefront6targetE1EEEvSA_
	.globl	_ZN7rocprim17ROCPRIM_400000_NS6detail17trampoline_kernelINS0_14default_configENS1_35radix_sort_onesweep_config_selectorIiiEEZNS1_34radix_sort_onesweep_global_offsetsIS3_Lb0EPiS7_jNS0_19identity_decomposerEEE10hipError_tT1_T2_PT3_SC_jT4_jjP12ihipStream_tbEUlT_E_NS1_11comp_targetILNS1_3genE4ELNS1_11target_archE910ELNS1_3gpuE8ELNS1_3repE0EEENS1_52radix_sort_onesweep_histogram_config_static_selectorELNS0_4arch9wavefront6targetE1EEEvSA_
	.p2align	8
	.type	_ZN7rocprim17ROCPRIM_400000_NS6detail17trampoline_kernelINS0_14default_configENS1_35radix_sort_onesweep_config_selectorIiiEEZNS1_34radix_sort_onesweep_global_offsetsIS3_Lb0EPiS7_jNS0_19identity_decomposerEEE10hipError_tT1_T2_PT3_SC_jT4_jjP12ihipStream_tbEUlT_E_NS1_11comp_targetILNS1_3genE4ELNS1_11target_archE910ELNS1_3gpuE8ELNS1_3repE0EEENS1_52radix_sort_onesweep_histogram_config_static_selectorELNS0_4arch9wavefront6targetE1EEEvSA_,@function
_ZN7rocprim17ROCPRIM_400000_NS6detail17trampoline_kernelINS0_14default_configENS1_35radix_sort_onesweep_config_selectorIiiEEZNS1_34radix_sort_onesweep_global_offsetsIS3_Lb0EPiS7_jNS0_19identity_decomposerEEE10hipError_tT1_T2_PT3_SC_jT4_jjP12ihipStream_tbEUlT_E_NS1_11comp_targetILNS1_3genE4ELNS1_11target_archE910ELNS1_3gpuE8ELNS1_3repE0EEENS1_52radix_sort_onesweep_histogram_config_static_selectorELNS0_4arch9wavefront6targetE1EEEvSA_: ; @_ZN7rocprim17ROCPRIM_400000_NS6detail17trampoline_kernelINS0_14default_configENS1_35radix_sort_onesweep_config_selectorIiiEEZNS1_34radix_sort_onesweep_global_offsetsIS3_Lb0EPiS7_jNS0_19identity_decomposerEEE10hipError_tT1_T2_PT3_SC_jT4_jjP12ihipStream_tbEUlT_E_NS1_11comp_targetILNS1_3genE4ELNS1_11target_archE910ELNS1_3gpuE8ELNS1_3repE0EEENS1_52radix_sort_onesweep_histogram_config_static_selectorELNS0_4arch9wavefront6targetE1EEEvSA_
; %bb.0:
	s_load_dword s7, s[4:5], 0x14
	s_load_dwordx4 s[8:11], s[4:5], 0x0
	s_load_dwordx2 s[2:3], s[4:5], 0x1c
	s_lshl_b32 s12, s6, 13
	s_mov_b64 s[0:1], -1
	s_waitcnt lgkmcnt(0)
	s_cmp_ge_u32 s6, s7
	s_cbranch_scc0 .LBB353_319
; %bb.1:
	s_load_dword s4, s[4:5], 0x10
	s_lshl_b32 s5, s7, 13
	s_mov_b32 s13, 0
	s_lshl_b64 s[0:1], s[12:13], 2
                                        ; implicit-def: $vgpr32
	s_waitcnt lgkmcnt(0)
	s_sub_i32 s13, s4, s5
	s_add_u32 s0, s8, s0
	s_addc_u32 s1, s9, s1
	v_cmp_gt_u32_e32 vcc, s13, v0
	s_and_saveexec_b64 s[4:5], vcc
	s_cbranch_execz .LBB353_3
; %bb.2:
	v_lshlrev_b32_e32 v1, 2, v0
	global_load_dword v32, v1, s[0:1]
.LBB353_3:
	s_or_b64 exec, exec, s[4:5]
	v_or_b32_e32 v30, 0x200, v0
	v_cmp_gt_u32_e32 vcc, s13, v30
                                        ; implicit-def: $vgpr31
	s_and_saveexec_b64 s[4:5], vcc
	s_cbranch_execz .LBB353_5
; %bb.4:
	v_lshlrev_b32_e32 v1, 2, v0
	global_load_dword v31, v1, s[0:1] offset:2048
.LBB353_5:
	s_or_b64 exec, exec, s[4:5]
	v_or_b32_e32 v28, 0x400, v0
	v_cmp_gt_u32_e32 vcc, s13, v28
                                        ; implicit-def: $vgpr29
	s_and_saveexec_b64 s[4:5], vcc
	s_cbranch_execz .LBB353_7
; %bb.6:
	v_lshlrev_b32_e32 v1, 2, v28
	global_load_dword v29, v1, s[0:1]
.LBB353_7:
	s_or_b64 exec, exec, s[4:5]
	v_or_b32_e32 v26, 0x600, v0
	v_cmp_gt_u32_e32 vcc, s13, v26
                                        ; implicit-def: $vgpr27
	s_and_saveexec_b64 s[4:5], vcc
	s_cbranch_execz .LBB353_9
; %bb.8:
	v_lshlrev_b32_e32 v1, 2, v26
	global_load_dword v27, v1, s[0:1]
.LBB353_9:
	s_or_b64 exec, exec, s[4:5]
	v_or_b32_e32 v24, 0x800, v0
	v_cmp_gt_u32_e32 vcc, s13, v24
                                        ; implicit-def: $vgpr25
	s_and_saveexec_b64 s[4:5], vcc
	s_cbranch_execz .LBB353_11
; %bb.10:
	v_lshlrev_b32_e32 v1, 2, v24
	global_load_dword v25, v1, s[0:1]
.LBB353_11:
	s_or_b64 exec, exec, s[4:5]
	v_or_b32_e32 v22, 0xa00, v0
	v_cmp_gt_u32_e32 vcc, s13, v22
                                        ; implicit-def: $vgpr23
	s_and_saveexec_b64 s[4:5], vcc
	s_cbranch_execz .LBB353_13
; %bb.12:
	v_lshlrev_b32_e32 v1, 2, v22
	global_load_dword v23, v1, s[0:1]
.LBB353_13:
	s_or_b64 exec, exec, s[4:5]
	v_or_b32_e32 v20, 0xc00, v0
	v_cmp_gt_u32_e32 vcc, s13, v20
                                        ; implicit-def: $vgpr21
	s_and_saveexec_b64 s[4:5], vcc
	s_cbranch_execz .LBB353_15
; %bb.14:
	v_lshlrev_b32_e32 v1, 2, v20
	global_load_dword v21, v1, s[0:1]
.LBB353_15:
	s_or_b64 exec, exec, s[4:5]
	v_or_b32_e32 v18, 0xe00, v0
	v_cmp_gt_u32_e32 vcc, s13, v18
                                        ; implicit-def: $vgpr19
	s_and_saveexec_b64 s[4:5], vcc
	s_cbranch_execz .LBB353_17
; %bb.16:
	v_lshlrev_b32_e32 v1, 2, v18
	global_load_dword v19, v1, s[0:1]
.LBB353_17:
	s_or_b64 exec, exec, s[4:5]
	v_or_b32_e32 v16, 0x1000, v0
	v_cmp_gt_u32_e32 vcc, s13, v16
                                        ; implicit-def: $vgpr17
	s_and_saveexec_b64 s[4:5], vcc
	s_cbranch_execz .LBB353_19
; %bb.18:
	v_lshlrev_b32_e32 v1, 2, v16
	global_load_dword v17, v1, s[0:1]
.LBB353_19:
	s_or_b64 exec, exec, s[4:5]
	v_or_b32_e32 v14, 0x1200, v0
	v_cmp_gt_u32_e32 vcc, s13, v14
                                        ; implicit-def: $vgpr15
	s_and_saveexec_b64 s[4:5], vcc
	s_cbranch_execz .LBB353_21
; %bb.20:
	v_lshlrev_b32_e32 v1, 2, v14
	global_load_dword v15, v1, s[0:1]
.LBB353_21:
	s_or_b64 exec, exec, s[4:5]
	v_or_b32_e32 v12, 0x1400, v0
	v_cmp_gt_u32_e32 vcc, s13, v12
                                        ; implicit-def: $vgpr13
	s_and_saveexec_b64 s[4:5], vcc
	s_cbranch_execz .LBB353_23
; %bb.22:
	v_lshlrev_b32_e32 v1, 2, v12
	global_load_dword v13, v1, s[0:1]
.LBB353_23:
	s_or_b64 exec, exec, s[4:5]
	v_or_b32_e32 v10, 0x1600, v0
	v_cmp_gt_u32_e32 vcc, s13, v10
                                        ; implicit-def: $vgpr11
	s_and_saveexec_b64 s[4:5], vcc
	s_cbranch_execz .LBB353_25
; %bb.24:
	v_lshlrev_b32_e32 v1, 2, v10
	global_load_dword v11, v1, s[0:1]
.LBB353_25:
	s_or_b64 exec, exec, s[4:5]
	v_or_b32_e32 v8, 0x1800, v0
	v_cmp_gt_u32_e32 vcc, s13, v8
                                        ; implicit-def: $vgpr9
	s_and_saveexec_b64 s[4:5], vcc
	s_cbranch_execz .LBB353_27
; %bb.26:
	v_lshlrev_b32_e32 v1, 2, v8
	global_load_dword v9, v1, s[0:1]
.LBB353_27:
	s_or_b64 exec, exec, s[4:5]
	v_or_b32_e32 v6, 0x1a00, v0
	v_cmp_gt_u32_e32 vcc, s13, v6
                                        ; implicit-def: $vgpr7
	s_and_saveexec_b64 s[4:5], vcc
	s_cbranch_execz .LBB353_29
; %bb.28:
	v_lshlrev_b32_e32 v1, 2, v6
	global_load_dword v7, v1, s[0:1]
.LBB353_29:
	s_or_b64 exec, exec, s[4:5]
	v_or_b32_e32 v4, 0x1c00, v0
	v_cmp_gt_u32_e32 vcc, s13, v4
                                        ; implicit-def: $vgpr5
	s_and_saveexec_b64 s[4:5], vcc
	s_cbranch_execz .LBB353_31
; %bb.30:
	v_lshlrev_b32_e32 v1, 2, v4
	global_load_dword v5, v1, s[0:1]
.LBB353_31:
	s_or_b64 exec, exec, s[4:5]
	v_or_b32_e32 v2, 0x1e00, v0
	v_cmp_gt_u32_e32 vcc, s13, v2
                                        ; implicit-def: $vgpr3
	s_and_saveexec_b64 s[4:5], vcc
	s_cbranch_execz .LBB353_33
; %bb.32:
	v_lshlrev_b32_e32 v1, 2, v2
	global_load_dword v3, v1, s[0:1]
.LBB353_33:
	s_or_b64 exec, exec, s[4:5]
	v_lshlrev_b32_e32 v1, 2, v0
	v_mov_b32_e32 v33, 0
	s_mov_b64 s[0:1], -1
	ds_write2st64_b32 v1, v33, v33 offset1:8
	ds_write2st64_b32 v1, v33, v33 offset0:16 offset1:24
	s_and_saveexec_b64 s[4:5], s[0:1]
	s_cbranch_execz .LBB353_35
; %bb.34:
	ds_write_b32 v1, v33 offset:8192
.LBB353_35:
	s_or_b64 exec, exec, s[4:5]
	s_and_saveexec_b64 s[4:5], s[0:1]
	s_cbranch_execz .LBB353_37
; %bb.36:
	v_mov_b32_e32 v33, 0
	ds_write_b32 v1, v33 offset:10240
.LBB353_37:
	s_or_b64 exec, exec, s[4:5]
	v_cmp_gt_u32_e64 s[0:1], 7, 6
	v_cmp_gt_u32_e64 s[6:7], 7, 5
	s_and_saveexec_b64 s[4:5], s[6:7]
	s_cbranch_execz .LBB353_39
; %bb.38:
	v_mov_b32_e32 v33, 0
	ds_write_b32 v1, v33 offset:12288
.LBB353_39:
	s_or_b64 exec, exec, s[4:5]
	s_and_saveexec_b64 s[4:5], s[0:1]
	s_cbranch_execz .LBB353_41
; %bb.40:
	v_mov_b32_e32 v33, 0
	ds_write_b32 v1, v33 offset:14336
.LBB353_41:
	s_or_b64 exec, exec, s[4:5]
	s_cmp_ge_u32 s2, s3
	s_cselect_b64 s[4:5], -1, 0
	v_cmp_le_u32_e32 vcc, s13, v0
	s_and_b64 s[0:1], s[4:5], exec
	s_cselect_b32 s18, 8, 10
	s_or_b64 s[0:1], s[4:5], vcc
	v_and_b32_e32 v1, 3, v0
	s_waitcnt vmcnt(0)
	v_xor_b32_e32 v32, 0x80000000, v32
	s_xor_b64 s[6:7], s[0:1], -1
	v_mov_b32_e32 v33, s18
	s_waitcnt lgkmcnt(0)
	s_barrier
	s_and_saveexec_b64 s[0:1], s[6:7]
	s_cbranch_execz .LBB353_43
; %bb.42:
	s_sub_i32 s6, s3, s2
	s_min_u32 s6, s6, 8
	v_lshrrev_b32_e32 v33, s2, v32
	v_bfe_u32 v33, v33, 0, s6
	v_lshlrev_b32_e32 v34, 2, v1
	v_lshl_or_b32 v33, v33, 4, v34
	v_mov_b32_e32 v34, 1
	ds_add_u32 v33, v34
	v_mov_b32_e32 v33, 0
.LBB353_43:
	s_or_b64 exec, exec, s[0:1]
	v_cmp_gt_i32_e64 s[0:1], 10, v33
	s_mov_b64 s[14:15], -1
	s_and_saveexec_b64 s[6:7], s[0:1]
; %bb.44:
	v_cmp_eq_u32_e64 s[0:1], 0, v33
	s_orn2_b64 s[14:15], s[0:1], exec
; %bb.45:
	s_or_b64 exec, exec, s[6:7]
	s_and_saveexec_b64 s[6:7], s[14:15]
	s_cbranch_execz .LBB353_58
; %bb.46:
	s_add_i32 s14, s2, 8
	s_cmp_le_u32 s3, s14
	s_cselect_b64 s[0:1], -1, 0
	s_and_b64 s[16:17], s[0:1], exec
	s_cselect_b32 s15, 8, 10
	s_or_b64 s[0:1], s[0:1], vcc
	s_xor_b64 s[16:17], s[0:1], -1
	v_mov_b32_e32 v33, s15
	s_and_saveexec_b64 s[0:1], s[16:17]
	s_cbranch_execz .LBB353_48
; %bb.47:
	s_sub_i32 s15, s3, s14
	s_min_u32 s15, s15, 8
	v_lshrrev_b32_e32 v33, s14, v32
	v_bfe_u32 v33, v33, 0, s15
	v_lshlrev_b32_e32 v34, 2, v1
	v_lshl_or_b32 v33, v33, 4, v34
	v_mov_b32_e32 v34, 1
	ds_add_u32 v33, v34 offset:4096
	v_mov_b32_e32 v33, 0
.LBB353_48:
	s_or_b64 exec, exec, s[0:1]
	v_cmp_gt_i32_e64 s[0:1], 10, v33
	s_mov_b64 s[14:15], -1
	s_and_saveexec_b64 s[16:17], s[0:1]
; %bb.49:
	v_cmp_eq_u32_e64 s[0:1], 0, v33
	s_orn2_b64 s[14:15], s[0:1], exec
; %bb.50:
	s_or_b64 exec, exec, s[16:17]
	s_and_b64 exec, exec, s[14:15]
	s_cbranch_execz .LBB353_58
; %bb.51:
	s_add_i32 s14, s2, 16
	s_cmp_le_u32 s3, s14
	s_cselect_b64 s[0:1], -1, 0
	s_and_b64 s[16:17], s[0:1], exec
	s_cselect_b32 s15, 8, 10
	s_or_b64 s[0:1], s[0:1], vcc
	s_xor_b64 s[16:17], s[0:1], -1
	v_mov_b32_e32 v33, s15
	s_and_saveexec_b64 s[0:1], s[16:17]
	s_cbranch_execz .LBB353_53
; %bb.52:
	s_sub_i32 s15, s3, s14
	s_min_u32 s15, s15, 8
	v_lshrrev_b32_e32 v33, s14, v32
	v_bfe_u32 v33, v33, 0, s15
	v_lshlrev_b32_e32 v34, 2, v1
	v_lshl_or_b32 v33, v33, 4, v34
	v_mov_b32_e32 v34, 1
	ds_add_u32 v33, v34 offset:8192
	v_mov_b32_e32 v33, 0
.LBB353_53:
	s_or_b64 exec, exec, s[0:1]
	v_cmp_gt_i32_e64 s[0:1], 10, v33
	s_mov_b64 s[14:15], -1
	s_and_saveexec_b64 s[16:17], s[0:1]
; %bb.54:
	v_cmp_eq_u32_e64 s[0:1], 0, v33
	s_orn2_b64 s[14:15], s[0:1], exec
; %bb.55:
	s_or_b64 exec, exec, s[16:17]
	s_and_b64 exec, exec, s[14:15]
	s_cbranch_execz .LBB353_58
; %bb.56:
	s_add_i32 s0, s2, 24
	s_cmp_gt_u32 s3, s0
	s_cselect_b64 s[14:15], -1, 0
	s_xor_b64 s[16:17], vcc, -1
	s_and_b64 s[14:15], s[14:15], s[16:17]
	s_and_b64 exec, exec, s[14:15]
	s_cbranch_execz .LBB353_58
; %bb.57:
	s_sub_i32 s1, s3, s0
	s_min_u32 s1, s1, 8
	v_lshrrev_b32_e32 v32, s0, v32
	v_bfe_u32 v32, v32, 0, s1
	v_lshlrev_b32_e32 v33, 2, v1
	v_lshl_or_b32 v32, v32, 4, v33
	v_mov_b32_e32 v33, 1
	ds_add_u32 v32, v33 offset:12288
.LBB353_58:
	s_or_b64 exec, exec, s[6:7]
	v_cmp_le_u32_e32 vcc, s13, v30
	s_or_b64 s[0:1], s[4:5], vcc
	v_xor_b32_e32 v31, 0x80000000, v31
	s_xor_b64 s[6:7], s[0:1], -1
	v_mov_b32_e32 v30, s18
	s_and_saveexec_b64 s[0:1], s[6:7]
	s_cbranch_execz .LBB353_60
; %bb.59:
	s_sub_i32 s6, s3, s2
	s_min_u32 s6, s6, 8
	v_lshrrev_b32_e32 v30, s2, v31
	v_bfe_u32 v30, v30, 0, s6
	v_lshlrev_b32_e32 v32, 2, v1
	v_lshl_or_b32 v30, v30, 4, v32
	v_mov_b32_e32 v32, 1
	ds_add_u32 v30, v32
	v_mov_b32_e32 v30, 0
.LBB353_60:
	s_or_b64 exec, exec, s[0:1]
	v_cmp_gt_i32_e64 s[0:1], 10, v30
	s_mov_b64 s[14:15], -1
	s_and_saveexec_b64 s[6:7], s[0:1]
; %bb.61:
	v_cmp_eq_u32_e64 s[0:1], 0, v30
	s_orn2_b64 s[14:15], s[0:1], exec
; %bb.62:
	s_or_b64 exec, exec, s[6:7]
	s_and_saveexec_b64 s[6:7], s[14:15]
	s_cbranch_execz .LBB353_75
; %bb.63:
	s_add_i32 s14, s2, 8
	s_cmp_le_u32 s3, s14
	s_cselect_b64 s[0:1], -1, 0
	s_and_b64 s[16:17], s[0:1], exec
	s_cselect_b32 s15, 8, 10
	s_or_b64 s[0:1], s[0:1], vcc
	s_xor_b64 s[16:17], s[0:1], -1
	v_mov_b32_e32 v30, s15
	s_and_saveexec_b64 s[0:1], s[16:17]
	s_cbranch_execz .LBB353_65
; %bb.64:
	s_sub_i32 s15, s3, s14
	s_min_u32 s15, s15, 8
	v_lshrrev_b32_e32 v30, s14, v31
	v_bfe_u32 v30, v30, 0, s15
	v_lshlrev_b32_e32 v32, 2, v1
	v_lshl_or_b32 v30, v30, 4, v32
	v_mov_b32_e32 v32, 1
	ds_add_u32 v30, v32 offset:4096
	v_mov_b32_e32 v30, 0
.LBB353_65:
	s_or_b64 exec, exec, s[0:1]
	v_cmp_gt_i32_e64 s[0:1], 10, v30
	s_mov_b64 s[14:15], -1
	s_and_saveexec_b64 s[16:17], s[0:1]
; %bb.66:
	v_cmp_eq_u32_e64 s[0:1], 0, v30
	s_orn2_b64 s[14:15], s[0:1], exec
; %bb.67:
	s_or_b64 exec, exec, s[16:17]
	s_and_b64 exec, exec, s[14:15]
	s_cbranch_execz .LBB353_75
; %bb.68:
	s_add_i32 s14, s2, 16
	s_cmp_le_u32 s3, s14
	s_cselect_b64 s[0:1], -1, 0
	s_and_b64 s[16:17], s[0:1], exec
	s_cselect_b32 s15, 8, 10
	s_or_b64 s[0:1], s[0:1], vcc
	s_xor_b64 s[16:17], s[0:1], -1
	v_mov_b32_e32 v30, s15
	s_and_saveexec_b64 s[0:1], s[16:17]
	s_cbranch_execz .LBB353_70
; %bb.69:
	s_sub_i32 s15, s3, s14
	s_min_u32 s15, s15, 8
	v_lshrrev_b32_e32 v30, s14, v31
	v_bfe_u32 v30, v30, 0, s15
	v_lshlrev_b32_e32 v32, 2, v1
	v_lshl_or_b32 v30, v30, 4, v32
	v_mov_b32_e32 v32, 1
	ds_add_u32 v30, v32 offset:8192
	v_mov_b32_e32 v30, 0
.LBB353_70:
	s_or_b64 exec, exec, s[0:1]
	v_cmp_gt_i32_e64 s[0:1], 10, v30
	s_mov_b64 s[14:15], -1
	s_and_saveexec_b64 s[16:17], s[0:1]
; %bb.71:
	v_cmp_eq_u32_e64 s[0:1], 0, v30
	s_orn2_b64 s[14:15], s[0:1], exec
; %bb.72:
	s_or_b64 exec, exec, s[16:17]
	s_and_b64 exec, exec, s[14:15]
	s_cbranch_execz .LBB353_75
; %bb.73:
	s_add_i32 s0, s2, 24
	s_cmp_gt_u32 s3, s0
	s_cselect_b64 s[14:15], -1, 0
	s_xor_b64 s[16:17], vcc, -1
	s_and_b64 s[14:15], s[14:15], s[16:17]
	s_and_b64 exec, exec, s[14:15]
	s_cbranch_execz .LBB353_75
; %bb.74:
	s_sub_i32 s1, s3, s0
	s_min_u32 s1, s1, 8
	v_lshrrev_b32_e32 v30, s0, v31
	v_bfe_u32 v30, v30, 0, s1
	v_lshlrev_b32_e32 v31, 2, v1
	v_lshl_or_b32 v30, v30, 4, v31
	v_mov_b32_e32 v31, 1
	ds_add_u32 v30, v31 offset:12288
.LBB353_75:
	s_or_b64 exec, exec, s[6:7]
	v_cmp_le_u32_e32 vcc, s13, v28
	s_or_b64 s[0:1], s[4:5], vcc
	v_xor_b32_e32 v29, 0x80000000, v29
	s_xor_b64 s[6:7], s[0:1], -1
	v_mov_b32_e32 v28, s18
	s_and_saveexec_b64 s[0:1], s[6:7]
	s_cbranch_execz .LBB353_77
; %bb.76:
	s_sub_i32 s6, s3, s2
	s_min_u32 s6, s6, 8
	v_lshrrev_b32_e32 v28, s2, v29
	v_bfe_u32 v28, v28, 0, s6
	v_lshlrev_b32_e32 v30, 2, v1
	v_lshl_or_b32 v28, v28, 4, v30
	v_mov_b32_e32 v30, 1
	ds_add_u32 v28, v30
	v_mov_b32_e32 v28, 0
.LBB353_77:
	s_or_b64 exec, exec, s[0:1]
	v_cmp_gt_i32_e64 s[0:1], 10, v28
	s_mov_b64 s[14:15], -1
	s_and_saveexec_b64 s[6:7], s[0:1]
; %bb.78:
	v_cmp_eq_u32_e64 s[0:1], 0, v28
	s_orn2_b64 s[14:15], s[0:1], exec
; %bb.79:
	s_or_b64 exec, exec, s[6:7]
	s_and_saveexec_b64 s[6:7], s[14:15]
	s_cbranch_execz .LBB353_92
; %bb.80:
	s_add_i32 s14, s2, 8
	s_cmp_le_u32 s3, s14
	s_cselect_b64 s[0:1], -1, 0
	s_and_b64 s[16:17], s[0:1], exec
	s_cselect_b32 s15, 8, 10
	s_or_b64 s[0:1], s[0:1], vcc
	s_xor_b64 s[16:17], s[0:1], -1
	v_mov_b32_e32 v28, s15
	s_and_saveexec_b64 s[0:1], s[16:17]
	s_cbranch_execz .LBB353_82
; %bb.81:
	s_sub_i32 s15, s3, s14
	s_min_u32 s15, s15, 8
	v_lshrrev_b32_e32 v28, s14, v29
	v_bfe_u32 v28, v28, 0, s15
	v_lshlrev_b32_e32 v30, 2, v1
	v_lshl_or_b32 v28, v28, 4, v30
	v_mov_b32_e32 v30, 1
	ds_add_u32 v28, v30 offset:4096
	v_mov_b32_e32 v28, 0
.LBB353_82:
	s_or_b64 exec, exec, s[0:1]
	v_cmp_gt_i32_e64 s[0:1], 10, v28
	s_mov_b64 s[14:15], -1
	s_and_saveexec_b64 s[16:17], s[0:1]
; %bb.83:
	v_cmp_eq_u32_e64 s[0:1], 0, v28
	s_orn2_b64 s[14:15], s[0:1], exec
; %bb.84:
	s_or_b64 exec, exec, s[16:17]
	s_and_b64 exec, exec, s[14:15]
	s_cbranch_execz .LBB353_92
; %bb.85:
	s_add_i32 s14, s2, 16
	s_cmp_le_u32 s3, s14
	s_cselect_b64 s[0:1], -1, 0
	s_and_b64 s[16:17], s[0:1], exec
	s_cselect_b32 s15, 8, 10
	s_or_b64 s[0:1], s[0:1], vcc
	s_xor_b64 s[16:17], s[0:1], -1
	v_mov_b32_e32 v28, s15
	s_and_saveexec_b64 s[0:1], s[16:17]
	s_cbranch_execz .LBB353_87
; %bb.86:
	s_sub_i32 s15, s3, s14
	s_min_u32 s15, s15, 8
	v_lshrrev_b32_e32 v28, s14, v29
	v_bfe_u32 v28, v28, 0, s15
	v_lshlrev_b32_e32 v30, 2, v1
	v_lshl_or_b32 v28, v28, 4, v30
	v_mov_b32_e32 v30, 1
	ds_add_u32 v28, v30 offset:8192
	v_mov_b32_e32 v28, 0
.LBB353_87:
	s_or_b64 exec, exec, s[0:1]
	v_cmp_gt_i32_e64 s[0:1], 10, v28
	s_mov_b64 s[14:15], -1
	s_and_saveexec_b64 s[16:17], s[0:1]
; %bb.88:
	v_cmp_eq_u32_e64 s[0:1], 0, v28
	s_orn2_b64 s[14:15], s[0:1], exec
; %bb.89:
	s_or_b64 exec, exec, s[16:17]
	s_and_b64 exec, exec, s[14:15]
	s_cbranch_execz .LBB353_92
; %bb.90:
	s_add_i32 s0, s2, 24
	s_cmp_gt_u32 s3, s0
	s_cselect_b64 s[14:15], -1, 0
	s_xor_b64 s[16:17], vcc, -1
	s_and_b64 s[14:15], s[14:15], s[16:17]
	s_and_b64 exec, exec, s[14:15]
	s_cbranch_execz .LBB353_92
; %bb.91:
	s_sub_i32 s1, s3, s0
	s_min_u32 s1, s1, 8
	v_lshrrev_b32_e32 v28, s0, v29
	v_bfe_u32 v28, v28, 0, s1
	v_lshlrev_b32_e32 v29, 2, v1
	v_lshl_or_b32 v28, v28, 4, v29
	v_mov_b32_e32 v29, 1
	ds_add_u32 v28, v29 offset:12288
.LBB353_92:
	s_or_b64 exec, exec, s[6:7]
	v_cmp_le_u32_e32 vcc, s13, v26
	s_or_b64 s[0:1], s[4:5], vcc
	v_xor_b32_e32 v27, 0x80000000, v27
	s_xor_b64 s[6:7], s[0:1], -1
	v_mov_b32_e32 v26, s18
	s_and_saveexec_b64 s[0:1], s[6:7]
	s_cbranch_execz .LBB353_94
; %bb.93:
	s_sub_i32 s6, s3, s2
	s_min_u32 s6, s6, 8
	v_lshrrev_b32_e32 v26, s2, v27
	v_bfe_u32 v26, v26, 0, s6
	v_lshlrev_b32_e32 v28, 2, v1
	v_lshl_or_b32 v26, v26, 4, v28
	v_mov_b32_e32 v28, 1
	ds_add_u32 v26, v28
	v_mov_b32_e32 v26, 0
.LBB353_94:
	s_or_b64 exec, exec, s[0:1]
	v_cmp_gt_i32_e64 s[0:1], 10, v26
	s_mov_b64 s[14:15], -1
	s_and_saveexec_b64 s[6:7], s[0:1]
; %bb.95:
	v_cmp_eq_u32_e64 s[0:1], 0, v26
	s_orn2_b64 s[14:15], s[0:1], exec
; %bb.96:
	s_or_b64 exec, exec, s[6:7]
	s_and_saveexec_b64 s[6:7], s[14:15]
	s_cbranch_execz .LBB353_109
; %bb.97:
	s_add_i32 s14, s2, 8
	s_cmp_le_u32 s3, s14
	s_cselect_b64 s[0:1], -1, 0
	s_and_b64 s[16:17], s[0:1], exec
	s_cselect_b32 s15, 8, 10
	s_or_b64 s[0:1], s[0:1], vcc
	s_xor_b64 s[16:17], s[0:1], -1
	v_mov_b32_e32 v26, s15
	s_and_saveexec_b64 s[0:1], s[16:17]
	s_cbranch_execz .LBB353_99
; %bb.98:
	s_sub_i32 s15, s3, s14
	s_min_u32 s15, s15, 8
	v_lshrrev_b32_e32 v26, s14, v27
	v_bfe_u32 v26, v26, 0, s15
	v_lshlrev_b32_e32 v28, 2, v1
	v_lshl_or_b32 v26, v26, 4, v28
	v_mov_b32_e32 v28, 1
	ds_add_u32 v26, v28 offset:4096
	v_mov_b32_e32 v26, 0
.LBB353_99:
	s_or_b64 exec, exec, s[0:1]
	v_cmp_gt_i32_e64 s[0:1], 10, v26
	s_mov_b64 s[14:15], -1
	s_and_saveexec_b64 s[16:17], s[0:1]
; %bb.100:
	v_cmp_eq_u32_e64 s[0:1], 0, v26
	s_orn2_b64 s[14:15], s[0:1], exec
; %bb.101:
	s_or_b64 exec, exec, s[16:17]
	s_and_b64 exec, exec, s[14:15]
	s_cbranch_execz .LBB353_109
; %bb.102:
	s_add_i32 s14, s2, 16
	s_cmp_le_u32 s3, s14
	s_cselect_b64 s[0:1], -1, 0
	s_and_b64 s[16:17], s[0:1], exec
	s_cselect_b32 s15, 8, 10
	s_or_b64 s[0:1], s[0:1], vcc
	s_xor_b64 s[16:17], s[0:1], -1
	v_mov_b32_e32 v26, s15
	s_and_saveexec_b64 s[0:1], s[16:17]
	s_cbranch_execz .LBB353_104
; %bb.103:
	s_sub_i32 s15, s3, s14
	s_min_u32 s15, s15, 8
	v_lshrrev_b32_e32 v26, s14, v27
	v_bfe_u32 v26, v26, 0, s15
	v_lshlrev_b32_e32 v28, 2, v1
	v_lshl_or_b32 v26, v26, 4, v28
	v_mov_b32_e32 v28, 1
	ds_add_u32 v26, v28 offset:8192
	v_mov_b32_e32 v26, 0
.LBB353_104:
	s_or_b64 exec, exec, s[0:1]
	v_cmp_gt_i32_e64 s[0:1], 10, v26
	s_mov_b64 s[14:15], -1
	s_and_saveexec_b64 s[16:17], s[0:1]
; %bb.105:
	v_cmp_eq_u32_e64 s[0:1], 0, v26
	s_orn2_b64 s[14:15], s[0:1], exec
; %bb.106:
	s_or_b64 exec, exec, s[16:17]
	s_and_b64 exec, exec, s[14:15]
	s_cbranch_execz .LBB353_109
; %bb.107:
	s_add_i32 s0, s2, 24
	s_cmp_gt_u32 s3, s0
	s_cselect_b64 s[14:15], -1, 0
	s_xor_b64 s[16:17], vcc, -1
	s_and_b64 s[14:15], s[14:15], s[16:17]
	s_and_b64 exec, exec, s[14:15]
	s_cbranch_execz .LBB353_109
; %bb.108:
	s_sub_i32 s1, s3, s0
	s_min_u32 s1, s1, 8
	v_lshrrev_b32_e32 v26, s0, v27
	v_bfe_u32 v26, v26, 0, s1
	v_lshlrev_b32_e32 v27, 2, v1
	v_lshl_or_b32 v26, v26, 4, v27
	v_mov_b32_e32 v27, 1
	ds_add_u32 v26, v27 offset:12288
.LBB353_109:
	s_or_b64 exec, exec, s[6:7]
	v_cmp_le_u32_e32 vcc, s13, v24
	s_or_b64 s[0:1], s[4:5], vcc
	v_xor_b32_e32 v25, 0x80000000, v25
	s_xor_b64 s[6:7], s[0:1], -1
	v_mov_b32_e32 v24, s18
	s_and_saveexec_b64 s[0:1], s[6:7]
	s_cbranch_execz .LBB353_111
; %bb.110:
	s_sub_i32 s6, s3, s2
	s_min_u32 s6, s6, 8
	v_lshrrev_b32_e32 v24, s2, v25
	v_bfe_u32 v24, v24, 0, s6
	v_lshlrev_b32_e32 v26, 2, v1
	v_lshl_or_b32 v24, v24, 4, v26
	v_mov_b32_e32 v26, 1
	ds_add_u32 v24, v26
	v_mov_b32_e32 v24, 0
.LBB353_111:
	s_or_b64 exec, exec, s[0:1]
	v_cmp_gt_i32_e64 s[0:1], 10, v24
	s_mov_b64 s[14:15], -1
	s_and_saveexec_b64 s[6:7], s[0:1]
; %bb.112:
	v_cmp_eq_u32_e64 s[0:1], 0, v24
	s_orn2_b64 s[14:15], s[0:1], exec
; %bb.113:
	s_or_b64 exec, exec, s[6:7]
	s_and_saveexec_b64 s[6:7], s[14:15]
	s_cbranch_execz .LBB353_126
; %bb.114:
	s_add_i32 s14, s2, 8
	s_cmp_le_u32 s3, s14
	s_cselect_b64 s[0:1], -1, 0
	s_and_b64 s[16:17], s[0:1], exec
	s_cselect_b32 s15, 8, 10
	s_or_b64 s[0:1], s[0:1], vcc
	s_xor_b64 s[16:17], s[0:1], -1
	v_mov_b32_e32 v24, s15
	s_and_saveexec_b64 s[0:1], s[16:17]
	s_cbranch_execz .LBB353_116
; %bb.115:
	s_sub_i32 s15, s3, s14
	s_min_u32 s15, s15, 8
	v_lshrrev_b32_e32 v24, s14, v25
	v_bfe_u32 v24, v24, 0, s15
	v_lshlrev_b32_e32 v26, 2, v1
	v_lshl_or_b32 v24, v24, 4, v26
	v_mov_b32_e32 v26, 1
	ds_add_u32 v24, v26 offset:4096
	v_mov_b32_e32 v24, 0
.LBB353_116:
	s_or_b64 exec, exec, s[0:1]
	v_cmp_gt_i32_e64 s[0:1], 10, v24
	s_mov_b64 s[14:15], -1
	s_and_saveexec_b64 s[16:17], s[0:1]
; %bb.117:
	v_cmp_eq_u32_e64 s[0:1], 0, v24
	s_orn2_b64 s[14:15], s[0:1], exec
; %bb.118:
	s_or_b64 exec, exec, s[16:17]
	s_and_b64 exec, exec, s[14:15]
	s_cbranch_execz .LBB353_126
; %bb.119:
	s_add_i32 s14, s2, 16
	s_cmp_le_u32 s3, s14
	s_cselect_b64 s[0:1], -1, 0
	s_and_b64 s[16:17], s[0:1], exec
	s_cselect_b32 s15, 8, 10
	s_or_b64 s[0:1], s[0:1], vcc
	s_xor_b64 s[16:17], s[0:1], -1
	v_mov_b32_e32 v24, s15
	s_and_saveexec_b64 s[0:1], s[16:17]
	s_cbranch_execz .LBB353_121
; %bb.120:
	s_sub_i32 s15, s3, s14
	s_min_u32 s15, s15, 8
	v_lshrrev_b32_e32 v24, s14, v25
	v_bfe_u32 v24, v24, 0, s15
	v_lshlrev_b32_e32 v26, 2, v1
	v_lshl_or_b32 v24, v24, 4, v26
	v_mov_b32_e32 v26, 1
	ds_add_u32 v24, v26 offset:8192
	v_mov_b32_e32 v24, 0
.LBB353_121:
	s_or_b64 exec, exec, s[0:1]
	v_cmp_gt_i32_e64 s[0:1], 10, v24
	s_mov_b64 s[14:15], -1
	s_and_saveexec_b64 s[16:17], s[0:1]
; %bb.122:
	v_cmp_eq_u32_e64 s[0:1], 0, v24
	s_orn2_b64 s[14:15], s[0:1], exec
; %bb.123:
	s_or_b64 exec, exec, s[16:17]
	s_and_b64 exec, exec, s[14:15]
	s_cbranch_execz .LBB353_126
; %bb.124:
	s_add_i32 s0, s2, 24
	s_cmp_gt_u32 s3, s0
	s_cselect_b64 s[14:15], -1, 0
	s_xor_b64 s[16:17], vcc, -1
	s_and_b64 s[14:15], s[14:15], s[16:17]
	s_and_b64 exec, exec, s[14:15]
	s_cbranch_execz .LBB353_126
; %bb.125:
	s_sub_i32 s1, s3, s0
	s_min_u32 s1, s1, 8
	v_lshrrev_b32_e32 v24, s0, v25
	v_bfe_u32 v24, v24, 0, s1
	v_lshlrev_b32_e32 v25, 2, v1
	v_lshl_or_b32 v24, v24, 4, v25
	v_mov_b32_e32 v25, 1
	ds_add_u32 v24, v25 offset:12288
.LBB353_126:
	s_or_b64 exec, exec, s[6:7]
	v_cmp_le_u32_e32 vcc, s13, v22
	s_or_b64 s[0:1], s[4:5], vcc
	v_xor_b32_e32 v23, 0x80000000, v23
	s_xor_b64 s[6:7], s[0:1], -1
	v_mov_b32_e32 v22, s18
	s_and_saveexec_b64 s[0:1], s[6:7]
	s_cbranch_execz .LBB353_128
; %bb.127:
	s_sub_i32 s6, s3, s2
	s_min_u32 s6, s6, 8
	v_lshrrev_b32_e32 v22, s2, v23
	v_bfe_u32 v22, v22, 0, s6
	v_lshlrev_b32_e32 v24, 2, v1
	v_lshl_or_b32 v22, v22, 4, v24
	v_mov_b32_e32 v24, 1
	ds_add_u32 v22, v24
	v_mov_b32_e32 v22, 0
.LBB353_128:
	s_or_b64 exec, exec, s[0:1]
	v_cmp_gt_i32_e64 s[0:1], 10, v22
	s_mov_b64 s[14:15], -1
	s_and_saveexec_b64 s[6:7], s[0:1]
; %bb.129:
	v_cmp_eq_u32_e64 s[0:1], 0, v22
	s_orn2_b64 s[14:15], s[0:1], exec
; %bb.130:
	s_or_b64 exec, exec, s[6:7]
	s_and_saveexec_b64 s[6:7], s[14:15]
	s_cbranch_execz .LBB353_143
; %bb.131:
	s_add_i32 s14, s2, 8
	s_cmp_le_u32 s3, s14
	s_cselect_b64 s[0:1], -1, 0
	s_and_b64 s[16:17], s[0:1], exec
	s_cselect_b32 s15, 8, 10
	s_or_b64 s[0:1], s[0:1], vcc
	s_xor_b64 s[16:17], s[0:1], -1
	v_mov_b32_e32 v22, s15
	s_and_saveexec_b64 s[0:1], s[16:17]
	s_cbranch_execz .LBB353_133
; %bb.132:
	s_sub_i32 s15, s3, s14
	s_min_u32 s15, s15, 8
	v_lshrrev_b32_e32 v22, s14, v23
	v_bfe_u32 v22, v22, 0, s15
	v_lshlrev_b32_e32 v24, 2, v1
	v_lshl_or_b32 v22, v22, 4, v24
	v_mov_b32_e32 v24, 1
	ds_add_u32 v22, v24 offset:4096
	v_mov_b32_e32 v22, 0
.LBB353_133:
	s_or_b64 exec, exec, s[0:1]
	v_cmp_gt_i32_e64 s[0:1], 10, v22
	s_mov_b64 s[14:15], -1
	s_and_saveexec_b64 s[16:17], s[0:1]
; %bb.134:
	v_cmp_eq_u32_e64 s[0:1], 0, v22
	s_orn2_b64 s[14:15], s[0:1], exec
; %bb.135:
	s_or_b64 exec, exec, s[16:17]
	s_and_b64 exec, exec, s[14:15]
	s_cbranch_execz .LBB353_143
; %bb.136:
	s_add_i32 s14, s2, 16
	s_cmp_le_u32 s3, s14
	s_cselect_b64 s[0:1], -1, 0
	s_and_b64 s[16:17], s[0:1], exec
	s_cselect_b32 s15, 8, 10
	s_or_b64 s[0:1], s[0:1], vcc
	s_xor_b64 s[16:17], s[0:1], -1
	v_mov_b32_e32 v22, s15
	s_and_saveexec_b64 s[0:1], s[16:17]
	s_cbranch_execz .LBB353_138
; %bb.137:
	s_sub_i32 s15, s3, s14
	s_min_u32 s15, s15, 8
	v_lshrrev_b32_e32 v22, s14, v23
	v_bfe_u32 v22, v22, 0, s15
	v_lshlrev_b32_e32 v24, 2, v1
	v_lshl_or_b32 v22, v22, 4, v24
	v_mov_b32_e32 v24, 1
	ds_add_u32 v22, v24 offset:8192
	v_mov_b32_e32 v22, 0
.LBB353_138:
	s_or_b64 exec, exec, s[0:1]
	v_cmp_gt_i32_e64 s[0:1], 10, v22
	s_mov_b64 s[14:15], -1
	s_and_saveexec_b64 s[16:17], s[0:1]
; %bb.139:
	v_cmp_eq_u32_e64 s[0:1], 0, v22
	s_orn2_b64 s[14:15], s[0:1], exec
; %bb.140:
	s_or_b64 exec, exec, s[16:17]
	s_and_b64 exec, exec, s[14:15]
	s_cbranch_execz .LBB353_143
; %bb.141:
	s_add_i32 s0, s2, 24
	s_cmp_gt_u32 s3, s0
	s_cselect_b64 s[14:15], -1, 0
	s_xor_b64 s[16:17], vcc, -1
	s_and_b64 s[14:15], s[14:15], s[16:17]
	s_and_b64 exec, exec, s[14:15]
	s_cbranch_execz .LBB353_143
; %bb.142:
	s_sub_i32 s1, s3, s0
	s_min_u32 s1, s1, 8
	v_lshrrev_b32_e32 v22, s0, v23
	v_bfe_u32 v22, v22, 0, s1
	v_lshlrev_b32_e32 v23, 2, v1
	v_lshl_or_b32 v22, v22, 4, v23
	v_mov_b32_e32 v23, 1
	ds_add_u32 v22, v23 offset:12288
.LBB353_143:
	s_or_b64 exec, exec, s[6:7]
	v_cmp_le_u32_e32 vcc, s13, v20
	s_or_b64 s[0:1], s[4:5], vcc
	v_xor_b32_e32 v21, 0x80000000, v21
	s_xor_b64 s[6:7], s[0:1], -1
	v_mov_b32_e32 v20, s18
	s_and_saveexec_b64 s[0:1], s[6:7]
	s_cbranch_execz .LBB353_145
; %bb.144:
	s_sub_i32 s6, s3, s2
	s_min_u32 s6, s6, 8
	v_lshrrev_b32_e32 v20, s2, v21
	v_bfe_u32 v20, v20, 0, s6
	v_lshlrev_b32_e32 v22, 2, v1
	v_lshl_or_b32 v20, v20, 4, v22
	v_mov_b32_e32 v22, 1
	ds_add_u32 v20, v22
	v_mov_b32_e32 v20, 0
.LBB353_145:
	s_or_b64 exec, exec, s[0:1]
	v_cmp_gt_i32_e64 s[0:1], 10, v20
	s_mov_b64 s[14:15], -1
	s_and_saveexec_b64 s[6:7], s[0:1]
; %bb.146:
	v_cmp_eq_u32_e64 s[0:1], 0, v20
	s_orn2_b64 s[14:15], s[0:1], exec
; %bb.147:
	s_or_b64 exec, exec, s[6:7]
	s_and_saveexec_b64 s[6:7], s[14:15]
	s_cbranch_execz .LBB353_160
; %bb.148:
	s_add_i32 s14, s2, 8
	s_cmp_le_u32 s3, s14
	s_cselect_b64 s[0:1], -1, 0
	s_and_b64 s[16:17], s[0:1], exec
	s_cselect_b32 s15, 8, 10
	s_or_b64 s[0:1], s[0:1], vcc
	s_xor_b64 s[16:17], s[0:1], -1
	v_mov_b32_e32 v20, s15
	s_and_saveexec_b64 s[0:1], s[16:17]
	s_cbranch_execz .LBB353_150
; %bb.149:
	s_sub_i32 s15, s3, s14
	s_min_u32 s15, s15, 8
	v_lshrrev_b32_e32 v20, s14, v21
	v_bfe_u32 v20, v20, 0, s15
	v_lshlrev_b32_e32 v22, 2, v1
	v_lshl_or_b32 v20, v20, 4, v22
	v_mov_b32_e32 v22, 1
	ds_add_u32 v20, v22 offset:4096
	v_mov_b32_e32 v20, 0
.LBB353_150:
	s_or_b64 exec, exec, s[0:1]
	v_cmp_gt_i32_e64 s[0:1], 10, v20
	s_mov_b64 s[14:15], -1
	s_and_saveexec_b64 s[16:17], s[0:1]
; %bb.151:
	v_cmp_eq_u32_e64 s[0:1], 0, v20
	s_orn2_b64 s[14:15], s[0:1], exec
; %bb.152:
	s_or_b64 exec, exec, s[16:17]
	s_and_b64 exec, exec, s[14:15]
	s_cbranch_execz .LBB353_160
; %bb.153:
	s_add_i32 s14, s2, 16
	s_cmp_le_u32 s3, s14
	s_cselect_b64 s[0:1], -1, 0
	s_and_b64 s[16:17], s[0:1], exec
	s_cselect_b32 s15, 8, 10
	s_or_b64 s[0:1], s[0:1], vcc
	s_xor_b64 s[16:17], s[0:1], -1
	v_mov_b32_e32 v20, s15
	s_and_saveexec_b64 s[0:1], s[16:17]
	s_cbranch_execz .LBB353_155
; %bb.154:
	s_sub_i32 s15, s3, s14
	s_min_u32 s15, s15, 8
	v_lshrrev_b32_e32 v20, s14, v21
	v_bfe_u32 v20, v20, 0, s15
	v_lshlrev_b32_e32 v22, 2, v1
	v_lshl_or_b32 v20, v20, 4, v22
	v_mov_b32_e32 v22, 1
	ds_add_u32 v20, v22 offset:8192
	v_mov_b32_e32 v20, 0
.LBB353_155:
	s_or_b64 exec, exec, s[0:1]
	v_cmp_gt_i32_e64 s[0:1], 10, v20
	s_mov_b64 s[14:15], -1
	s_and_saveexec_b64 s[16:17], s[0:1]
; %bb.156:
	v_cmp_eq_u32_e64 s[0:1], 0, v20
	s_orn2_b64 s[14:15], s[0:1], exec
; %bb.157:
	s_or_b64 exec, exec, s[16:17]
	s_and_b64 exec, exec, s[14:15]
	s_cbranch_execz .LBB353_160
; %bb.158:
	s_add_i32 s0, s2, 24
	s_cmp_gt_u32 s3, s0
	s_cselect_b64 s[14:15], -1, 0
	s_xor_b64 s[16:17], vcc, -1
	s_and_b64 s[14:15], s[14:15], s[16:17]
	s_and_b64 exec, exec, s[14:15]
	s_cbranch_execz .LBB353_160
; %bb.159:
	s_sub_i32 s1, s3, s0
	s_min_u32 s1, s1, 8
	v_lshrrev_b32_e32 v20, s0, v21
	v_bfe_u32 v20, v20, 0, s1
	v_lshlrev_b32_e32 v21, 2, v1
	v_lshl_or_b32 v20, v20, 4, v21
	v_mov_b32_e32 v21, 1
	ds_add_u32 v20, v21 offset:12288
.LBB353_160:
	s_or_b64 exec, exec, s[6:7]
	v_cmp_le_u32_e32 vcc, s13, v18
	s_or_b64 s[0:1], s[4:5], vcc
	v_xor_b32_e32 v19, 0x80000000, v19
	s_xor_b64 s[6:7], s[0:1], -1
	v_mov_b32_e32 v18, s18
	s_and_saveexec_b64 s[0:1], s[6:7]
	s_cbranch_execz .LBB353_162
; %bb.161:
	s_sub_i32 s6, s3, s2
	s_min_u32 s6, s6, 8
	v_lshrrev_b32_e32 v18, s2, v19
	v_bfe_u32 v18, v18, 0, s6
	v_lshlrev_b32_e32 v20, 2, v1
	v_lshl_or_b32 v18, v18, 4, v20
	v_mov_b32_e32 v20, 1
	ds_add_u32 v18, v20
	v_mov_b32_e32 v18, 0
.LBB353_162:
	s_or_b64 exec, exec, s[0:1]
	v_cmp_gt_i32_e64 s[0:1], 10, v18
	s_mov_b64 s[14:15], -1
	s_and_saveexec_b64 s[6:7], s[0:1]
; %bb.163:
	v_cmp_eq_u32_e64 s[0:1], 0, v18
	s_orn2_b64 s[14:15], s[0:1], exec
; %bb.164:
	s_or_b64 exec, exec, s[6:7]
	s_and_saveexec_b64 s[6:7], s[14:15]
	s_cbranch_execz .LBB353_177
; %bb.165:
	s_add_i32 s14, s2, 8
	s_cmp_le_u32 s3, s14
	s_cselect_b64 s[0:1], -1, 0
	s_and_b64 s[16:17], s[0:1], exec
	s_cselect_b32 s15, 8, 10
	s_or_b64 s[0:1], s[0:1], vcc
	s_xor_b64 s[16:17], s[0:1], -1
	v_mov_b32_e32 v18, s15
	s_and_saveexec_b64 s[0:1], s[16:17]
	s_cbranch_execz .LBB353_167
; %bb.166:
	s_sub_i32 s15, s3, s14
	s_min_u32 s15, s15, 8
	v_lshrrev_b32_e32 v18, s14, v19
	v_bfe_u32 v18, v18, 0, s15
	v_lshlrev_b32_e32 v20, 2, v1
	v_lshl_or_b32 v18, v18, 4, v20
	v_mov_b32_e32 v20, 1
	ds_add_u32 v18, v20 offset:4096
	v_mov_b32_e32 v18, 0
.LBB353_167:
	s_or_b64 exec, exec, s[0:1]
	v_cmp_gt_i32_e64 s[0:1], 10, v18
	s_mov_b64 s[14:15], -1
	s_and_saveexec_b64 s[16:17], s[0:1]
; %bb.168:
	v_cmp_eq_u32_e64 s[0:1], 0, v18
	s_orn2_b64 s[14:15], s[0:1], exec
; %bb.169:
	s_or_b64 exec, exec, s[16:17]
	s_and_b64 exec, exec, s[14:15]
	s_cbranch_execz .LBB353_177
; %bb.170:
	s_add_i32 s14, s2, 16
	s_cmp_le_u32 s3, s14
	s_cselect_b64 s[0:1], -1, 0
	s_and_b64 s[16:17], s[0:1], exec
	s_cselect_b32 s15, 8, 10
	s_or_b64 s[0:1], s[0:1], vcc
	s_xor_b64 s[16:17], s[0:1], -1
	v_mov_b32_e32 v18, s15
	s_and_saveexec_b64 s[0:1], s[16:17]
	s_cbranch_execz .LBB353_172
; %bb.171:
	s_sub_i32 s15, s3, s14
	s_min_u32 s15, s15, 8
	v_lshrrev_b32_e32 v18, s14, v19
	v_bfe_u32 v18, v18, 0, s15
	v_lshlrev_b32_e32 v20, 2, v1
	v_lshl_or_b32 v18, v18, 4, v20
	v_mov_b32_e32 v20, 1
	ds_add_u32 v18, v20 offset:8192
	v_mov_b32_e32 v18, 0
.LBB353_172:
	s_or_b64 exec, exec, s[0:1]
	v_cmp_gt_i32_e64 s[0:1], 10, v18
	s_mov_b64 s[14:15], -1
	s_and_saveexec_b64 s[16:17], s[0:1]
; %bb.173:
	v_cmp_eq_u32_e64 s[0:1], 0, v18
	s_orn2_b64 s[14:15], s[0:1], exec
; %bb.174:
	s_or_b64 exec, exec, s[16:17]
	s_and_b64 exec, exec, s[14:15]
	s_cbranch_execz .LBB353_177
; %bb.175:
	s_add_i32 s0, s2, 24
	s_cmp_gt_u32 s3, s0
	s_cselect_b64 s[14:15], -1, 0
	s_xor_b64 s[16:17], vcc, -1
	s_and_b64 s[14:15], s[14:15], s[16:17]
	s_and_b64 exec, exec, s[14:15]
	s_cbranch_execz .LBB353_177
; %bb.176:
	s_sub_i32 s1, s3, s0
	s_min_u32 s1, s1, 8
	v_lshrrev_b32_e32 v18, s0, v19
	v_bfe_u32 v18, v18, 0, s1
	v_lshlrev_b32_e32 v19, 2, v1
	v_lshl_or_b32 v18, v18, 4, v19
	v_mov_b32_e32 v19, 1
	ds_add_u32 v18, v19 offset:12288
.LBB353_177:
	s_or_b64 exec, exec, s[6:7]
	v_cmp_le_u32_e32 vcc, s13, v16
	s_or_b64 s[0:1], s[4:5], vcc
	v_xor_b32_e32 v17, 0x80000000, v17
	s_xor_b64 s[6:7], s[0:1], -1
	v_mov_b32_e32 v16, s18
	s_and_saveexec_b64 s[0:1], s[6:7]
	s_cbranch_execz .LBB353_179
; %bb.178:
	s_sub_i32 s6, s3, s2
	s_min_u32 s6, s6, 8
	v_lshrrev_b32_e32 v16, s2, v17
	v_bfe_u32 v16, v16, 0, s6
	v_lshlrev_b32_e32 v18, 2, v1
	v_lshl_or_b32 v16, v16, 4, v18
	v_mov_b32_e32 v18, 1
	ds_add_u32 v16, v18
	v_mov_b32_e32 v16, 0
.LBB353_179:
	s_or_b64 exec, exec, s[0:1]
	v_cmp_gt_i32_e64 s[0:1], 10, v16
	s_mov_b64 s[14:15], -1
	s_and_saveexec_b64 s[6:7], s[0:1]
; %bb.180:
	v_cmp_eq_u32_e64 s[0:1], 0, v16
	s_orn2_b64 s[14:15], s[0:1], exec
; %bb.181:
	s_or_b64 exec, exec, s[6:7]
	s_and_saveexec_b64 s[6:7], s[14:15]
	s_cbranch_execz .LBB353_194
; %bb.182:
	s_add_i32 s14, s2, 8
	s_cmp_le_u32 s3, s14
	s_cselect_b64 s[0:1], -1, 0
	s_and_b64 s[16:17], s[0:1], exec
	s_cselect_b32 s15, 8, 10
	s_or_b64 s[0:1], s[0:1], vcc
	s_xor_b64 s[16:17], s[0:1], -1
	v_mov_b32_e32 v16, s15
	s_and_saveexec_b64 s[0:1], s[16:17]
	s_cbranch_execz .LBB353_184
; %bb.183:
	s_sub_i32 s15, s3, s14
	s_min_u32 s15, s15, 8
	v_lshrrev_b32_e32 v16, s14, v17
	v_bfe_u32 v16, v16, 0, s15
	v_lshlrev_b32_e32 v18, 2, v1
	v_lshl_or_b32 v16, v16, 4, v18
	v_mov_b32_e32 v18, 1
	ds_add_u32 v16, v18 offset:4096
	v_mov_b32_e32 v16, 0
.LBB353_184:
	s_or_b64 exec, exec, s[0:1]
	v_cmp_gt_i32_e64 s[0:1], 10, v16
	s_mov_b64 s[14:15], -1
	s_and_saveexec_b64 s[16:17], s[0:1]
; %bb.185:
	v_cmp_eq_u32_e64 s[0:1], 0, v16
	s_orn2_b64 s[14:15], s[0:1], exec
; %bb.186:
	s_or_b64 exec, exec, s[16:17]
	s_and_b64 exec, exec, s[14:15]
	s_cbranch_execz .LBB353_194
; %bb.187:
	s_add_i32 s14, s2, 16
	s_cmp_le_u32 s3, s14
	s_cselect_b64 s[0:1], -1, 0
	s_and_b64 s[16:17], s[0:1], exec
	s_cselect_b32 s15, 8, 10
	s_or_b64 s[0:1], s[0:1], vcc
	s_xor_b64 s[16:17], s[0:1], -1
	v_mov_b32_e32 v16, s15
	s_and_saveexec_b64 s[0:1], s[16:17]
	s_cbranch_execz .LBB353_189
; %bb.188:
	s_sub_i32 s15, s3, s14
	s_min_u32 s15, s15, 8
	v_lshrrev_b32_e32 v16, s14, v17
	v_bfe_u32 v16, v16, 0, s15
	v_lshlrev_b32_e32 v18, 2, v1
	v_lshl_or_b32 v16, v16, 4, v18
	v_mov_b32_e32 v18, 1
	ds_add_u32 v16, v18 offset:8192
	v_mov_b32_e32 v16, 0
.LBB353_189:
	s_or_b64 exec, exec, s[0:1]
	v_cmp_gt_i32_e64 s[0:1], 10, v16
	s_mov_b64 s[14:15], -1
	s_and_saveexec_b64 s[16:17], s[0:1]
; %bb.190:
	v_cmp_eq_u32_e64 s[0:1], 0, v16
	s_orn2_b64 s[14:15], s[0:1], exec
; %bb.191:
	s_or_b64 exec, exec, s[16:17]
	s_and_b64 exec, exec, s[14:15]
	s_cbranch_execz .LBB353_194
; %bb.192:
	s_add_i32 s0, s2, 24
	s_cmp_gt_u32 s3, s0
	s_cselect_b64 s[14:15], -1, 0
	s_xor_b64 s[16:17], vcc, -1
	s_and_b64 s[14:15], s[14:15], s[16:17]
	s_and_b64 exec, exec, s[14:15]
	s_cbranch_execz .LBB353_194
; %bb.193:
	s_sub_i32 s1, s3, s0
	s_min_u32 s1, s1, 8
	v_lshrrev_b32_e32 v16, s0, v17
	v_bfe_u32 v16, v16, 0, s1
	v_lshlrev_b32_e32 v17, 2, v1
	v_lshl_or_b32 v16, v16, 4, v17
	v_mov_b32_e32 v17, 1
	ds_add_u32 v16, v17 offset:12288
.LBB353_194:
	s_or_b64 exec, exec, s[6:7]
	v_cmp_le_u32_e32 vcc, s13, v14
	s_or_b64 s[0:1], s[4:5], vcc
	v_xor_b32_e32 v15, 0x80000000, v15
	s_xor_b64 s[6:7], s[0:1], -1
	v_mov_b32_e32 v14, s18
	s_and_saveexec_b64 s[0:1], s[6:7]
	s_cbranch_execz .LBB353_196
; %bb.195:
	s_sub_i32 s6, s3, s2
	s_min_u32 s6, s6, 8
	v_lshrrev_b32_e32 v14, s2, v15
	v_bfe_u32 v14, v14, 0, s6
	v_lshlrev_b32_e32 v16, 2, v1
	v_lshl_or_b32 v14, v14, 4, v16
	v_mov_b32_e32 v16, 1
	ds_add_u32 v14, v16
	v_mov_b32_e32 v14, 0
.LBB353_196:
	s_or_b64 exec, exec, s[0:1]
	v_cmp_gt_i32_e64 s[0:1], 10, v14
	s_mov_b64 s[14:15], -1
	s_and_saveexec_b64 s[6:7], s[0:1]
; %bb.197:
	v_cmp_eq_u32_e64 s[0:1], 0, v14
	s_orn2_b64 s[14:15], s[0:1], exec
; %bb.198:
	s_or_b64 exec, exec, s[6:7]
	s_and_saveexec_b64 s[6:7], s[14:15]
	s_cbranch_execz .LBB353_211
; %bb.199:
	s_add_i32 s14, s2, 8
	s_cmp_le_u32 s3, s14
	s_cselect_b64 s[0:1], -1, 0
	s_and_b64 s[16:17], s[0:1], exec
	s_cselect_b32 s15, 8, 10
	s_or_b64 s[0:1], s[0:1], vcc
	s_xor_b64 s[16:17], s[0:1], -1
	v_mov_b32_e32 v14, s15
	s_and_saveexec_b64 s[0:1], s[16:17]
	s_cbranch_execz .LBB353_201
; %bb.200:
	s_sub_i32 s15, s3, s14
	s_min_u32 s15, s15, 8
	v_lshrrev_b32_e32 v14, s14, v15
	v_bfe_u32 v14, v14, 0, s15
	v_lshlrev_b32_e32 v16, 2, v1
	v_lshl_or_b32 v14, v14, 4, v16
	v_mov_b32_e32 v16, 1
	ds_add_u32 v14, v16 offset:4096
	v_mov_b32_e32 v14, 0
.LBB353_201:
	s_or_b64 exec, exec, s[0:1]
	v_cmp_gt_i32_e64 s[0:1], 10, v14
	s_mov_b64 s[14:15], -1
	s_and_saveexec_b64 s[16:17], s[0:1]
; %bb.202:
	v_cmp_eq_u32_e64 s[0:1], 0, v14
	s_orn2_b64 s[14:15], s[0:1], exec
; %bb.203:
	s_or_b64 exec, exec, s[16:17]
	s_and_b64 exec, exec, s[14:15]
	s_cbranch_execz .LBB353_211
; %bb.204:
	s_add_i32 s14, s2, 16
	s_cmp_le_u32 s3, s14
	s_cselect_b64 s[0:1], -1, 0
	s_and_b64 s[16:17], s[0:1], exec
	s_cselect_b32 s15, 8, 10
	s_or_b64 s[0:1], s[0:1], vcc
	s_xor_b64 s[16:17], s[0:1], -1
	v_mov_b32_e32 v14, s15
	s_and_saveexec_b64 s[0:1], s[16:17]
	s_cbranch_execz .LBB353_206
; %bb.205:
	s_sub_i32 s15, s3, s14
	s_min_u32 s15, s15, 8
	v_lshrrev_b32_e32 v14, s14, v15
	v_bfe_u32 v14, v14, 0, s15
	v_lshlrev_b32_e32 v16, 2, v1
	v_lshl_or_b32 v14, v14, 4, v16
	v_mov_b32_e32 v16, 1
	ds_add_u32 v14, v16 offset:8192
	v_mov_b32_e32 v14, 0
.LBB353_206:
	s_or_b64 exec, exec, s[0:1]
	v_cmp_gt_i32_e64 s[0:1], 10, v14
	s_mov_b64 s[14:15], -1
	s_and_saveexec_b64 s[16:17], s[0:1]
; %bb.207:
	v_cmp_eq_u32_e64 s[0:1], 0, v14
	s_orn2_b64 s[14:15], s[0:1], exec
; %bb.208:
	s_or_b64 exec, exec, s[16:17]
	s_and_b64 exec, exec, s[14:15]
	s_cbranch_execz .LBB353_211
; %bb.209:
	s_add_i32 s0, s2, 24
	s_cmp_gt_u32 s3, s0
	s_cselect_b64 s[14:15], -1, 0
	s_xor_b64 s[16:17], vcc, -1
	s_and_b64 s[14:15], s[14:15], s[16:17]
	s_and_b64 exec, exec, s[14:15]
	s_cbranch_execz .LBB353_211
; %bb.210:
	s_sub_i32 s1, s3, s0
	s_min_u32 s1, s1, 8
	v_lshrrev_b32_e32 v14, s0, v15
	v_bfe_u32 v14, v14, 0, s1
	v_lshlrev_b32_e32 v15, 2, v1
	v_lshl_or_b32 v14, v14, 4, v15
	v_mov_b32_e32 v15, 1
	ds_add_u32 v14, v15 offset:12288
.LBB353_211:
	s_or_b64 exec, exec, s[6:7]
	v_cmp_le_u32_e32 vcc, s13, v12
	s_or_b64 s[0:1], s[4:5], vcc
	v_xor_b32_e32 v13, 0x80000000, v13
	s_xor_b64 s[6:7], s[0:1], -1
	v_mov_b32_e32 v12, s18
	s_and_saveexec_b64 s[0:1], s[6:7]
	s_cbranch_execz .LBB353_213
; %bb.212:
	s_sub_i32 s6, s3, s2
	s_min_u32 s6, s6, 8
	v_lshrrev_b32_e32 v12, s2, v13
	v_bfe_u32 v12, v12, 0, s6
	v_lshlrev_b32_e32 v14, 2, v1
	v_lshl_or_b32 v12, v12, 4, v14
	v_mov_b32_e32 v14, 1
	ds_add_u32 v12, v14
	v_mov_b32_e32 v12, 0
.LBB353_213:
	s_or_b64 exec, exec, s[0:1]
	v_cmp_gt_i32_e64 s[0:1], 10, v12
	s_mov_b64 s[14:15], -1
	s_and_saveexec_b64 s[6:7], s[0:1]
; %bb.214:
	v_cmp_eq_u32_e64 s[0:1], 0, v12
	s_orn2_b64 s[14:15], s[0:1], exec
; %bb.215:
	s_or_b64 exec, exec, s[6:7]
	s_and_saveexec_b64 s[6:7], s[14:15]
	s_cbranch_execz .LBB353_228
; %bb.216:
	s_add_i32 s14, s2, 8
	s_cmp_le_u32 s3, s14
	s_cselect_b64 s[0:1], -1, 0
	s_and_b64 s[16:17], s[0:1], exec
	s_cselect_b32 s15, 8, 10
	s_or_b64 s[0:1], s[0:1], vcc
	s_xor_b64 s[16:17], s[0:1], -1
	v_mov_b32_e32 v12, s15
	s_and_saveexec_b64 s[0:1], s[16:17]
	s_cbranch_execz .LBB353_218
; %bb.217:
	s_sub_i32 s15, s3, s14
	s_min_u32 s15, s15, 8
	v_lshrrev_b32_e32 v12, s14, v13
	v_bfe_u32 v12, v12, 0, s15
	v_lshlrev_b32_e32 v14, 2, v1
	v_lshl_or_b32 v12, v12, 4, v14
	v_mov_b32_e32 v14, 1
	ds_add_u32 v12, v14 offset:4096
	v_mov_b32_e32 v12, 0
.LBB353_218:
	s_or_b64 exec, exec, s[0:1]
	v_cmp_gt_i32_e64 s[0:1], 10, v12
	s_mov_b64 s[14:15], -1
	s_and_saveexec_b64 s[16:17], s[0:1]
; %bb.219:
	v_cmp_eq_u32_e64 s[0:1], 0, v12
	s_orn2_b64 s[14:15], s[0:1], exec
; %bb.220:
	s_or_b64 exec, exec, s[16:17]
	s_and_b64 exec, exec, s[14:15]
	s_cbranch_execz .LBB353_228
; %bb.221:
	s_add_i32 s14, s2, 16
	s_cmp_le_u32 s3, s14
	s_cselect_b64 s[0:1], -1, 0
	s_and_b64 s[16:17], s[0:1], exec
	s_cselect_b32 s15, 8, 10
	s_or_b64 s[0:1], s[0:1], vcc
	s_xor_b64 s[16:17], s[0:1], -1
	v_mov_b32_e32 v12, s15
	s_and_saveexec_b64 s[0:1], s[16:17]
	s_cbranch_execz .LBB353_223
; %bb.222:
	s_sub_i32 s15, s3, s14
	s_min_u32 s15, s15, 8
	v_lshrrev_b32_e32 v12, s14, v13
	v_bfe_u32 v12, v12, 0, s15
	v_lshlrev_b32_e32 v14, 2, v1
	v_lshl_or_b32 v12, v12, 4, v14
	v_mov_b32_e32 v14, 1
	ds_add_u32 v12, v14 offset:8192
	v_mov_b32_e32 v12, 0
.LBB353_223:
	s_or_b64 exec, exec, s[0:1]
	v_cmp_gt_i32_e64 s[0:1], 10, v12
	s_mov_b64 s[14:15], -1
	s_and_saveexec_b64 s[16:17], s[0:1]
; %bb.224:
	v_cmp_eq_u32_e64 s[0:1], 0, v12
	s_orn2_b64 s[14:15], s[0:1], exec
; %bb.225:
	s_or_b64 exec, exec, s[16:17]
	s_and_b64 exec, exec, s[14:15]
	s_cbranch_execz .LBB353_228
; %bb.226:
	s_add_i32 s0, s2, 24
	s_cmp_gt_u32 s3, s0
	s_cselect_b64 s[14:15], -1, 0
	s_xor_b64 s[16:17], vcc, -1
	s_and_b64 s[14:15], s[14:15], s[16:17]
	s_and_b64 exec, exec, s[14:15]
	s_cbranch_execz .LBB353_228
; %bb.227:
	s_sub_i32 s1, s3, s0
	s_min_u32 s1, s1, 8
	v_lshrrev_b32_e32 v12, s0, v13
	v_bfe_u32 v12, v12, 0, s1
	v_lshlrev_b32_e32 v13, 2, v1
	v_lshl_or_b32 v12, v12, 4, v13
	v_mov_b32_e32 v13, 1
	ds_add_u32 v12, v13 offset:12288
.LBB353_228:
	s_or_b64 exec, exec, s[6:7]
	v_cmp_le_u32_e32 vcc, s13, v10
	s_or_b64 s[0:1], s[4:5], vcc
	v_xor_b32_e32 v11, 0x80000000, v11
	s_xor_b64 s[6:7], s[0:1], -1
	v_mov_b32_e32 v10, s18
	s_and_saveexec_b64 s[0:1], s[6:7]
	s_cbranch_execz .LBB353_230
; %bb.229:
	s_sub_i32 s6, s3, s2
	s_min_u32 s6, s6, 8
	v_lshrrev_b32_e32 v10, s2, v11
	v_bfe_u32 v10, v10, 0, s6
	v_lshlrev_b32_e32 v12, 2, v1
	v_lshl_or_b32 v10, v10, 4, v12
	v_mov_b32_e32 v12, 1
	ds_add_u32 v10, v12
	v_mov_b32_e32 v10, 0
.LBB353_230:
	s_or_b64 exec, exec, s[0:1]
	v_cmp_gt_i32_e64 s[0:1], 10, v10
	s_mov_b64 s[14:15], -1
	s_and_saveexec_b64 s[6:7], s[0:1]
; %bb.231:
	v_cmp_eq_u32_e64 s[0:1], 0, v10
	s_orn2_b64 s[14:15], s[0:1], exec
; %bb.232:
	s_or_b64 exec, exec, s[6:7]
	s_and_saveexec_b64 s[6:7], s[14:15]
	s_cbranch_execz .LBB353_245
; %bb.233:
	s_add_i32 s14, s2, 8
	s_cmp_le_u32 s3, s14
	s_cselect_b64 s[0:1], -1, 0
	s_and_b64 s[16:17], s[0:1], exec
	s_cselect_b32 s15, 8, 10
	s_or_b64 s[0:1], s[0:1], vcc
	s_xor_b64 s[16:17], s[0:1], -1
	v_mov_b32_e32 v10, s15
	s_and_saveexec_b64 s[0:1], s[16:17]
	s_cbranch_execz .LBB353_235
; %bb.234:
	s_sub_i32 s15, s3, s14
	s_min_u32 s15, s15, 8
	v_lshrrev_b32_e32 v10, s14, v11
	v_bfe_u32 v10, v10, 0, s15
	v_lshlrev_b32_e32 v12, 2, v1
	v_lshl_or_b32 v10, v10, 4, v12
	v_mov_b32_e32 v12, 1
	ds_add_u32 v10, v12 offset:4096
	v_mov_b32_e32 v10, 0
.LBB353_235:
	s_or_b64 exec, exec, s[0:1]
	v_cmp_gt_i32_e64 s[0:1], 10, v10
	s_mov_b64 s[14:15], -1
	s_and_saveexec_b64 s[16:17], s[0:1]
; %bb.236:
	v_cmp_eq_u32_e64 s[0:1], 0, v10
	s_orn2_b64 s[14:15], s[0:1], exec
; %bb.237:
	s_or_b64 exec, exec, s[16:17]
	s_and_b64 exec, exec, s[14:15]
	s_cbranch_execz .LBB353_245
; %bb.238:
	s_add_i32 s14, s2, 16
	s_cmp_le_u32 s3, s14
	s_cselect_b64 s[0:1], -1, 0
	s_and_b64 s[16:17], s[0:1], exec
	s_cselect_b32 s15, 8, 10
	s_or_b64 s[0:1], s[0:1], vcc
	s_xor_b64 s[16:17], s[0:1], -1
	v_mov_b32_e32 v10, s15
	s_and_saveexec_b64 s[0:1], s[16:17]
	s_cbranch_execz .LBB353_240
; %bb.239:
	s_sub_i32 s15, s3, s14
	s_min_u32 s15, s15, 8
	v_lshrrev_b32_e32 v10, s14, v11
	v_bfe_u32 v10, v10, 0, s15
	v_lshlrev_b32_e32 v12, 2, v1
	v_lshl_or_b32 v10, v10, 4, v12
	v_mov_b32_e32 v12, 1
	ds_add_u32 v10, v12 offset:8192
	v_mov_b32_e32 v10, 0
.LBB353_240:
	s_or_b64 exec, exec, s[0:1]
	v_cmp_gt_i32_e64 s[0:1], 10, v10
	s_mov_b64 s[14:15], -1
	s_and_saveexec_b64 s[16:17], s[0:1]
; %bb.241:
	v_cmp_eq_u32_e64 s[0:1], 0, v10
	s_orn2_b64 s[14:15], s[0:1], exec
; %bb.242:
	s_or_b64 exec, exec, s[16:17]
	s_and_b64 exec, exec, s[14:15]
	s_cbranch_execz .LBB353_245
; %bb.243:
	s_add_i32 s0, s2, 24
	s_cmp_gt_u32 s3, s0
	s_cselect_b64 s[14:15], -1, 0
	s_xor_b64 s[16:17], vcc, -1
	s_and_b64 s[14:15], s[14:15], s[16:17]
	s_and_b64 exec, exec, s[14:15]
	s_cbranch_execz .LBB353_245
; %bb.244:
	s_sub_i32 s1, s3, s0
	s_min_u32 s1, s1, 8
	v_lshrrev_b32_e32 v10, s0, v11
	v_bfe_u32 v10, v10, 0, s1
	v_lshlrev_b32_e32 v11, 2, v1
	v_lshl_or_b32 v10, v10, 4, v11
	v_mov_b32_e32 v11, 1
	ds_add_u32 v10, v11 offset:12288
.LBB353_245:
	s_or_b64 exec, exec, s[6:7]
	v_cmp_le_u32_e32 vcc, s13, v8
	s_or_b64 s[0:1], s[4:5], vcc
	v_xor_b32_e32 v9, 0x80000000, v9
	s_xor_b64 s[6:7], s[0:1], -1
	v_mov_b32_e32 v8, s18
	s_and_saveexec_b64 s[0:1], s[6:7]
	s_cbranch_execz .LBB353_247
; %bb.246:
	s_sub_i32 s6, s3, s2
	s_min_u32 s6, s6, 8
	v_lshrrev_b32_e32 v8, s2, v9
	v_bfe_u32 v8, v8, 0, s6
	v_lshlrev_b32_e32 v10, 2, v1
	v_lshl_or_b32 v8, v8, 4, v10
	v_mov_b32_e32 v10, 1
	ds_add_u32 v8, v10
	v_mov_b32_e32 v8, 0
.LBB353_247:
	s_or_b64 exec, exec, s[0:1]
	v_cmp_gt_i32_e64 s[0:1], 10, v8
	s_mov_b64 s[14:15], -1
	s_and_saveexec_b64 s[6:7], s[0:1]
; %bb.248:
	v_cmp_eq_u32_e64 s[0:1], 0, v8
	s_orn2_b64 s[14:15], s[0:1], exec
; %bb.249:
	s_or_b64 exec, exec, s[6:7]
	s_and_saveexec_b64 s[6:7], s[14:15]
	s_cbranch_execz .LBB353_262
; %bb.250:
	s_add_i32 s14, s2, 8
	s_cmp_le_u32 s3, s14
	s_cselect_b64 s[0:1], -1, 0
	s_and_b64 s[16:17], s[0:1], exec
	s_cselect_b32 s15, 8, 10
	s_or_b64 s[0:1], s[0:1], vcc
	s_xor_b64 s[16:17], s[0:1], -1
	v_mov_b32_e32 v8, s15
	s_and_saveexec_b64 s[0:1], s[16:17]
	s_cbranch_execz .LBB353_252
; %bb.251:
	s_sub_i32 s15, s3, s14
	s_min_u32 s15, s15, 8
	v_lshrrev_b32_e32 v8, s14, v9
	v_bfe_u32 v8, v8, 0, s15
	v_lshlrev_b32_e32 v10, 2, v1
	v_lshl_or_b32 v8, v8, 4, v10
	v_mov_b32_e32 v10, 1
	ds_add_u32 v8, v10 offset:4096
	v_mov_b32_e32 v8, 0
.LBB353_252:
	s_or_b64 exec, exec, s[0:1]
	v_cmp_gt_i32_e64 s[0:1], 10, v8
	s_mov_b64 s[14:15], -1
	s_and_saveexec_b64 s[16:17], s[0:1]
; %bb.253:
	v_cmp_eq_u32_e64 s[0:1], 0, v8
	s_orn2_b64 s[14:15], s[0:1], exec
; %bb.254:
	s_or_b64 exec, exec, s[16:17]
	s_and_b64 exec, exec, s[14:15]
	s_cbranch_execz .LBB353_262
; %bb.255:
	s_add_i32 s14, s2, 16
	s_cmp_le_u32 s3, s14
	s_cselect_b64 s[0:1], -1, 0
	s_and_b64 s[16:17], s[0:1], exec
	s_cselect_b32 s15, 8, 10
	s_or_b64 s[0:1], s[0:1], vcc
	s_xor_b64 s[16:17], s[0:1], -1
	v_mov_b32_e32 v8, s15
	s_and_saveexec_b64 s[0:1], s[16:17]
	s_cbranch_execz .LBB353_257
; %bb.256:
	s_sub_i32 s15, s3, s14
	s_min_u32 s15, s15, 8
	v_lshrrev_b32_e32 v8, s14, v9
	v_bfe_u32 v8, v8, 0, s15
	v_lshlrev_b32_e32 v10, 2, v1
	v_lshl_or_b32 v8, v8, 4, v10
	v_mov_b32_e32 v10, 1
	ds_add_u32 v8, v10 offset:8192
	v_mov_b32_e32 v8, 0
.LBB353_257:
	s_or_b64 exec, exec, s[0:1]
	v_cmp_gt_i32_e64 s[0:1], 10, v8
	s_mov_b64 s[14:15], -1
	s_and_saveexec_b64 s[16:17], s[0:1]
; %bb.258:
	v_cmp_eq_u32_e64 s[0:1], 0, v8
	s_orn2_b64 s[14:15], s[0:1], exec
; %bb.259:
	s_or_b64 exec, exec, s[16:17]
	s_and_b64 exec, exec, s[14:15]
	s_cbranch_execz .LBB353_262
; %bb.260:
	s_add_i32 s0, s2, 24
	s_cmp_gt_u32 s3, s0
	s_cselect_b64 s[14:15], -1, 0
	s_xor_b64 s[16:17], vcc, -1
	s_and_b64 s[14:15], s[14:15], s[16:17]
	s_and_b64 exec, exec, s[14:15]
	s_cbranch_execz .LBB353_262
; %bb.261:
	s_sub_i32 s1, s3, s0
	s_min_u32 s1, s1, 8
	v_lshrrev_b32_e32 v8, s0, v9
	v_bfe_u32 v8, v8, 0, s1
	v_lshlrev_b32_e32 v9, 2, v1
	v_lshl_or_b32 v8, v8, 4, v9
	v_mov_b32_e32 v9, 1
	ds_add_u32 v8, v9 offset:12288
.LBB353_262:
	s_or_b64 exec, exec, s[6:7]
	v_cmp_le_u32_e32 vcc, s13, v6
	s_or_b64 s[0:1], s[4:5], vcc
	v_xor_b32_e32 v7, 0x80000000, v7
	s_xor_b64 s[6:7], s[0:1], -1
	v_mov_b32_e32 v6, s18
	s_and_saveexec_b64 s[0:1], s[6:7]
	s_cbranch_execz .LBB353_264
; %bb.263:
	s_sub_i32 s6, s3, s2
	s_min_u32 s6, s6, 8
	v_lshrrev_b32_e32 v6, s2, v7
	v_bfe_u32 v6, v6, 0, s6
	v_lshlrev_b32_e32 v8, 2, v1
	v_lshl_or_b32 v6, v6, 4, v8
	v_mov_b32_e32 v8, 1
	ds_add_u32 v6, v8
	v_mov_b32_e32 v6, 0
.LBB353_264:
	s_or_b64 exec, exec, s[0:1]
	v_cmp_gt_i32_e64 s[0:1], 10, v6
	s_mov_b64 s[14:15], -1
	s_and_saveexec_b64 s[6:7], s[0:1]
; %bb.265:
	v_cmp_eq_u32_e64 s[0:1], 0, v6
	s_orn2_b64 s[14:15], s[0:1], exec
; %bb.266:
	s_or_b64 exec, exec, s[6:7]
	s_and_saveexec_b64 s[6:7], s[14:15]
	s_cbranch_execz .LBB353_279
; %bb.267:
	s_add_i32 s14, s2, 8
	s_cmp_le_u32 s3, s14
	s_cselect_b64 s[0:1], -1, 0
	s_and_b64 s[16:17], s[0:1], exec
	s_cselect_b32 s15, 8, 10
	s_or_b64 s[0:1], s[0:1], vcc
	s_xor_b64 s[16:17], s[0:1], -1
	v_mov_b32_e32 v6, s15
	s_and_saveexec_b64 s[0:1], s[16:17]
	s_cbranch_execz .LBB353_269
; %bb.268:
	s_sub_i32 s15, s3, s14
	s_min_u32 s15, s15, 8
	v_lshrrev_b32_e32 v6, s14, v7
	v_bfe_u32 v6, v6, 0, s15
	v_lshlrev_b32_e32 v8, 2, v1
	v_lshl_or_b32 v6, v6, 4, v8
	v_mov_b32_e32 v8, 1
	ds_add_u32 v6, v8 offset:4096
	v_mov_b32_e32 v6, 0
.LBB353_269:
	s_or_b64 exec, exec, s[0:1]
	v_cmp_gt_i32_e64 s[0:1], 10, v6
	s_mov_b64 s[14:15], -1
	s_and_saveexec_b64 s[16:17], s[0:1]
; %bb.270:
	v_cmp_eq_u32_e64 s[0:1], 0, v6
	s_orn2_b64 s[14:15], s[0:1], exec
; %bb.271:
	s_or_b64 exec, exec, s[16:17]
	s_and_b64 exec, exec, s[14:15]
	s_cbranch_execz .LBB353_279
; %bb.272:
	s_add_i32 s14, s2, 16
	s_cmp_le_u32 s3, s14
	s_cselect_b64 s[0:1], -1, 0
	s_and_b64 s[16:17], s[0:1], exec
	s_cselect_b32 s15, 8, 10
	s_or_b64 s[0:1], s[0:1], vcc
	s_xor_b64 s[16:17], s[0:1], -1
	v_mov_b32_e32 v6, s15
	s_and_saveexec_b64 s[0:1], s[16:17]
	s_cbranch_execz .LBB353_274
; %bb.273:
	s_sub_i32 s15, s3, s14
	s_min_u32 s15, s15, 8
	v_lshrrev_b32_e32 v6, s14, v7
	v_bfe_u32 v6, v6, 0, s15
	v_lshlrev_b32_e32 v8, 2, v1
	v_lshl_or_b32 v6, v6, 4, v8
	v_mov_b32_e32 v8, 1
	ds_add_u32 v6, v8 offset:8192
	v_mov_b32_e32 v6, 0
.LBB353_274:
	s_or_b64 exec, exec, s[0:1]
	v_cmp_gt_i32_e64 s[0:1], 10, v6
	s_mov_b64 s[14:15], -1
	s_and_saveexec_b64 s[16:17], s[0:1]
; %bb.275:
	v_cmp_eq_u32_e64 s[0:1], 0, v6
	s_orn2_b64 s[14:15], s[0:1], exec
; %bb.276:
	s_or_b64 exec, exec, s[16:17]
	s_and_b64 exec, exec, s[14:15]
	s_cbranch_execz .LBB353_279
; %bb.277:
	s_add_i32 s0, s2, 24
	s_cmp_gt_u32 s3, s0
	s_cselect_b64 s[14:15], -1, 0
	s_xor_b64 s[16:17], vcc, -1
	s_and_b64 s[14:15], s[14:15], s[16:17]
	s_and_b64 exec, exec, s[14:15]
	s_cbranch_execz .LBB353_279
; %bb.278:
	s_sub_i32 s1, s3, s0
	s_min_u32 s1, s1, 8
	v_lshrrev_b32_e32 v6, s0, v7
	v_bfe_u32 v6, v6, 0, s1
	v_lshlrev_b32_e32 v7, 2, v1
	v_lshl_or_b32 v6, v6, 4, v7
	v_mov_b32_e32 v7, 1
	ds_add_u32 v6, v7 offset:12288
.LBB353_279:
	s_or_b64 exec, exec, s[6:7]
	v_cmp_le_u32_e32 vcc, s13, v4
	s_or_b64 s[0:1], s[4:5], vcc
	v_xor_b32_e32 v5, 0x80000000, v5
	s_xor_b64 s[6:7], s[0:1], -1
	v_mov_b32_e32 v4, s18
	s_and_saveexec_b64 s[0:1], s[6:7]
	s_cbranch_execz .LBB353_281
; %bb.280:
	s_sub_i32 s6, s3, s2
	s_min_u32 s6, s6, 8
	v_lshrrev_b32_e32 v4, s2, v5
	v_bfe_u32 v4, v4, 0, s6
	v_lshlrev_b32_e32 v6, 2, v1
	v_lshl_or_b32 v4, v4, 4, v6
	v_mov_b32_e32 v6, 1
	ds_add_u32 v4, v6
	v_mov_b32_e32 v4, 0
.LBB353_281:
	s_or_b64 exec, exec, s[0:1]
	v_cmp_gt_i32_e64 s[0:1], 10, v4
	s_mov_b64 s[14:15], -1
	s_and_saveexec_b64 s[6:7], s[0:1]
; %bb.282:
	v_cmp_eq_u32_e64 s[0:1], 0, v4
	s_orn2_b64 s[14:15], s[0:1], exec
; %bb.283:
	s_or_b64 exec, exec, s[6:7]
	s_and_saveexec_b64 s[6:7], s[14:15]
	s_cbranch_execz .LBB353_296
; %bb.284:
	s_add_i32 s14, s2, 8
	s_cmp_le_u32 s3, s14
	s_cselect_b64 s[0:1], -1, 0
	s_and_b64 s[16:17], s[0:1], exec
	s_cselect_b32 s15, 8, 10
	s_or_b64 s[0:1], s[0:1], vcc
	s_xor_b64 s[16:17], s[0:1], -1
	v_mov_b32_e32 v4, s15
	s_and_saveexec_b64 s[0:1], s[16:17]
	s_cbranch_execz .LBB353_286
; %bb.285:
	s_sub_i32 s15, s3, s14
	s_min_u32 s15, s15, 8
	v_lshrrev_b32_e32 v4, s14, v5
	v_bfe_u32 v4, v4, 0, s15
	v_lshlrev_b32_e32 v6, 2, v1
	v_lshl_or_b32 v4, v4, 4, v6
	v_mov_b32_e32 v6, 1
	ds_add_u32 v4, v6 offset:4096
	v_mov_b32_e32 v4, 0
.LBB353_286:
	s_or_b64 exec, exec, s[0:1]
	v_cmp_gt_i32_e64 s[0:1], 10, v4
	s_mov_b64 s[14:15], -1
	s_and_saveexec_b64 s[16:17], s[0:1]
; %bb.287:
	v_cmp_eq_u32_e64 s[0:1], 0, v4
	s_orn2_b64 s[14:15], s[0:1], exec
; %bb.288:
	s_or_b64 exec, exec, s[16:17]
	s_and_b64 exec, exec, s[14:15]
	s_cbranch_execz .LBB353_296
; %bb.289:
	s_add_i32 s14, s2, 16
	s_cmp_le_u32 s3, s14
	s_cselect_b64 s[0:1], -1, 0
	s_and_b64 s[16:17], s[0:1], exec
	s_cselect_b32 s15, 8, 10
	s_or_b64 s[0:1], s[0:1], vcc
	s_xor_b64 s[16:17], s[0:1], -1
	v_mov_b32_e32 v4, s15
	s_and_saveexec_b64 s[0:1], s[16:17]
	s_cbranch_execz .LBB353_291
; %bb.290:
	s_sub_i32 s15, s3, s14
	s_min_u32 s15, s15, 8
	v_lshrrev_b32_e32 v4, s14, v5
	v_bfe_u32 v4, v4, 0, s15
	v_lshlrev_b32_e32 v6, 2, v1
	v_lshl_or_b32 v4, v4, 4, v6
	v_mov_b32_e32 v6, 1
	ds_add_u32 v4, v6 offset:8192
	v_mov_b32_e32 v4, 0
.LBB353_291:
	s_or_b64 exec, exec, s[0:1]
	v_cmp_gt_i32_e64 s[0:1], 10, v4
	s_mov_b64 s[14:15], -1
	s_and_saveexec_b64 s[16:17], s[0:1]
; %bb.292:
	v_cmp_eq_u32_e64 s[0:1], 0, v4
	s_orn2_b64 s[14:15], s[0:1], exec
; %bb.293:
	s_or_b64 exec, exec, s[16:17]
	s_and_b64 exec, exec, s[14:15]
	s_cbranch_execz .LBB353_296
; %bb.294:
	s_add_i32 s0, s2, 24
	s_cmp_gt_u32 s3, s0
	s_cselect_b64 s[14:15], -1, 0
	s_xor_b64 s[16:17], vcc, -1
	s_and_b64 s[14:15], s[14:15], s[16:17]
	s_and_b64 exec, exec, s[14:15]
	s_cbranch_execz .LBB353_296
; %bb.295:
	s_sub_i32 s1, s3, s0
	s_min_u32 s1, s1, 8
	v_lshrrev_b32_e32 v4, s0, v5
	v_bfe_u32 v4, v4, 0, s1
	v_lshlrev_b32_e32 v5, 2, v1
	v_lshl_or_b32 v4, v4, 4, v5
	v_mov_b32_e32 v5, 1
	ds_add_u32 v4, v5 offset:12288
.LBB353_296:
	s_or_b64 exec, exec, s[6:7]
	v_cmp_le_u32_e32 vcc, s13, v2
	s_or_b64 s[0:1], s[4:5], vcc
	v_xor_b32_e32 v3, 0x80000000, v3
	s_xor_b64 s[4:5], s[0:1], -1
	v_mov_b32_e32 v2, s18
	s_and_saveexec_b64 s[0:1], s[4:5]
	s_cbranch_execz .LBB353_298
; %bb.297:
	s_sub_i32 s4, s3, s2
	s_min_u32 s4, s4, 8
	v_lshrrev_b32_e32 v2, s2, v3
	v_bfe_u32 v2, v2, 0, s4
	v_lshlrev_b32_e32 v4, 2, v1
	v_lshl_or_b32 v2, v2, 4, v4
	v_mov_b32_e32 v4, 1
	ds_add_u32 v2, v4
	v_mov_b32_e32 v2, 0
.LBB353_298:
	s_or_b64 exec, exec, s[0:1]
	v_cmp_gt_i32_e64 s[0:1], 10, v2
	s_mov_b64 s[6:7], -1
	s_and_saveexec_b64 s[4:5], s[0:1]
; %bb.299:
	v_cmp_eq_u32_e64 s[0:1], 0, v2
	s_orn2_b64 s[6:7], s[0:1], exec
; %bb.300:
	s_or_b64 exec, exec, s[4:5]
	s_and_saveexec_b64 s[4:5], s[6:7]
	s_cbranch_execz .LBB353_313
; %bb.301:
	s_add_i32 s6, s2, 8
	s_cmp_le_u32 s3, s6
	s_cselect_b64 s[0:1], -1, 0
	s_and_b64 s[14:15], s[0:1], exec
	s_cselect_b32 s7, 8, 10
	s_or_b64 s[0:1], s[0:1], vcc
	s_xor_b64 s[14:15], s[0:1], -1
	v_mov_b32_e32 v2, s7
	s_and_saveexec_b64 s[0:1], s[14:15]
	s_cbranch_execz .LBB353_303
; %bb.302:
	s_sub_i32 s7, s3, s6
	s_min_u32 s7, s7, 8
	v_lshrrev_b32_e32 v2, s6, v3
	v_bfe_u32 v2, v2, 0, s7
	v_lshlrev_b32_e32 v4, 2, v1
	v_lshl_or_b32 v2, v2, 4, v4
	v_mov_b32_e32 v4, 1
	ds_add_u32 v2, v4 offset:4096
	v_mov_b32_e32 v2, 0
.LBB353_303:
	s_or_b64 exec, exec, s[0:1]
	v_cmp_gt_i32_e64 s[0:1], 10, v2
	s_mov_b64 s[6:7], -1
	s_and_saveexec_b64 s[14:15], s[0:1]
; %bb.304:
	v_cmp_eq_u32_e64 s[0:1], 0, v2
	s_orn2_b64 s[6:7], s[0:1], exec
; %bb.305:
	s_or_b64 exec, exec, s[14:15]
	s_and_b64 exec, exec, s[6:7]
	s_cbranch_execz .LBB353_313
; %bb.306:
	s_add_i32 s6, s2, 16
	s_cmp_le_u32 s3, s6
	s_cselect_b64 s[0:1], -1, 0
	s_and_b64 s[14:15], s[0:1], exec
	s_cselect_b32 s7, 8, 10
	s_or_b64 s[0:1], s[0:1], vcc
	s_xor_b64 s[14:15], s[0:1], -1
	v_mov_b32_e32 v2, s7
	s_and_saveexec_b64 s[0:1], s[14:15]
	s_cbranch_execz .LBB353_308
; %bb.307:
	s_sub_i32 s7, s3, s6
	s_min_u32 s7, s7, 8
	v_lshrrev_b32_e32 v2, s6, v3
	v_bfe_u32 v2, v2, 0, s7
	v_lshlrev_b32_e32 v4, 2, v1
	v_lshl_or_b32 v2, v2, 4, v4
	v_mov_b32_e32 v4, 1
	ds_add_u32 v2, v4 offset:8192
	v_mov_b32_e32 v2, 0
.LBB353_308:
	s_or_b64 exec, exec, s[0:1]
	v_cmp_gt_i32_e64 s[0:1], 10, v2
	s_mov_b64 s[6:7], -1
	s_and_saveexec_b64 s[14:15], s[0:1]
; %bb.309:
	v_cmp_eq_u32_e64 s[0:1], 0, v2
	s_orn2_b64 s[6:7], s[0:1], exec
; %bb.310:
	s_or_b64 exec, exec, s[14:15]
	s_and_b64 exec, exec, s[6:7]
	s_cbranch_execz .LBB353_313
; %bb.311:
	s_add_i32 s0, s2, 24
	s_cmp_gt_u32 s3, s0
	s_cselect_b64 s[6:7], -1, 0
	s_xor_b64 s[14:15], vcc, -1
	s_and_b64 s[6:7], s[6:7], s[14:15]
	s_and_b64 exec, exec, s[6:7]
	s_cbranch_execz .LBB353_313
; %bb.312:
	s_sub_i32 s1, s3, s0
	s_min_u32 s1, s1, 8
	v_lshrrev_b32_e32 v2, s0, v3
	v_bfe_u32 v2, v2, 0, s1
	v_lshlrev_b32_e32 v1, 2, v1
	v_lshl_or_b32 v1, v2, 4, v1
	v_mov_b32_e32 v2, 1
	ds_add_u32 v1, v2 offset:12288
.LBB353_313:
	s_or_b64 exec, exec, s[4:5]
	s_cmp_lt_u32 s2, s3
	s_waitcnt lgkmcnt(0)
	s_barrier
	s_cbranch_scc0 .LBB353_318
; %bb.314:
	s_movk_i32 s0, 0x100
	v_cmp_gt_u32_e32 vcc, s0, v0
	v_lshlrev_b32_e32 v1, 4, v0
	v_mov_b32_e32 v3, 0
	v_mov_b32_e32 v2, v0
	s_mov_b32 s6, s2
	s_branch .LBB353_316
.LBB353_315:                            ;   in Loop: Header=BB353_316 Depth=1
	s_or_b64 exec, exec, s[4:5]
	s_add_i32 s6, s6, 8
	v_add_u32_e32 v2, 0x100, v2
	s_cmp_lt_u32 s6, s3
	v_add_u32_e32 v1, 0x1000, v1
	s_cbranch_scc0 .LBB353_318
.LBB353_316:                            ; =>This Inner Loop Header: Depth=1
	s_and_saveexec_b64 s[4:5], vcc
	s_cbranch_execz .LBB353_315
; %bb.317:                              ;   in Loop: Header=BB353_316 Depth=1
	ds_read2_b32 v[4:5], v1 offset1:1
	ds_read2_b32 v[6:7], v1 offset0:2 offset1:3
	v_lshlrev_b64 v[8:9], 2, v[2:3]
	v_mov_b32_e32 v10, s11
	s_waitcnt lgkmcnt(1)
	v_add_u32_e32 v4, v5, v4
	s_waitcnt lgkmcnt(0)
	v_add3_u32 v6, v4, v6, v7
	v_add_co_u32_e64 v4, s[0:1], s10, v8
	v_addc_co_u32_e64 v5, s[0:1], v10, v9, s[0:1]
	global_atomic_add v[4:5], v6, off
	s_branch .LBB353_315
.LBB353_318:
	s_mov_b64 s[0:1], 0
.LBB353_319:
	s_and_b64 vcc, exec, s[0:1]
	s_cbranch_vccz .LBB353_443
; %bb.320:
	s_cmp_eq_u32 s2, 0
	s_cselect_b64 s[0:1], -1, 0
	s_cmp_eq_u32 s3, 32
	s_mov_b32 s13, 0
	s_cselect_b64 s[4:5], -1, 0
	s_and_b64 s[0:1], s[0:1], s[4:5]
	s_lshl_b64 s[4:5], s[12:13], 2
	s_add_u32 s4, s8, s4
	s_addc_u32 s5, s9, s5
	v_lshlrev_b32_e32 v1, 2, v0
	v_mov_b32_e32 v2, s5
	v_add_co_u32_e32 v18, vcc, s4, v1
	v_addc_co_u32_e32 v26, vcc, 0, v2, vcc
	s_movk_i32 s6, 0x1000
	v_add_co_u32_e32 v2, vcc, s6, v18
	v_addc_co_u32_e32 v3, vcc, 0, v26, vcc
	s_movk_i32 s6, 0x2000
	;; [unrolled: 3-line block ×5, first 2 shown]
	v_add_co_u32_e32 v22, vcc, s6, v18
	v_addc_co_u32_e32 v23, vcc, 0, v26, vcc
	v_add_co_u32_e32 v24, vcc, 0x6000, v18
	global_load_dword v15, v[20:21], off
	global_load_dword v14, v[20:21], off offset:2048
	global_load_dword v12, v[6:7], off offset:-4096
	global_load_dword v11, v[6:7], off
	global_load_dword v9, v[6:7], off offset:2048
	v_addc_co_u32_e32 v25, vcc, 0, v26, vcc
	global_load_dword v19, v1, s[4:5]
	global_load_dword v17, v1, s[4:5] offset:2048
	global_load_dword v16, v[2:3], off offset:2048
	global_load_dword v13, v[4:5], off offset:2048
	global_load_dword v10, v[22:23], off
	global_load_dword v8, v[22:23], off offset:2048
	global_load_dword v7, v[24:25], off
	global_load_dword v6, v[24:25], off offset:2048
	v_add_co_u32_e32 v2, vcc, 0x7000, v18
	v_addc_co_u32_e32 v3, vcc, 0, v26, vcc
	global_load_dword v5, v[2:3], off
	global_load_dword v18, v[20:21], off offset:-4096
	global_load_dword v4, v[2:3], off offset:2048
	s_mov_b64 s[4:5], -1
	s_and_b64 vcc, exec, s[0:1]
	v_cmp_gt_u32_e64 s[0:1], 7, 4
	v_cmp_gt_u32_e64 s[6:7], 7, 3
	s_cbranch_vccnz .LBB353_432
; %bb.321:
	v_mov_b32_e32 v2, 0
	ds_write2st64_b32 v1, v2, v2 offset1:8
	ds_write2st64_b32 v1, v2, v2 offset0:16 offset1:24
	s_and_saveexec_b64 s[4:5], s[6:7]
	s_cbranch_execz .LBB353_323
; %bb.322:
	ds_write_b32 v1, v2 offset:8192
.LBB353_323:
	s_or_b64 exec, exec, s[4:5]
	s_and_saveexec_b64 s[4:5], s[0:1]
	s_cbranch_execz .LBB353_325
; %bb.324:
	v_mov_b32_e32 v2, 0
	ds_write_b32 v1, v2 offset:10240
.LBB353_325:
	s_or_b64 exec, exec, s[4:5]
	v_cmp_gt_u32_e64 s[0:1], 7, 6
	v_cmp_gt_u32_e64 s[6:7], 7, 5
	s_and_saveexec_b64 s[4:5], s[6:7]
	s_cbranch_execz .LBB353_327
; %bb.326:
	v_mov_b32_e32 v2, 0
	ds_write_b32 v1, v2 offset:12288
.LBB353_327:
	s_or_b64 exec, exec, s[4:5]
	s_and_saveexec_b64 s[4:5], s[0:1]
	s_cbranch_execz .LBB353_329
; %bb.328:
	v_mov_b32_e32 v2, 0
	ds_write_b32 v1, v2 offset:14336
.LBB353_329:
	s_or_b64 exec, exec, s[4:5]
	s_cmp_lt_u32 s2, s3
	s_cselect_b64 s[0:1], -1, 0
	s_and_b64 vcc, exec, s[0:1]
	s_waitcnt lgkmcnt(0)
	s_barrier
	s_cbranch_vccz .LBB353_426
; %bb.330:
	s_sub_i32 s4, s3, s2
	s_min_u32 s4, s4, 8
	s_waitcnt vmcnt(10)
	v_xor_b32_e32 v21, 0x80000000, v19
	s_lshl_b32 s4, -1, s4
	v_and_b32_e32 v2, 3, v0
	s_not_b32 s13, s4
	v_lshrrev_b32_e32 v3, s2, v21
	v_and_b32_e32 v22, s13, v3
	v_lshlrev_b32_e32 v3, 2, v2
	v_lshl_or_b32 v22, v22, 4, v3
	v_mov_b32_e32 v23, 1
	ds_add_u32 v22, v23
	s_add_i32 s12, s2, 8
	s_waitcnt vmcnt(9)
	v_xor_b32_e32 v20, 0x80000000, v17
	s_cmp_le_u32 s3, s12
	s_cselect_b64 s[4:5], -1, 0
	v_lshrrev_b32_e32 v22, s2, v20
	s_and_b64 vcc, exec, s[4:5]
	v_and_b32_e32 v22, s13, v22
	s_cbranch_vccz .LBB353_332
; %bb.331:
	v_lshl_or_b32 v23, v22, 2, v2
	s_mov_b64 s[6:7], -1
	s_cbranch_execz .LBB353_333
	s_branch .LBB353_340
.LBB353_332:
	s_mov_b64 s[6:7], 0
                                        ; implicit-def: $vgpr23
.LBB353_333:
	s_sub_i32 s8, s3, s12
	s_min_u32 s8, s8, 8
	s_lshl_b32 s8, -1, s8
	s_not_b32 s15, s8
	v_lshrrev_b32_e32 v23, s12, v21
	v_and_b32_e32 v23, s15, v23
	v_lshl_or_b32 v24, v23, 4, v3
	v_mov_b32_e32 v23, 1
	ds_add_u32 v24, v23 offset:4096
	s_add_i32 s14, s2, 16
	s_cmp_gt_u32 s3, s14
	s_cselect_b64 s[8:9], -1, 0
	s_cmp_le_u32 s3, s14
	s_cbranch_scc1 .LBB353_336
; %bb.334:
	s_sub_i32 s16, s3, s14
	s_min_u32 s16, s16, 8
	v_lshrrev_b32_e32 v24, s14, v21
	v_bfe_u32 v24, v24, 0, s16
	v_lshl_or_b32 v24, v24, 4, v3
	ds_add_u32 v24, v23 offset:8192
	s_add_i32 s16, s2, 24
	s_cmp_le_u32 s3, s16
	s_cbranch_scc1 .LBB353_336
; %bb.335:
	s_sub_i32 s17, s3, s16
	s_min_u32 s17, s17, 8
	v_lshrrev_b32_e32 v21, s16, v21
	v_bfe_u32 v21, v21, 0, s17
	v_lshl_or_b32 v21, v21, 4, v3
	v_mov_b32_e32 v24, 1
	ds_add_u32 v21, v24 offset:12288
.LBB353_336:
	v_lshl_or_b32 v21, v22, 4, v3
	ds_add_u32 v21, v23
	v_lshrrev_b32_e32 v21, s12, v20
	v_and_b32_e32 v21, s15, v21
	v_lshl_or_b32 v21, v21, 4, v3
	ds_add_u32 v21, v23 offset:4096
	s_andn2_b64 vcc, exec, s[8:9]
	s_cbranch_vccnz .LBB353_339
; %bb.337:
	s_sub_i32 s8, s3, s14
	s_min_u32 s8, s8, 8
	v_lshrrev_b32_e32 v21, s14, v20
	v_bfe_u32 v21, v21, 0, s8
	v_lshl_or_b32 v21, v21, 4, v3
	v_mov_b32_e32 v22, 1
	ds_add_u32 v21, v22 offset:8192
	s_add_i32 s8, s2, 24
	s_cmp_gt_u32 s3, s8
	s_cbranch_scc0 .LBB353_339
; %bb.338:
	s_sub_i32 s6, s3, s8
	s_min_u32 s6, s6, 8
	v_lshrrev_b32_e32 v20, s8, v20
	v_bfe_u32 v20, v20, 0, s6
	v_lshl_or_b32 v20, v20, 2, v2
	v_add_u32_e32 v23, 0xc00, v20
	s_mov_b64 s[6:7], -1
	s_branch .LBB353_340
.LBB353_339:
                                        ; implicit-def: $vgpr23
.LBB353_340:
	s_and_b64 vcc, exec, s[6:7]
	s_cbranch_vccz .LBB353_342
; %bb.341:
	v_lshlrev_b32_e32 v20, 2, v23
	v_mov_b32_e32 v21, 1
	ds_add_u32 v20, v21
.LBB353_342:
	s_waitcnt vmcnt(1)
	v_xor_b32_e32 v21, 0x80000000, v18
	v_lshrrev_b32_e32 v22, s2, v21
	v_and_b32_e32 v22, s13, v22
	v_lshl_or_b32 v22, v22, 4, v3
	v_mov_b32_e32 v23, 1
	ds_add_u32 v22, v23
	v_xor_b32_e32 v20, 0x80000000, v16
	v_lshrrev_b32_e32 v22, s2, v20
	s_and_b64 vcc, exec, s[4:5]
	v_and_b32_e32 v22, s13, v22
	s_cbranch_vccz .LBB353_344
; %bb.343:
	v_lshl_or_b32 v23, v22, 2, v2
	s_mov_b64 s[6:7], -1
	s_cbranch_execz .LBB353_345
	s_branch .LBB353_352
.LBB353_344:
	s_mov_b64 s[6:7], 0
                                        ; implicit-def: $vgpr23
.LBB353_345:
	s_sub_i32 s8, s3, s12
	s_min_u32 s8, s8, 8
	s_lshl_b32 s8, -1, s8
	s_not_b32 s15, s8
	v_lshrrev_b32_e32 v23, s12, v21
	v_and_b32_e32 v23, s15, v23
	v_lshl_or_b32 v24, v23, 4, v3
	v_mov_b32_e32 v23, 1
	ds_add_u32 v24, v23 offset:4096
	s_add_i32 s14, s2, 16
	s_cmp_gt_u32 s3, s14
	s_cselect_b64 s[8:9], -1, 0
	s_cmp_le_u32 s3, s14
	s_cbranch_scc1 .LBB353_348
; %bb.346:
	s_sub_i32 s16, s3, s14
	s_min_u32 s16, s16, 8
	v_lshrrev_b32_e32 v24, s14, v21
	v_bfe_u32 v24, v24, 0, s16
	v_lshl_or_b32 v24, v24, 4, v3
	ds_add_u32 v24, v23 offset:8192
	s_add_i32 s16, s2, 24
	s_cmp_le_u32 s3, s16
	s_cbranch_scc1 .LBB353_348
; %bb.347:
	s_sub_i32 s17, s3, s16
	s_min_u32 s17, s17, 8
	v_lshrrev_b32_e32 v21, s16, v21
	v_bfe_u32 v21, v21, 0, s17
	v_lshl_or_b32 v21, v21, 4, v3
	v_mov_b32_e32 v24, 1
	ds_add_u32 v21, v24 offset:12288
.LBB353_348:
	v_lshl_or_b32 v21, v22, 4, v3
	ds_add_u32 v21, v23
	v_lshrrev_b32_e32 v21, s12, v20
	v_and_b32_e32 v21, s15, v21
	v_lshl_or_b32 v21, v21, 4, v3
	ds_add_u32 v21, v23 offset:4096
	s_andn2_b64 vcc, exec, s[8:9]
	s_cbranch_vccnz .LBB353_351
; %bb.349:
	s_sub_i32 s8, s3, s14
	s_min_u32 s8, s8, 8
	v_lshrrev_b32_e32 v21, s14, v20
	v_bfe_u32 v21, v21, 0, s8
	v_lshl_or_b32 v21, v21, 4, v3
	v_mov_b32_e32 v22, 1
	ds_add_u32 v21, v22 offset:8192
	s_add_i32 s8, s2, 24
	s_cmp_gt_u32 s3, s8
	s_cbranch_scc0 .LBB353_351
; %bb.350:
	s_sub_i32 s6, s3, s8
	s_min_u32 s6, s6, 8
	v_lshrrev_b32_e32 v20, s8, v20
	v_bfe_u32 v20, v20, 0, s6
	v_lshl_or_b32 v20, v20, 2, v2
	v_add_u32_e32 v23, 0xc00, v20
	s_mov_b64 s[6:7], -1
	s_branch .LBB353_352
.LBB353_351:
                                        ; implicit-def: $vgpr23
.LBB353_352:
	s_and_b64 vcc, exec, s[6:7]
	s_cbranch_vccz .LBB353_354
; %bb.353:
	v_lshlrev_b32_e32 v20, 2, v23
	v_mov_b32_e32 v21, 1
	ds_add_u32 v20, v21
.LBB353_354:
	v_xor_b32_e32 v21, 0x80000000, v15
	v_lshrrev_b32_e32 v22, s2, v21
	v_and_b32_e32 v22, s13, v22
	v_lshl_or_b32 v22, v22, 4, v3
	v_mov_b32_e32 v23, 1
	ds_add_u32 v22, v23
	v_xor_b32_e32 v20, 0x80000000, v14
	v_lshrrev_b32_e32 v22, s2, v20
	s_and_b64 vcc, exec, s[4:5]
	v_and_b32_e32 v22, s13, v22
	s_cbranch_vccz .LBB353_356
; %bb.355:
	v_lshl_or_b32 v23, v22, 2, v2
	s_mov_b64 s[6:7], -1
	s_cbranch_execz .LBB353_357
	s_branch .LBB353_364
.LBB353_356:
	s_mov_b64 s[6:7], 0
                                        ; implicit-def: $vgpr23
.LBB353_357:
	s_sub_i32 s8, s3, s12
	s_min_u32 s8, s8, 8
	s_lshl_b32 s8, -1, s8
	s_not_b32 s15, s8
	v_lshrrev_b32_e32 v23, s12, v21
	v_and_b32_e32 v23, s15, v23
	v_lshl_or_b32 v24, v23, 4, v3
	v_mov_b32_e32 v23, 1
	ds_add_u32 v24, v23 offset:4096
	s_add_i32 s14, s2, 16
	s_cmp_gt_u32 s3, s14
	s_cselect_b64 s[8:9], -1, 0
	s_cmp_le_u32 s3, s14
	s_cbranch_scc1 .LBB353_360
; %bb.358:
	s_sub_i32 s16, s3, s14
	s_min_u32 s16, s16, 8
	v_lshrrev_b32_e32 v24, s14, v21
	v_bfe_u32 v24, v24, 0, s16
	v_lshl_or_b32 v24, v24, 4, v3
	ds_add_u32 v24, v23 offset:8192
	s_add_i32 s16, s2, 24
	s_cmp_le_u32 s3, s16
	s_cbranch_scc1 .LBB353_360
; %bb.359:
	s_sub_i32 s17, s3, s16
	s_min_u32 s17, s17, 8
	v_lshrrev_b32_e32 v21, s16, v21
	v_bfe_u32 v21, v21, 0, s17
	v_lshl_or_b32 v21, v21, 4, v3
	v_mov_b32_e32 v24, 1
	ds_add_u32 v21, v24 offset:12288
.LBB353_360:
	v_lshl_or_b32 v21, v22, 4, v3
	ds_add_u32 v21, v23
	v_lshrrev_b32_e32 v21, s12, v20
	v_and_b32_e32 v21, s15, v21
	v_lshl_or_b32 v21, v21, 4, v3
	ds_add_u32 v21, v23 offset:4096
	s_andn2_b64 vcc, exec, s[8:9]
	s_cbranch_vccnz .LBB353_363
; %bb.361:
	s_sub_i32 s8, s3, s14
	s_min_u32 s8, s8, 8
	v_lshrrev_b32_e32 v21, s14, v20
	v_bfe_u32 v21, v21, 0, s8
	v_lshl_or_b32 v21, v21, 4, v3
	v_mov_b32_e32 v22, 1
	ds_add_u32 v21, v22 offset:8192
	s_add_i32 s8, s2, 24
	s_cmp_gt_u32 s3, s8
	s_cbranch_scc0 .LBB353_363
; %bb.362:
	s_sub_i32 s6, s3, s8
	s_min_u32 s6, s6, 8
	v_lshrrev_b32_e32 v20, s8, v20
	v_bfe_u32 v20, v20, 0, s6
	v_lshl_or_b32 v20, v20, 2, v2
	v_add_u32_e32 v23, 0xc00, v20
	s_mov_b64 s[6:7], -1
	s_branch .LBB353_364
.LBB353_363:
                                        ; implicit-def: $vgpr23
.LBB353_364:
	s_and_b64 vcc, exec, s[6:7]
	s_cbranch_vccz .LBB353_366
; %bb.365:
	v_lshlrev_b32_e32 v20, 2, v23
	v_mov_b32_e32 v21, 1
	ds_add_u32 v20, v21
.LBB353_366:
	v_xor_b32_e32 v21, 0x80000000, v12
	v_lshrrev_b32_e32 v22, s2, v21
	v_and_b32_e32 v22, s13, v22
	v_lshl_or_b32 v22, v22, 4, v3
	v_mov_b32_e32 v23, 1
	ds_add_u32 v22, v23
	v_xor_b32_e32 v20, 0x80000000, v13
	v_lshrrev_b32_e32 v22, s2, v20
	s_and_b64 vcc, exec, s[4:5]
	v_and_b32_e32 v22, s13, v22
	s_cbranch_vccz .LBB353_368
; %bb.367:
	v_lshl_or_b32 v23, v22, 2, v2
	s_mov_b64 s[6:7], -1
	s_cbranch_execz .LBB353_369
	s_branch .LBB353_376
.LBB353_368:
	s_mov_b64 s[6:7], 0
                                        ; implicit-def: $vgpr23
.LBB353_369:
	s_sub_i32 s8, s3, s12
	s_min_u32 s8, s8, 8
	s_lshl_b32 s8, -1, s8
	s_not_b32 s15, s8
	v_lshrrev_b32_e32 v23, s12, v21
	v_and_b32_e32 v23, s15, v23
	v_lshl_or_b32 v24, v23, 4, v3
	v_mov_b32_e32 v23, 1
	ds_add_u32 v24, v23 offset:4096
	s_add_i32 s14, s2, 16
	s_cmp_gt_u32 s3, s14
	s_cselect_b64 s[8:9], -1, 0
	s_cmp_le_u32 s3, s14
	s_cbranch_scc1 .LBB353_372
; %bb.370:
	s_sub_i32 s16, s3, s14
	s_min_u32 s16, s16, 8
	v_lshrrev_b32_e32 v24, s14, v21
	v_bfe_u32 v24, v24, 0, s16
	v_lshl_or_b32 v24, v24, 4, v3
	ds_add_u32 v24, v23 offset:8192
	s_add_i32 s16, s2, 24
	s_cmp_le_u32 s3, s16
	s_cbranch_scc1 .LBB353_372
; %bb.371:
	s_sub_i32 s17, s3, s16
	s_min_u32 s17, s17, 8
	v_lshrrev_b32_e32 v21, s16, v21
	v_bfe_u32 v21, v21, 0, s17
	v_lshl_or_b32 v21, v21, 4, v3
	v_mov_b32_e32 v24, 1
	ds_add_u32 v21, v24 offset:12288
.LBB353_372:
	v_lshl_or_b32 v21, v22, 4, v3
	ds_add_u32 v21, v23
	v_lshrrev_b32_e32 v21, s12, v20
	v_and_b32_e32 v21, s15, v21
	v_lshl_or_b32 v21, v21, 4, v3
	ds_add_u32 v21, v23 offset:4096
	s_andn2_b64 vcc, exec, s[8:9]
	s_cbranch_vccnz .LBB353_375
; %bb.373:
	s_sub_i32 s8, s3, s14
	s_min_u32 s8, s8, 8
	v_lshrrev_b32_e32 v21, s14, v20
	v_bfe_u32 v21, v21, 0, s8
	v_lshl_or_b32 v21, v21, 4, v3
	v_mov_b32_e32 v22, 1
	ds_add_u32 v21, v22 offset:8192
	s_add_i32 s8, s2, 24
	s_cmp_gt_u32 s3, s8
	s_cbranch_scc0 .LBB353_375
; %bb.374:
	s_sub_i32 s6, s3, s8
	s_min_u32 s6, s6, 8
	v_lshrrev_b32_e32 v20, s8, v20
	v_bfe_u32 v20, v20, 0, s6
	v_lshl_or_b32 v20, v20, 2, v2
	v_add_u32_e32 v23, 0xc00, v20
	s_mov_b64 s[6:7], -1
	s_branch .LBB353_376
.LBB353_375:
                                        ; implicit-def: $vgpr23
.LBB353_376:
	s_and_b64 vcc, exec, s[6:7]
	s_cbranch_vccz .LBB353_378
; %bb.377:
	v_lshlrev_b32_e32 v20, 2, v23
	v_mov_b32_e32 v21, 1
	ds_add_u32 v20, v21
.LBB353_378:
	v_xor_b32_e32 v21, 0x80000000, v11
	v_lshrrev_b32_e32 v22, s2, v21
	v_and_b32_e32 v22, s13, v22
	v_lshl_or_b32 v22, v22, 4, v3
	v_mov_b32_e32 v23, 1
	ds_add_u32 v22, v23
	v_xor_b32_e32 v20, 0x80000000, v9
	v_lshrrev_b32_e32 v22, s2, v20
	s_and_b64 vcc, exec, s[4:5]
	v_and_b32_e32 v22, s13, v22
	s_cbranch_vccz .LBB353_380
; %bb.379:
	v_lshl_or_b32 v23, v22, 2, v2
	s_mov_b64 s[6:7], -1
	s_cbranch_execz .LBB353_381
	s_branch .LBB353_388
.LBB353_380:
	s_mov_b64 s[6:7], 0
                                        ; implicit-def: $vgpr23
.LBB353_381:
	s_sub_i32 s8, s3, s12
	s_min_u32 s8, s8, 8
	s_lshl_b32 s8, -1, s8
	s_not_b32 s15, s8
	v_lshrrev_b32_e32 v23, s12, v21
	v_and_b32_e32 v23, s15, v23
	v_lshl_or_b32 v24, v23, 4, v3
	v_mov_b32_e32 v23, 1
	ds_add_u32 v24, v23 offset:4096
	s_add_i32 s14, s2, 16
	s_cmp_gt_u32 s3, s14
	s_cselect_b64 s[8:9], -1, 0
	s_cmp_le_u32 s3, s14
	s_cbranch_scc1 .LBB353_384
; %bb.382:
	s_sub_i32 s16, s3, s14
	s_min_u32 s16, s16, 8
	v_lshrrev_b32_e32 v24, s14, v21
	v_bfe_u32 v24, v24, 0, s16
	v_lshl_or_b32 v24, v24, 4, v3
	ds_add_u32 v24, v23 offset:8192
	s_add_i32 s16, s2, 24
	s_cmp_le_u32 s3, s16
	s_cbranch_scc1 .LBB353_384
; %bb.383:
	s_sub_i32 s17, s3, s16
	s_min_u32 s17, s17, 8
	v_lshrrev_b32_e32 v21, s16, v21
	v_bfe_u32 v21, v21, 0, s17
	v_lshl_or_b32 v21, v21, 4, v3
	v_mov_b32_e32 v24, 1
	ds_add_u32 v21, v24 offset:12288
.LBB353_384:
	v_lshl_or_b32 v21, v22, 4, v3
	ds_add_u32 v21, v23
	v_lshrrev_b32_e32 v21, s12, v20
	v_and_b32_e32 v21, s15, v21
	v_lshl_or_b32 v21, v21, 4, v3
	ds_add_u32 v21, v23 offset:4096
	s_andn2_b64 vcc, exec, s[8:9]
	s_cbranch_vccnz .LBB353_387
; %bb.385:
	s_sub_i32 s8, s3, s14
	s_min_u32 s8, s8, 8
	v_lshrrev_b32_e32 v21, s14, v20
	v_bfe_u32 v21, v21, 0, s8
	v_lshl_or_b32 v21, v21, 4, v3
	v_mov_b32_e32 v22, 1
	ds_add_u32 v21, v22 offset:8192
	s_add_i32 s8, s2, 24
	s_cmp_gt_u32 s3, s8
	s_cbranch_scc0 .LBB353_387
; %bb.386:
	s_sub_i32 s6, s3, s8
	s_min_u32 s6, s6, 8
	v_lshrrev_b32_e32 v20, s8, v20
	v_bfe_u32 v20, v20, 0, s6
	v_lshl_or_b32 v20, v20, 2, v2
	v_add_u32_e32 v23, 0xc00, v20
	s_mov_b64 s[6:7], -1
	s_branch .LBB353_388
.LBB353_387:
                                        ; implicit-def: $vgpr23
.LBB353_388:
	s_and_b64 vcc, exec, s[6:7]
	s_cbranch_vccz .LBB353_390
; %bb.389:
	v_lshlrev_b32_e32 v20, 2, v23
	v_mov_b32_e32 v21, 1
	ds_add_u32 v20, v21
.LBB353_390:
	v_xor_b32_e32 v21, 0x80000000, v10
	v_lshrrev_b32_e32 v22, s2, v21
	v_and_b32_e32 v22, s13, v22
	v_lshl_or_b32 v22, v22, 4, v3
	v_mov_b32_e32 v23, 1
	ds_add_u32 v22, v23
	v_xor_b32_e32 v20, 0x80000000, v8
	v_lshrrev_b32_e32 v22, s2, v20
	s_and_b64 vcc, exec, s[4:5]
	v_and_b32_e32 v22, s13, v22
	s_cbranch_vccz .LBB353_392
; %bb.391:
	v_lshl_or_b32 v23, v22, 2, v2
	s_mov_b64 s[6:7], -1
	s_cbranch_execz .LBB353_393
	s_branch .LBB353_400
.LBB353_392:
	s_mov_b64 s[6:7], 0
                                        ; implicit-def: $vgpr23
.LBB353_393:
	s_sub_i32 s8, s3, s12
	s_min_u32 s8, s8, 8
	s_lshl_b32 s8, -1, s8
	s_not_b32 s15, s8
	v_lshrrev_b32_e32 v23, s12, v21
	v_and_b32_e32 v23, s15, v23
	v_lshl_or_b32 v24, v23, 4, v3
	v_mov_b32_e32 v23, 1
	ds_add_u32 v24, v23 offset:4096
	s_add_i32 s14, s2, 16
	s_cmp_gt_u32 s3, s14
	s_cselect_b64 s[8:9], -1, 0
	s_cmp_le_u32 s3, s14
	s_cbranch_scc1 .LBB353_396
; %bb.394:
	s_sub_i32 s16, s3, s14
	s_min_u32 s16, s16, 8
	v_lshrrev_b32_e32 v24, s14, v21
	v_bfe_u32 v24, v24, 0, s16
	v_lshl_or_b32 v24, v24, 4, v3
	ds_add_u32 v24, v23 offset:8192
	s_add_i32 s16, s2, 24
	s_cmp_le_u32 s3, s16
	s_cbranch_scc1 .LBB353_396
; %bb.395:
	v_lshrrev_b32_e32 v21, s16, v21
	s_sub_i32 s16, s3, s16
	s_min_u32 s16, s16, 8
	v_bfe_u32 v21, v21, 0, s16
	v_lshl_or_b32 v21, v21, 4, v3
	v_mov_b32_e32 v24, 1
	ds_add_u32 v21, v24 offset:12288
.LBB353_396:
	v_lshl_or_b32 v21, v22, 4, v3
	ds_add_u32 v21, v23
	v_lshrrev_b32_e32 v21, s12, v20
	v_and_b32_e32 v21, s15, v21
	v_lshl_or_b32 v21, v21, 4, v3
	ds_add_u32 v21, v23 offset:4096
	s_andn2_b64 vcc, exec, s[8:9]
	s_cbranch_vccnz .LBB353_399
; %bb.397:
	s_sub_i32 s8, s3, s14
	s_min_u32 s8, s8, 8
	v_lshrrev_b32_e32 v21, s14, v20
	v_bfe_u32 v21, v21, 0, s8
	v_lshl_or_b32 v21, v21, 4, v3
	v_mov_b32_e32 v22, 1
	ds_add_u32 v21, v22 offset:8192
	s_add_i32 s8, s2, 24
	s_cmp_gt_u32 s3, s8
	s_cbranch_scc0 .LBB353_399
; %bb.398:
	s_sub_i32 s6, s3, s8
	s_min_u32 s6, s6, 8
	v_lshrrev_b32_e32 v20, s8, v20
	v_bfe_u32 v20, v20, 0, s6
	v_lshl_or_b32 v20, v20, 2, v2
	v_add_u32_e32 v23, 0xc00, v20
	s_mov_b64 s[6:7], -1
	s_branch .LBB353_400
.LBB353_399:
                                        ; implicit-def: $vgpr23
.LBB353_400:
	s_and_b64 vcc, exec, s[6:7]
	s_cbranch_vccz .LBB353_402
; %bb.401:
	v_lshlrev_b32_e32 v20, 2, v23
	v_mov_b32_e32 v21, 1
	ds_add_u32 v20, v21
.LBB353_402:
	v_xor_b32_e32 v21, 0x80000000, v7
	v_lshrrev_b32_e32 v22, s2, v21
	v_and_b32_e32 v22, s13, v22
	v_lshl_or_b32 v22, v22, 4, v3
	v_mov_b32_e32 v23, 1
	ds_add_u32 v22, v23
	v_xor_b32_e32 v20, 0x80000000, v6
	v_lshrrev_b32_e32 v22, s2, v20
	s_and_b64 vcc, exec, s[4:5]
	v_and_b32_e32 v22, s13, v22
	s_cbranch_vccz .LBB353_404
; %bb.403:
	v_lshl_or_b32 v23, v22, 2, v2
	s_mov_b64 s[6:7], -1
	s_cbranch_execz .LBB353_405
	s_branch .LBB353_412
.LBB353_404:
	s_mov_b64 s[6:7], 0
                                        ; implicit-def: $vgpr23
.LBB353_405:
	s_sub_i32 s8, s3, s12
	s_min_u32 s8, s8, 8
	s_lshl_b32 s8, -1, s8
	s_not_b32 s15, s8
	v_lshrrev_b32_e32 v23, s12, v21
	v_and_b32_e32 v23, s15, v23
	v_lshl_or_b32 v24, v23, 4, v3
	v_mov_b32_e32 v23, 1
	ds_add_u32 v24, v23 offset:4096
	s_add_i32 s14, s2, 16
	s_cmp_gt_u32 s3, s14
	s_cselect_b64 s[8:9], -1, 0
	s_cmp_le_u32 s3, s14
	s_cbranch_scc1 .LBB353_408
; %bb.406:
	s_sub_i32 s16, s3, s14
	s_min_u32 s16, s16, 8
	v_lshrrev_b32_e32 v24, s14, v21
	v_bfe_u32 v24, v24, 0, s16
	v_lshl_or_b32 v24, v24, 4, v3
	ds_add_u32 v24, v23 offset:8192
	s_add_i32 s16, s2, 24
	s_cmp_le_u32 s3, s16
	s_cbranch_scc1 .LBB353_408
; %bb.407:
	s_sub_i32 s17, s3, s16
	s_min_u32 s17, s17, 8
	v_lshrrev_b32_e32 v21, s16, v21
	v_bfe_u32 v21, v21, 0, s17
	v_lshl_or_b32 v21, v21, 4, v3
	v_mov_b32_e32 v24, 1
	ds_add_u32 v21, v24 offset:12288
.LBB353_408:
	v_lshl_or_b32 v21, v22, 4, v3
	ds_add_u32 v21, v23
	v_lshrrev_b32_e32 v21, s12, v20
	v_and_b32_e32 v21, s15, v21
	v_lshl_or_b32 v21, v21, 4, v3
	ds_add_u32 v21, v23 offset:4096
	s_andn2_b64 vcc, exec, s[8:9]
	s_cbranch_vccnz .LBB353_411
; %bb.409:
	s_sub_i32 s8, s3, s14
	s_min_u32 s8, s8, 8
	v_lshrrev_b32_e32 v21, s14, v20
	v_bfe_u32 v21, v21, 0, s8
	v_lshl_or_b32 v21, v21, 4, v3
	v_mov_b32_e32 v22, 1
	ds_add_u32 v21, v22 offset:8192
	s_add_i32 s8, s2, 24
	s_cmp_gt_u32 s3, s8
	s_cbranch_scc0 .LBB353_411
; %bb.410:
	s_sub_i32 s6, s3, s8
	s_min_u32 s6, s6, 8
	v_lshrrev_b32_e32 v20, s8, v20
	v_bfe_u32 v20, v20, 0, s6
	v_lshl_or_b32 v20, v20, 2, v2
	v_add_u32_e32 v23, 0xc00, v20
	s_mov_b64 s[6:7], -1
	s_branch .LBB353_412
.LBB353_411:
                                        ; implicit-def: $vgpr23
.LBB353_412:
	s_and_b64 vcc, exec, s[6:7]
	s_cbranch_vccz .LBB353_414
; %bb.413:
	v_lshlrev_b32_e32 v20, 2, v23
	v_mov_b32_e32 v21, 1
	ds_add_u32 v20, v21
.LBB353_414:
	v_xor_b32_e32 v21, 0x80000000, v5
	v_lshrrev_b32_e32 v22, s2, v21
	v_and_b32_e32 v22, s13, v22
	v_lshl_or_b32 v22, v22, 4, v3
	v_mov_b32_e32 v23, 1
	ds_add_u32 v22, v23
	s_waitcnt vmcnt(0)
	v_xor_b32_e32 v20, 0x80000000, v4
	v_lshrrev_b32_e32 v22, s2, v20
	s_and_b64 vcc, exec, s[4:5]
	v_and_b32_e32 v22, s13, v22
	s_cbranch_vccz .LBB353_416
; %bb.415:
	v_lshl_or_b32 v23, v22, 2, v2
	s_mov_b64 s[4:5], -1
	s_cbranch_execz .LBB353_417
	s_branch .LBB353_424
.LBB353_416:
	s_mov_b64 s[4:5], 0
                                        ; implicit-def: $vgpr23
.LBB353_417:
	s_sub_i32 s6, s3, s12
	s_min_u32 s6, s6, 8
	s_lshl_b32 s6, -1, s6
	s_not_b32 s9, s6
	v_lshrrev_b32_e32 v23, s12, v21
	v_and_b32_e32 v23, s9, v23
	v_lshl_or_b32 v24, v23, 4, v3
	v_mov_b32_e32 v23, 1
	ds_add_u32 v24, v23 offset:4096
	s_add_i32 s8, s2, 16
	s_cmp_gt_u32 s3, s8
	s_cselect_b64 s[6:7], -1, 0
	s_cmp_le_u32 s3, s8
	s_cbranch_scc1 .LBB353_420
; %bb.418:
	s_sub_i32 s13, s3, s8
	s_min_u32 s13, s13, 8
	v_lshrrev_b32_e32 v24, s8, v21
	v_bfe_u32 v24, v24, 0, s13
	v_lshl_or_b32 v24, v24, 4, v3
	ds_add_u32 v24, v23 offset:8192
	s_add_i32 s13, s2, 24
	s_cmp_le_u32 s3, s13
	s_cbranch_scc1 .LBB353_420
; %bb.419:
	s_sub_i32 s14, s3, s13
	s_min_u32 s14, s14, 8
	v_lshrrev_b32_e32 v21, s13, v21
	v_bfe_u32 v21, v21, 0, s14
	v_lshl_or_b32 v21, v21, 4, v3
	v_mov_b32_e32 v24, 1
	ds_add_u32 v21, v24 offset:12288
.LBB353_420:
	v_lshl_or_b32 v21, v22, 4, v3
	ds_add_u32 v21, v23
	v_lshrrev_b32_e32 v21, s12, v20
	v_and_b32_e32 v21, s9, v21
	v_lshl_or_b32 v21, v21, 4, v3
	ds_add_u32 v21, v23 offset:4096
	s_andn2_b64 vcc, exec, s[6:7]
	s_cbranch_vccnz .LBB353_423
; %bb.421:
	s_sub_i32 s6, s3, s8
	s_min_u32 s6, s6, 8
	v_lshrrev_b32_e32 v21, s8, v20
	v_bfe_u32 v21, v21, 0, s6
	v_lshl_or_b32 v3, v21, 4, v3
	v_mov_b32_e32 v21, 1
	ds_add_u32 v3, v21 offset:8192
	s_add_i32 s6, s2, 24
	s_cmp_gt_u32 s3, s6
	s_cbranch_scc0 .LBB353_423
; %bb.422:
	s_sub_i32 s4, s3, s6
	s_min_u32 s4, s4, 8
	v_lshrrev_b32_e32 v3, s6, v20
	v_bfe_u32 v3, v3, 0, s4
	v_lshl_or_b32 v2, v3, 2, v2
	v_add_u32_e32 v23, 0xc00, v2
	s_mov_b64 s[4:5], -1
	s_branch .LBB353_424
.LBB353_423:
                                        ; implicit-def: $vgpr23
.LBB353_424:
	s_and_b64 vcc, exec, s[4:5]
	s_cbranch_vccz .LBB353_426
; %bb.425:
	v_lshlrev_b32_e32 v2, 2, v23
	v_mov_b32_e32 v3, 1
	ds_add_u32 v2, v3
.LBB353_426:
	s_and_b64 vcc, exec, s[0:1]
	s_waitcnt lgkmcnt(0)
	s_barrier
	s_cbranch_vccz .LBB353_431
; %bb.427:
	s_movk_i32 s0, 0x100
	v_cmp_gt_u32_e32 vcc, s0, v0
	v_lshlrev_b32_e32 v20, 4, v0
	v_mov_b32_e32 v3, 0
	v_mov_b32_e32 v2, v0
	s_branch .LBB353_429
.LBB353_428:                            ;   in Loop: Header=BB353_429 Depth=1
	s_or_b64 exec, exec, s[4:5]
	s_add_i32 s2, s2, 8
	v_add_u32_e32 v2, 0x100, v2
	s_cmp_ge_u32 s2, s3
	v_add_u32_e32 v20, 0x1000, v20
	s_cbranch_scc1 .LBB353_431
.LBB353_429:                            ; =>This Inner Loop Header: Depth=1
	s_and_saveexec_b64 s[4:5], vcc
	s_cbranch_execz .LBB353_428
; %bb.430:                              ;   in Loop: Header=BB353_429 Depth=1
	ds_read2_b32 v[22:23], v20 offset1:1
	ds_read2_b32 v[24:25], v20 offset0:2 offset1:3
	v_lshlrev_b64 v[26:27], 2, v[2:3]
	v_mov_b32_e32 v21, s11
	s_waitcnt lgkmcnt(1)
	v_add_u32_e32 v22, v23, v22
	s_waitcnt lgkmcnt(0)
	v_add3_u32 v24, v22, v24, v25
	v_add_co_u32_e64 v22, s[0:1], s10, v26
	v_addc_co_u32_e64 v23, s[0:1], v21, v27, s[0:1]
	global_atomic_add v[22:23], v24, off
	s_branch .LBB353_428
.LBB353_431:
	s_mov_b64 s[4:5], 0
.LBB353_432:
	s_and_b64 vcc, exec, s[4:5]
	s_cbranch_vccz .LBB353_443
; %bb.433:
	v_mov_b32_e32 v2, 0
	v_cmp_gt_u32_e64 s[0:1], 7, 4
	v_cmp_gt_u32_e64 s[4:5], 7, 3
	ds_write2st64_b32 v1, v2, v2 offset1:8
	ds_write2st64_b32 v1, v2, v2 offset0:16 offset1:24
	s_and_saveexec_b64 s[2:3], s[4:5]
	s_cbranch_execz .LBB353_435
; %bb.434:
	ds_write_b32 v1, v2 offset:8192
.LBB353_435:
	s_or_b64 exec, exec, s[2:3]
	s_and_saveexec_b64 s[2:3], s[0:1]
	s_cbranch_execz .LBB353_437
; %bb.436:
	v_mov_b32_e32 v2, 0
	ds_write_b32 v1, v2 offset:10240
.LBB353_437:
	s_or_b64 exec, exec, s[2:3]
	v_cmp_gt_u32_e64 s[0:1], 7, 6
	v_cmp_gt_u32_e64 s[4:5], 7, 5
	s_and_saveexec_b64 s[2:3], s[4:5]
	s_cbranch_execz .LBB353_439
; %bb.438:
	v_mov_b32_e32 v2, 0
	ds_write_b32 v1, v2 offset:12288
.LBB353_439:
	s_or_b64 exec, exec, s[2:3]
	s_and_saveexec_b64 s[2:3], s[0:1]
	s_cbranch_execz .LBB353_441
; %bb.440:
	v_mov_b32_e32 v2, 0
	ds_write_b32 v1, v2 offset:14336
.LBB353_441:
	s_or_b64 exec, exec, s[2:3]
	v_and_b32_e32 v2, 3, v0
	s_waitcnt vmcnt(10)
	v_lshlrev_b32_e32 v3, 2, v19
	s_movk_i32 s0, 0x3fc
	v_and_or_b32 v3, v3, s0, v2
	v_lshlrev_b32_e32 v3, 2, v3
	v_mov_b32_e32 v20, 1
	s_waitcnt lgkmcnt(0)
	s_barrier
	ds_add_u32 v3, v20
	v_bfe_u32 v3, v19, 8, 8
	v_lshl_or_b32 v3, v3, 2, v2
	v_lshlrev_b32_e32 v3, 2, v3
	ds_add_u32 v3, v20 offset:4096
	v_bfe_u32 v3, v19, 16, 8
	v_lshl_or_b32 v3, v3, 2, v2
	v_lshlrev_b32_e32 v3, 2, v3
	ds_add_u32 v3, v20 offset:8192
	v_lshrrev_b32_e32 v3, 24, v19
	v_or_b32_e32 v19, 0xc00, v2
	v_lshl_or_b32 v3, v3, 2, v19
	v_xor_b32_e32 v3, 0x200, v3
	v_lshlrev_b32_e32 v3, 2, v3
	ds_add_u32 v3, v20
	s_waitcnt vmcnt(9)
	v_lshlrev_b32_e32 v3, 2, v17
	v_and_or_b32 v3, v3, s0, v2
	v_lshlrev_b32_e32 v3, 2, v3
	ds_add_u32 v3, v20
	v_bfe_u32 v3, v17, 8, 8
	v_lshl_or_b32 v3, v3, 2, v2
	v_lshlrev_b32_e32 v3, 2, v3
	ds_add_u32 v3, v20 offset:4096
	v_bfe_u32 v3, v17, 16, 8
	v_lshl_or_b32 v3, v3, 2, v2
	v_lshlrev_b32_e32 v3, 2, v3
	ds_add_u32 v3, v20 offset:8192
	v_lshrrev_b32_e32 v3, 24, v17
	v_lshl_or_b32 v3, v3, 2, v19
	v_xor_b32_e32 v3, 0x200, v3
	v_lshlrev_b32_e32 v3, 2, v3
	ds_add_u32 v3, v20
	s_waitcnt vmcnt(1)
	v_lshlrev_b32_e32 v3, 2, v18
	v_and_or_b32 v3, v3, s0, v2
	v_lshlrev_b32_e32 v3, 2, v3
	ds_add_u32 v3, v20
	v_bfe_u32 v3, v18, 8, 8
	v_lshl_or_b32 v3, v3, 2, v2
	v_lshlrev_b32_e32 v3, 2, v3
	ds_add_u32 v3, v20 offset:4096
	v_bfe_u32 v3, v18, 16, 8
	v_lshl_or_b32 v3, v3, 2, v2
	v_lshlrev_b32_e32 v3, 2, v3
	ds_add_u32 v3, v20 offset:8192
	v_lshrrev_b32_e32 v3, 24, v18
	v_lshl_or_b32 v3, v3, 2, v19
	v_xor_b32_e32 v3, 0x200, v3
	v_lshlrev_b32_e32 v3, 2, v3
	ds_add_u32 v3, v20
	v_lshlrev_b32_e32 v3, 2, v16
	v_and_or_b32 v3, v3, s0, v2
	v_lshlrev_b32_e32 v3, 2, v3
	ds_add_u32 v3, v20
	v_bfe_u32 v3, v16, 8, 8
	v_lshl_or_b32 v3, v3, 2, v2
	v_lshlrev_b32_e32 v3, 2, v3
	ds_add_u32 v3, v20 offset:4096
	v_bfe_u32 v3, v16, 16, 8
	v_lshl_or_b32 v3, v3, 2, v2
	v_lshlrev_b32_e32 v3, 2, v3
	ds_add_u32 v3, v20 offset:8192
	v_lshrrev_b32_e32 v3, 24, v16
	v_lshl_or_b32 v3, v3, 2, v19
	v_xor_b32_e32 v3, 0x200, v3
	v_lshlrev_b32_e32 v3, 2, v3
	ds_add_u32 v3, v20
	;; [unrolled: 17-line block ×13, first 2 shown]
	s_waitcnt vmcnt(0)
	v_lshlrev_b32_e32 v3, 2, v4
	v_and_or_b32 v3, v3, s0, v2
	v_lshlrev_b32_e32 v3, 2, v3
	ds_add_u32 v3, v20
	v_bfe_u32 v3, v4, 8, 8
	v_lshl_or_b32 v3, v3, 2, v2
	v_lshlrev_b32_e32 v3, 2, v3
	ds_add_u32 v3, v20 offset:4096
	v_bfe_u32 v3, v4, 16, 8
	v_lshl_or_b32 v2, v3, 2, v2
	v_lshlrev_b32_e32 v2, 2, v2
	ds_add_u32 v2, v20 offset:8192
	v_lshrrev_b32_e32 v2, 24, v4
	v_lshl_or_b32 v2, v2, 2, v19
	v_xor_b32_e32 v2, 0x200, v2
	v_lshlrev_b32_e32 v2, 2, v2
	ds_add_u32 v2, v20
	s_movk_i32 s0, 0x100
	v_cmp_gt_u32_e32 vcc, s0, v0
	s_waitcnt lgkmcnt(0)
	s_barrier
	s_and_saveexec_b64 s[0:1], vcc
	s_cbranch_execz .LBB353_443
; %bb.442:
	v_lshlrev_b32_e32 v0, 4, v0
	ds_read2_b32 v[2:3], v0 offset1:1
	ds_read2_b32 v[4:5], v0 offset0:2 offset1:3
	v_add_u32_e32 v6, 0x1000, v0
	v_add_u32_e32 v7, 0x1008, v0
	s_waitcnt lgkmcnt(1)
	v_add_u32_e32 v2, v3, v2
	s_waitcnt lgkmcnt(0)
	v_add3_u32 v2, v2, v4, v5
	global_atomic_add v1, v2, s[10:11]
	ds_read2_b32 v[2:3], v6 offset1:1
	ds_read2_b32 v[4:5], v7 offset1:1
	v_or_b32_e32 v6, 0x2000, v0
	v_or_b32_e32 v7, 0x2008, v0
	s_waitcnt lgkmcnt(1)
	v_add_u32_e32 v2, v3, v2
	s_waitcnt lgkmcnt(0)
	v_add3_u32 v2, v2, v4, v5
	global_atomic_add v1, v2, s[10:11] offset:1024
	ds_read2_b32 v[2:3], v6 offset1:1
	ds_read2_b32 v[4:5], v7 offset1:1
	v_add_u32_e32 v6, 0x3000, v0
	v_add_u32_e32 v0, 0x3008, v0
	s_waitcnt lgkmcnt(1)
	v_add_u32_e32 v2, v3, v2
	s_waitcnt lgkmcnt(0)
	v_add3_u32 v2, v2, v4, v5
	global_atomic_add v1, v2, s[10:11] offset:2048
	ds_read2_b32 v[2:3], v6 offset1:1
	ds_read2_b32 v[4:5], v0 offset1:1
	s_waitcnt lgkmcnt(1)
	v_add_u32_e32 v0, v3, v2
	s_waitcnt lgkmcnt(0)
	v_add3_u32 v0, v0, v4, v5
	global_atomic_add v1, v0, s[10:11] offset:3072
.LBB353_443:
	s_endpgm
	.section	.rodata,"a",@progbits
	.p2align	6, 0x0
	.amdhsa_kernel _ZN7rocprim17ROCPRIM_400000_NS6detail17trampoline_kernelINS0_14default_configENS1_35radix_sort_onesweep_config_selectorIiiEEZNS1_34radix_sort_onesweep_global_offsetsIS3_Lb0EPiS7_jNS0_19identity_decomposerEEE10hipError_tT1_T2_PT3_SC_jT4_jjP12ihipStream_tbEUlT_E_NS1_11comp_targetILNS1_3genE4ELNS1_11target_archE910ELNS1_3gpuE8ELNS1_3repE0EEENS1_52radix_sort_onesweep_histogram_config_static_selectorELNS0_4arch9wavefront6targetE1EEEvSA_
		.amdhsa_group_segment_fixed_size 16384
		.amdhsa_private_segment_fixed_size 0
		.amdhsa_kernarg_size 40
		.amdhsa_user_sgpr_count 6
		.amdhsa_user_sgpr_private_segment_buffer 1
		.amdhsa_user_sgpr_dispatch_ptr 0
		.amdhsa_user_sgpr_queue_ptr 0
		.amdhsa_user_sgpr_kernarg_segment_ptr 1
		.amdhsa_user_sgpr_dispatch_id 0
		.amdhsa_user_sgpr_flat_scratch_init 0
		.amdhsa_user_sgpr_kernarg_preload_length 0
		.amdhsa_user_sgpr_kernarg_preload_offset 0
		.amdhsa_user_sgpr_private_segment_size 0
		.amdhsa_uses_dynamic_stack 0
		.amdhsa_system_sgpr_private_segment_wavefront_offset 0
		.amdhsa_system_sgpr_workgroup_id_x 1
		.amdhsa_system_sgpr_workgroup_id_y 0
		.amdhsa_system_sgpr_workgroup_id_z 0
		.amdhsa_system_sgpr_workgroup_info 0
		.amdhsa_system_vgpr_workitem_id 0
		.amdhsa_next_free_vgpr 35
		.amdhsa_next_free_sgpr 19
		.amdhsa_accum_offset 36
		.amdhsa_reserve_vcc 1
		.amdhsa_reserve_flat_scratch 0
		.amdhsa_float_round_mode_32 0
		.amdhsa_float_round_mode_16_64 0
		.amdhsa_float_denorm_mode_32 3
		.amdhsa_float_denorm_mode_16_64 3
		.amdhsa_dx10_clamp 1
		.amdhsa_ieee_mode 1
		.amdhsa_fp16_overflow 0
		.amdhsa_tg_split 0
		.amdhsa_exception_fp_ieee_invalid_op 0
		.amdhsa_exception_fp_denorm_src 0
		.amdhsa_exception_fp_ieee_div_zero 0
		.amdhsa_exception_fp_ieee_overflow 0
		.amdhsa_exception_fp_ieee_underflow 0
		.amdhsa_exception_fp_ieee_inexact 0
		.amdhsa_exception_int_div_zero 0
	.end_amdhsa_kernel
	.section	.text._ZN7rocprim17ROCPRIM_400000_NS6detail17trampoline_kernelINS0_14default_configENS1_35radix_sort_onesweep_config_selectorIiiEEZNS1_34radix_sort_onesweep_global_offsetsIS3_Lb0EPiS7_jNS0_19identity_decomposerEEE10hipError_tT1_T2_PT3_SC_jT4_jjP12ihipStream_tbEUlT_E_NS1_11comp_targetILNS1_3genE4ELNS1_11target_archE910ELNS1_3gpuE8ELNS1_3repE0EEENS1_52radix_sort_onesweep_histogram_config_static_selectorELNS0_4arch9wavefront6targetE1EEEvSA_,"axG",@progbits,_ZN7rocprim17ROCPRIM_400000_NS6detail17trampoline_kernelINS0_14default_configENS1_35radix_sort_onesweep_config_selectorIiiEEZNS1_34radix_sort_onesweep_global_offsetsIS3_Lb0EPiS7_jNS0_19identity_decomposerEEE10hipError_tT1_T2_PT3_SC_jT4_jjP12ihipStream_tbEUlT_E_NS1_11comp_targetILNS1_3genE4ELNS1_11target_archE910ELNS1_3gpuE8ELNS1_3repE0EEENS1_52radix_sort_onesweep_histogram_config_static_selectorELNS0_4arch9wavefront6targetE1EEEvSA_,comdat
.Lfunc_end353:
	.size	_ZN7rocprim17ROCPRIM_400000_NS6detail17trampoline_kernelINS0_14default_configENS1_35radix_sort_onesweep_config_selectorIiiEEZNS1_34radix_sort_onesweep_global_offsetsIS3_Lb0EPiS7_jNS0_19identity_decomposerEEE10hipError_tT1_T2_PT3_SC_jT4_jjP12ihipStream_tbEUlT_E_NS1_11comp_targetILNS1_3genE4ELNS1_11target_archE910ELNS1_3gpuE8ELNS1_3repE0EEENS1_52radix_sort_onesweep_histogram_config_static_selectorELNS0_4arch9wavefront6targetE1EEEvSA_, .Lfunc_end353-_ZN7rocprim17ROCPRIM_400000_NS6detail17trampoline_kernelINS0_14default_configENS1_35radix_sort_onesweep_config_selectorIiiEEZNS1_34radix_sort_onesweep_global_offsetsIS3_Lb0EPiS7_jNS0_19identity_decomposerEEE10hipError_tT1_T2_PT3_SC_jT4_jjP12ihipStream_tbEUlT_E_NS1_11comp_targetILNS1_3genE4ELNS1_11target_archE910ELNS1_3gpuE8ELNS1_3repE0EEENS1_52radix_sort_onesweep_histogram_config_static_selectorELNS0_4arch9wavefront6targetE1EEEvSA_
                                        ; -- End function
	.section	.AMDGPU.csdata,"",@progbits
; Kernel info:
; codeLenInByte = 14544
; NumSgprs: 23
; NumVgprs: 35
; NumAgprs: 0
; TotalNumVgprs: 35
; ScratchSize: 0
; MemoryBound: 0
; FloatMode: 240
; IeeeMode: 1
; LDSByteSize: 16384 bytes/workgroup (compile time only)
; SGPRBlocks: 2
; VGPRBlocks: 4
; NumSGPRsForWavesPerEU: 23
; NumVGPRsForWavesPerEU: 35
; AccumOffset: 36
; Occupancy: 8
; WaveLimiterHint : 1
; COMPUTE_PGM_RSRC2:SCRATCH_EN: 0
; COMPUTE_PGM_RSRC2:USER_SGPR: 6
; COMPUTE_PGM_RSRC2:TRAP_HANDLER: 0
; COMPUTE_PGM_RSRC2:TGID_X_EN: 1
; COMPUTE_PGM_RSRC2:TGID_Y_EN: 0
; COMPUTE_PGM_RSRC2:TGID_Z_EN: 0
; COMPUTE_PGM_RSRC2:TIDIG_COMP_CNT: 0
; COMPUTE_PGM_RSRC3_GFX90A:ACCUM_OFFSET: 8
; COMPUTE_PGM_RSRC3_GFX90A:TG_SPLIT: 0
	.section	.text._ZN7rocprim17ROCPRIM_400000_NS6detail17trampoline_kernelINS0_14default_configENS1_35radix_sort_onesweep_config_selectorIiiEEZNS1_34radix_sort_onesweep_global_offsetsIS3_Lb0EPiS7_jNS0_19identity_decomposerEEE10hipError_tT1_T2_PT3_SC_jT4_jjP12ihipStream_tbEUlT_E_NS1_11comp_targetILNS1_3genE3ELNS1_11target_archE908ELNS1_3gpuE7ELNS1_3repE0EEENS1_52radix_sort_onesweep_histogram_config_static_selectorELNS0_4arch9wavefront6targetE1EEEvSA_,"axG",@progbits,_ZN7rocprim17ROCPRIM_400000_NS6detail17trampoline_kernelINS0_14default_configENS1_35radix_sort_onesweep_config_selectorIiiEEZNS1_34radix_sort_onesweep_global_offsetsIS3_Lb0EPiS7_jNS0_19identity_decomposerEEE10hipError_tT1_T2_PT3_SC_jT4_jjP12ihipStream_tbEUlT_E_NS1_11comp_targetILNS1_3genE3ELNS1_11target_archE908ELNS1_3gpuE7ELNS1_3repE0EEENS1_52radix_sort_onesweep_histogram_config_static_selectorELNS0_4arch9wavefront6targetE1EEEvSA_,comdat
	.protected	_ZN7rocprim17ROCPRIM_400000_NS6detail17trampoline_kernelINS0_14default_configENS1_35radix_sort_onesweep_config_selectorIiiEEZNS1_34radix_sort_onesweep_global_offsetsIS3_Lb0EPiS7_jNS0_19identity_decomposerEEE10hipError_tT1_T2_PT3_SC_jT4_jjP12ihipStream_tbEUlT_E_NS1_11comp_targetILNS1_3genE3ELNS1_11target_archE908ELNS1_3gpuE7ELNS1_3repE0EEENS1_52radix_sort_onesweep_histogram_config_static_selectorELNS0_4arch9wavefront6targetE1EEEvSA_ ; -- Begin function _ZN7rocprim17ROCPRIM_400000_NS6detail17trampoline_kernelINS0_14default_configENS1_35radix_sort_onesweep_config_selectorIiiEEZNS1_34radix_sort_onesweep_global_offsetsIS3_Lb0EPiS7_jNS0_19identity_decomposerEEE10hipError_tT1_T2_PT3_SC_jT4_jjP12ihipStream_tbEUlT_E_NS1_11comp_targetILNS1_3genE3ELNS1_11target_archE908ELNS1_3gpuE7ELNS1_3repE0EEENS1_52radix_sort_onesweep_histogram_config_static_selectorELNS0_4arch9wavefront6targetE1EEEvSA_
	.globl	_ZN7rocprim17ROCPRIM_400000_NS6detail17trampoline_kernelINS0_14default_configENS1_35radix_sort_onesweep_config_selectorIiiEEZNS1_34radix_sort_onesweep_global_offsetsIS3_Lb0EPiS7_jNS0_19identity_decomposerEEE10hipError_tT1_T2_PT3_SC_jT4_jjP12ihipStream_tbEUlT_E_NS1_11comp_targetILNS1_3genE3ELNS1_11target_archE908ELNS1_3gpuE7ELNS1_3repE0EEENS1_52radix_sort_onesweep_histogram_config_static_selectorELNS0_4arch9wavefront6targetE1EEEvSA_
	.p2align	8
	.type	_ZN7rocprim17ROCPRIM_400000_NS6detail17trampoline_kernelINS0_14default_configENS1_35radix_sort_onesweep_config_selectorIiiEEZNS1_34radix_sort_onesweep_global_offsetsIS3_Lb0EPiS7_jNS0_19identity_decomposerEEE10hipError_tT1_T2_PT3_SC_jT4_jjP12ihipStream_tbEUlT_E_NS1_11comp_targetILNS1_3genE3ELNS1_11target_archE908ELNS1_3gpuE7ELNS1_3repE0EEENS1_52radix_sort_onesweep_histogram_config_static_selectorELNS0_4arch9wavefront6targetE1EEEvSA_,@function
_ZN7rocprim17ROCPRIM_400000_NS6detail17trampoline_kernelINS0_14default_configENS1_35radix_sort_onesweep_config_selectorIiiEEZNS1_34radix_sort_onesweep_global_offsetsIS3_Lb0EPiS7_jNS0_19identity_decomposerEEE10hipError_tT1_T2_PT3_SC_jT4_jjP12ihipStream_tbEUlT_E_NS1_11comp_targetILNS1_3genE3ELNS1_11target_archE908ELNS1_3gpuE7ELNS1_3repE0EEENS1_52radix_sort_onesweep_histogram_config_static_selectorELNS0_4arch9wavefront6targetE1EEEvSA_: ; @_ZN7rocprim17ROCPRIM_400000_NS6detail17trampoline_kernelINS0_14default_configENS1_35radix_sort_onesweep_config_selectorIiiEEZNS1_34radix_sort_onesweep_global_offsetsIS3_Lb0EPiS7_jNS0_19identity_decomposerEEE10hipError_tT1_T2_PT3_SC_jT4_jjP12ihipStream_tbEUlT_E_NS1_11comp_targetILNS1_3genE3ELNS1_11target_archE908ELNS1_3gpuE7ELNS1_3repE0EEENS1_52radix_sort_onesweep_histogram_config_static_selectorELNS0_4arch9wavefront6targetE1EEEvSA_
; %bb.0:
	.section	.rodata,"a",@progbits
	.p2align	6, 0x0
	.amdhsa_kernel _ZN7rocprim17ROCPRIM_400000_NS6detail17trampoline_kernelINS0_14default_configENS1_35radix_sort_onesweep_config_selectorIiiEEZNS1_34radix_sort_onesweep_global_offsetsIS3_Lb0EPiS7_jNS0_19identity_decomposerEEE10hipError_tT1_T2_PT3_SC_jT4_jjP12ihipStream_tbEUlT_E_NS1_11comp_targetILNS1_3genE3ELNS1_11target_archE908ELNS1_3gpuE7ELNS1_3repE0EEENS1_52radix_sort_onesweep_histogram_config_static_selectorELNS0_4arch9wavefront6targetE1EEEvSA_
		.amdhsa_group_segment_fixed_size 0
		.amdhsa_private_segment_fixed_size 0
		.amdhsa_kernarg_size 40
		.amdhsa_user_sgpr_count 6
		.amdhsa_user_sgpr_private_segment_buffer 1
		.amdhsa_user_sgpr_dispatch_ptr 0
		.amdhsa_user_sgpr_queue_ptr 0
		.amdhsa_user_sgpr_kernarg_segment_ptr 1
		.amdhsa_user_sgpr_dispatch_id 0
		.amdhsa_user_sgpr_flat_scratch_init 0
		.amdhsa_user_sgpr_kernarg_preload_length 0
		.amdhsa_user_sgpr_kernarg_preload_offset 0
		.amdhsa_user_sgpr_private_segment_size 0
		.amdhsa_uses_dynamic_stack 0
		.amdhsa_system_sgpr_private_segment_wavefront_offset 0
		.amdhsa_system_sgpr_workgroup_id_x 1
		.amdhsa_system_sgpr_workgroup_id_y 0
		.amdhsa_system_sgpr_workgroup_id_z 0
		.amdhsa_system_sgpr_workgroup_info 0
		.amdhsa_system_vgpr_workitem_id 0
		.amdhsa_next_free_vgpr 1
		.amdhsa_next_free_sgpr 0
		.amdhsa_accum_offset 4
		.amdhsa_reserve_vcc 0
		.amdhsa_reserve_flat_scratch 0
		.amdhsa_float_round_mode_32 0
		.amdhsa_float_round_mode_16_64 0
		.amdhsa_float_denorm_mode_32 3
		.amdhsa_float_denorm_mode_16_64 3
		.amdhsa_dx10_clamp 1
		.amdhsa_ieee_mode 1
		.amdhsa_fp16_overflow 0
		.amdhsa_tg_split 0
		.amdhsa_exception_fp_ieee_invalid_op 0
		.amdhsa_exception_fp_denorm_src 0
		.amdhsa_exception_fp_ieee_div_zero 0
		.amdhsa_exception_fp_ieee_overflow 0
		.amdhsa_exception_fp_ieee_underflow 0
		.amdhsa_exception_fp_ieee_inexact 0
		.amdhsa_exception_int_div_zero 0
	.end_amdhsa_kernel
	.section	.text._ZN7rocprim17ROCPRIM_400000_NS6detail17trampoline_kernelINS0_14default_configENS1_35radix_sort_onesweep_config_selectorIiiEEZNS1_34radix_sort_onesweep_global_offsetsIS3_Lb0EPiS7_jNS0_19identity_decomposerEEE10hipError_tT1_T2_PT3_SC_jT4_jjP12ihipStream_tbEUlT_E_NS1_11comp_targetILNS1_3genE3ELNS1_11target_archE908ELNS1_3gpuE7ELNS1_3repE0EEENS1_52radix_sort_onesweep_histogram_config_static_selectorELNS0_4arch9wavefront6targetE1EEEvSA_,"axG",@progbits,_ZN7rocprim17ROCPRIM_400000_NS6detail17trampoline_kernelINS0_14default_configENS1_35radix_sort_onesweep_config_selectorIiiEEZNS1_34radix_sort_onesweep_global_offsetsIS3_Lb0EPiS7_jNS0_19identity_decomposerEEE10hipError_tT1_T2_PT3_SC_jT4_jjP12ihipStream_tbEUlT_E_NS1_11comp_targetILNS1_3genE3ELNS1_11target_archE908ELNS1_3gpuE7ELNS1_3repE0EEENS1_52radix_sort_onesweep_histogram_config_static_selectorELNS0_4arch9wavefront6targetE1EEEvSA_,comdat
.Lfunc_end354:
	.size	_ZN7rocprim17ROCPRIM_400000_NS6detail17trampoline_kernelINS0_14default_configENS1_35radix_sort_onesweep_config_selectorIiiEEZNS1_34radix_sort_onesweep_global_offsetsIS3_Lb0EPiS7_jNS0_19identity_decomposerEEE10hipError_tT1_T2_PT3_SC_jT4_jjP12ihipStream_tbEUlT_E_NS1_11comp_targetILNS1_3genE3ELNS1_11target_archE908ELNS1_3gpuE7ELNS1_3repE0EEENS1_52radix_sort_onesweep_histogram_config_static_selectorELNS0_4arch9wavefront6targetE1EEEvSA_, .Lfunc_end354-_ZN7rocprim17ROCPRIM_400000_NS6detail17trampoline_kernelINS0_14default_configENS1_35radix_sort_onesweep_config_selectorIiiEEZNS1_34radix_sort_onesweep_global_offsetsIS3_Lb0EPiS7_jNS0_19identity_decomposerEEE10hipError_tT1_T2_PT3_SC_jT4_jjP12ihipStream_tbEUlT_E_NS1_11comp_targetILNS1_3genE3ELNS1_11target_archE908ELNS1_3gpuE7ELNS1_3repE0EEENS1_52radix_sort_onesweep_histogram_config_static_selectorELNS0_4arch9wavefront6targetE1EEEvSA_
                                        ; -- End function
	.section	.AMDGPU.csdata,"",@progbits
; Kernel info:
; codeLenInByte = 0
; NumSgprs: 4
; NumVgprs: 0
; NumAgprs: 0
; TotalNumVgprs: 0
; ScratchSize: 0
; MemoryBound: 0
; FloatMode: 240
; IeeeMode: 1
; LDSByteSize: 0 bytes/workgroup (compile time only)
; SGPRBlocks: 0
; VGPRBlocks: 0
; NumSGPRsForWavesPerEU: 4
; NumVGPRsForWavesPerEU: 1
; AccumOffset: 4
; Occupancy: 8
; WaveLimiterHint : 0
; COMPUTE_PGM_RSRC2:SCRATCH_EN: 0
; COMPUTE_PGM_RSRC2:USER_SGPR: 6
; COMPUTE_PGM_RSRC2:TRAP_HANDLER: 0
; COMPUTE_PGM_RSRC2:TGID_X_EN: 1
; COMPUTE_PGM_RSRC2:TGID_Y_EN: 0
; COMPUTE_PGM_RSRC2:TGID_Z_EN: 0
; COMPUTE_PGM_RSRC2:TIDIG_COMP_CNT: 0
; COMPUTE_PGM_RSRC3_GFX90A:ACCUM_OFFSET: 0
; COMPUTE_PGM_RSRC3_GFX90A:TG_SPLIT: 0
	.section	.text._ZN7rocprim17ROCPRIM_400000_NS6detail17trampoline_kernelINS0_14default_configENS1_35radix_sort_onesweep_config_selectorIiiEEZNS1_34radix_sort_onesweep_global_offsetsIS3_Lb0EPiS7_jNS0_19identity_decomposerEEE10hipError_tT1_T2_PT3_SC_jT4_jjP12ihipStream_tbEUlT_E_NS1_11comp_targetILNS1_3genE10ELNS1_11target_archE1201ELNS1_3gpuE5ELNS1_3repE0EEENS1_52radix_sort_onesweep_histogram_config_static_selectorELNS0_4arch9wavefront6targetE1EEEvSA_,"axG",@progbits,_ZN7rocprim17ROCPRIM_400000_NS6detail17trampoline_kernelINS0_14default_configENS1_35radix_sort_onesweep_config_selectorIiiEEZNS1_34radix_sort_onesweep_global_offsetsIS3_Lb0EPiS7_jNS0_19identity_decomposerEEE10hipError_tT1_T2_PT3_SC_jT4_jjP12ihipStream_tbEUlT_E_NS1_11comp_targetILNS1_3genE10ELNS1_11target_archE1201ELNS1_3gpuE5ELNS1_3repE0EEENS1_52radix_sort_onesweep_histogram_config_static_selectorELNS0_4arch9wavefront6targetE1EEEvSA_,comdat
	.protected	_ZN7rocprim17ROCPRIM_400000_NS6detail17trampoline_kernelINS0_14default_configENS1_35radix_sort_onesweep_config_selectorIiiEEZNS1_34radix_sort_onesweep_global_offsetsIS3_Lb0EPiS7_jNS0_19identity_decomposerEEE10hipError_tT1_T2_PT3_SC_jT4_jjP12ihipStream_tbEUlT_E_NS1_11comp_targetILNS1_3genE10ELNS1_11target_archE1201ELNS1_3gpuE5ELNS1_3repE0EEENS1_52radix_sort_onesweep_histogram_config_static_selectorELNS0_4arch9wavefront6targetE1EEEvSA_ ; -- Begin function _ZN7rocprim17ROCPRIM_400000_NS6detail17trampoline_kernelINS0_14default_configENS1_35radix_sort_onesweep_config_selectorIiiEEZNS1_34radix_sort_onesweep_global_offsetsIS3_Lb0EPiS7_jNS0_19identity_decomposerEEE10hipError_tT1_T2_PT3_SC_jT4_jjP12ihipStream_tbEUlT_E_NS1_11comp_targetILNS1_3genE10ELNS1_11target_archE1201ELNS1_3gpuE5ELNS1_3repE0EEENS1_52radix_sort_onesweep_histogram_config_static_selectorELNS0_4arch9wavefront6targetE1EEEvSA_
	.globl	_ZN7rocprim17ROCPRIM_400000_NS6detail17trampoline_kernelINS0_14default_configENS1_35radix_sort_onesweep_config_selectorIiiEEZNS1_34radix_sort_onesweep_global_offsetsIS3_Lb0EPiS7_jNS0_19identity_decomposerEEE10hipError_tT1_T2_PT3_SC_jT4_jjP12ihipStream_tbEUlT_E_NS1_11comp_targetILNS1_3genE10ELNS1_11target_archE1201ELNS1_3gpuE5ELNS1_3repE0EEENS1_52radix_sort_onesweep_histogram_config_static_selectorELNS0_4arch9wavefront6targetE1EEEvSA_
	.p2align	8
	.type	_ZN7rocprim17ROCPRIM_400000_NS6detail17trampoline_kernelINS0_14default_configENS1_35radix_sort_onesweep_config_selectorIiiEEZNS1_34radix_sort_onesweep_global_offsetsIS3_Lb0EPiS7_jNS0_19identity_decomposerEEE10hipError_tT1_T2_PT3_SC_jT4_jjP12ihipStream_tbEUlT_E_NS1_11comp_targetILNS1_3genE10ELNS1_11target_archE1201ELNS1_3gpuE5ELNS1_3repE0EEENS1_52radix_sort_onesweep_histogram_config_static_selectorELNS0_4arch9wavefront6targetE1EEEvSA_,@function
_ZN7rocprim17ROCPRIM_400000_NS6detail17trampoline_kernelINS0_14default_configENS1_35radix_sort_onesweep_config_selectorIiiEEZNS1_34radix_sort_onesweep_global_offsetsIS3_Lb0EPiS7_jNS0_19identity_decomposerEEE10hipError_tT1_T2_PT3_SC_jT4_jjP12ihipStream_tbEUlT_E_NS1_11comp_targetILNS1_3genE10ELNS1_11target_archE1201ELNS1_3gpuE5ELNS1_3repE0EEENS1_52radix_sort_onesweep_histogram_config_static_selectorELNS0_4arch9wavefront6targetE1EEEvSA_: ; @_ZN7rocprim17ROCPRIM_400000_NS6detail17trampoline_kernelINS0_14default_configENS1_35radix_sort_onesweep_config_selectorIiiEEZNS1_34radix_sort_onesweep_global_offsetsIS3_Lb0EPiS7_jNS0_19identity_decomposerEEE10hipError_tT1_T2_PT3_SC_jT4_jjP12ihipStream_tbEUlT_E_NS1_11comp_targetILNS1_3genE10ELNS1_11target_archE1201ELNS1_3gpuE5ELNS1_3repE0EEENS1_52radix_sort_onesweep_histogram_config_static_selectorELNS0_4arch9wavefront6targetE1EEEvSA_
; %bb.0:
	.section	.rodata,"a",@progbits
	.p2align	6, 0x0
	.amdhsa_kernel _ZN7rocprim17ROCPRIM_400000_NS6detail17trampoline_kernelINS0_14default_configENS1_35radix_sort_onesweep_config_selectorIiiEEZNS1_34radix_sort_onesweep_global_offsetsIS3_Lb0EPiS7_jNS0_19identity_decomposerEEE10hipError_tT1_T2_PT3_SC_jT4_jjP12ihipStream_tbEUlT_E_NS1_11comp_targetILNS1_3genE10ELNS1_11target_archE1201ELNS1_3gpuE5ELNS1_3repE0EEENS1_52radix_sort_onesweep_histogram_config_static_selectorELNS0_4arch9wavefront6targetE1EEEvSA_
		.amdhsa_group_segment_fixed_size 0
		.amdhsa_private_segment_fixed_size 0
		.amdhsa_kernarg_size 40
		.amdhsa_user_sgpr_count 6
		.amdhsa_user_sgpr_private_segment_buffer 1
		.amdhsa_user_sgpr_dispatch_ptr 0
		.amdhsa_user_sgpr_queue_ptr 0
		.amdhsa_user_sgpr_kernarg_segment_ptr 1
		.amdhsa_user_sgpr_dispatch_id 0
		.amdhsa_user_sgpr_flat_scratch_init 0
		.amdhsa_user_sgpr_kernarg_preload_length 0
		.amdhsa_user_sgpr_kernarg_preload_offset 0
		.amdhsa_user_sgpr_private_segment_size 0
		.amdhsa_uses_dynamic_stack 0
		.amdhsa_system_sgpr_private_segment_wavefront_offset 0
		.amdhsa_system_sgpr_workgroup_id_x 1
		.amdhsa_system_sgpr_workgroup_id_y 0
		.amdhsa_system_sgpr_workgroup_id_z 0
		.amdhsa_system_sgpr_workgroup_info 0
		.amdhsa_system_vgpr_workitem_id 0
		.amdhsa_next_free_vgpr 1
		.amdhsa_next_free_sgpr 0
		.amdhsa_accum_offset 4
		.amdhsa_reserve_vcc 0
		.amdhsa_reserve_flat_scratch 0
		.amdhsa_float_round_mode_32 0
		.amdhsa_float_round_mode_16_64 0
		.amdhsa_float_denorm_mode_32 3
		.amdhsa_float_denorm_mode_16_64 3
		.amdhsa_dx10_clamp 1
		.amdhsa_ieee_mode 1
		.amdhsa_fp16_overflow 0
		.amdhsa_tg_split 0
		.amdhsa_exception_fp_ieee_invalid_op 0
		.amdhsa_exception_fp_denorm_src 0
		.amdhsa_exception_fp_ieee_div_zero 0
		.amdhsa_exception_fp_ieee_overflow 0
		.amdhsa_exception_fp_ieee_underflow 0
		.amdhsa_exception_fp_ieee_inexact 0
		.amdhsa_exception_int_div_zero 0
	.end_amdhsa_kernel
	.section	.text._ZN7rocprim17ROCPRIM_400000_NS6detail17trampoline_kernelINS0_14default_configENS1_35radix_sort_onesweep_config_selectorIiiEEZNS1_34radix_sort_onesweep_global_offsetsIS3_Lb0EPiS7_jNS0_19identity_decomposerEEE10hipError_tT1_T2_PT3_SC_jT4_jjP12ihipStream_tbEUlT_E_NS1_11comp_targetILNS1_3genE10ELNS1_11target_archE1201ELNS1_3gpuE5ELNS1_3repE0EEENS1_52radix_sort_onesweep_histogram_config_static_selectorELNS0_4arch9wavefront6targetE1EEEvSA_,"axG",@progbits,_ZN7rocprim17ROCPRIM_400000_NS6detail17trampoline_kernelINS0_14default_configENS1_35radix_sort_onesweep_config_selectorIiiEEZNS1_34radix_sort_onesweep_global_offsetsIS3_Lb0EPiS7_jNS0_19identity_decomposerEEE10hipError_tT1_T2_PT3_SC_jT4_jjP12ihipStream_tbEUlT_E_NS1_11comp_targetILNS1_3genE10ELNS1_11target_archE1201ELNS1_3gpuE5ELNS1_3repE0EEENS1_52radix_sort_onesweep_histogram_config_static_selectorELNS0_4arch9wavefront6targetE1EEEvSA_,comdat
.Lfunc_end355:
	.size	_ZN7rocprim17ROCPRIM_400000_NS6detail17trampoline_kernelINS0_14default_configENS1_35radix_sort_onesweep_config_selectorIiiEEZNS1_34radix_sort_onesweep_global_offsetsIS3_Lb0EPiS7_jNS0_19identity_decomposerEEE10hipError_tT1_T2_PT3_SC_jT4_jjP12ihipStream_tbEUlT_E_NS1_11comp_targetILNS1_3genE10ELNS1_11target_archE1201ELNS1_3gpuE5ELNS1_3repE0EEENS1_52radix_sort_onesweep_histogram_config_static_selectorELNS0_4arch9wavefront6targetE1EEEvSA_, .Lfunc_end355-_ZN7rocprim17ROCPRIM_400000_NS6detail17trampoline_kernelINS0_14default_configENS1_35radix_sort_onesweep_config_selectorIiiEEZNS1_34radix_sort_onesweep_global_offsetsIS3_Lb0EPiS7_jNS0_19identity_decomposerEEE10hipError_tT1_T2_PT3_SC_jT4_jjP12ihipStream_tbEUlT_E_NS1_11comp_targetILNS1_3genE10ELNS1_11target_archE1201ELNS1_3gpuE5ELNS1_3repE0EEENS1_52radix_sort_onesweep_histogram_config_static_selectorELNS0_4arch9wavefront6targetE1EEEvSA_
                                        ; -- End function
	.section	.AMDGPU.csdata,"",@progbits
; Kernel info:
; codeLenInByte = 0
; NumSgprs: 4
; NumVgprs: 0
; NumAgprs: 0
; TotalNumVgprs: 0
; ScratchSize: 0
; MemoryBound: 0
; FloatMode: 240
; IeeeMode: 1
; LDSByteSize: 0 bytes/workgroup (compile time only)
; SGPRBlocks: 0
; VGPRBlocks: 0
; NumSGPRsForWavesPerEU: 4
; NumVGPRsForWavesPerEU: 1
; AccumOffset: 4
; Occupancy: 8
; WaveLimiterHint : 0
; COMPUTE_PGM_RSRC2:SCRATCH_EN: 0
; COMPUTE_PGM_RSRC2:USER_SGPR: 6
; COMPUTE_PGM_RSRC2:TRAP_HANDLER: 0
; COMPUTE_PGM_RSRC2:TGID_X_EN: 1
; COMPUTE_PGM_RSRC2:TGID_Y_EN: 0
; COMPUTE_PGM_RSRC2:TGID_Z_EN: 0
; COMPUTE_PGM_RSRC2:TIDIG_COMP_CNT: 0
; COMPUTE_PGM_RSRC3_GFX90A:ACCUM_OFFSET: 0
; COMPUTE_PGM_RSRC3_GFX90A:TG_SPLIT: 0
	.section	.text._ZN7rocprim17ROCPRIM_400000_NS6detail17trampoline_kernelINS0_14default_configENS1_35radix_sort_onesweep_config_selectorIiiEEZNS1_34radix_sort_onesweep_global_offsetsIS3_Lb0EPiS7_jNS0_19identity_decomposerEEE10hipError_tT1_T2_PT3_SC_jT4_jjP12ihipStream_tbEUlT_E_NS1_11comp_targetILNS1_3genE9ELNS1_11target_archE1100ELNS1_3gpuE3ELNS1_3repE0EEENS1_52radix_sort_onesweep_histogram_config_static_selectorELNS0_4arch9wavefront6targetE1EEEvSA_,"axG",@progbits,_ZN7rocprim17ROCPRIM_400000_NS6detail17trampoline_kernelINS0_14default_configENS1_35radix_sort_onesweep_config_selectorIiiEEZNS1_34radix_sort_onesweep_global_offsetsIS3_Lb0EPiS7_jNS0_19identity_decomposerEEE10hipError_tT1_T2_PT3_SC_jT4_jjP12ihipStream_tbEUlT_E_NS1_11comp_targetILNS1_3genE9ELNS1_11target_archE1100ELNS1_3gpuE3ELNS1_3repE0EEENS1_52radix_sort_onesweep_histogram_config_static_selectorELNS0_4arch9wavefront6targetE1EEEvSA_,comdat
	.protected	_ZN7rocprim17ROCPRIM_400000_NS6detail17trampoline_kernelINS0_14default_configENS1_35radix_sort_onesweep_config_selectorIiiEEZNS1_34radix_sort_onesweep_global_offsetsIS3_Lb0EPiS7_jNS0_19identity_decomposerEEE10hipError_tT1_T2_PT3_SC_jT4_jjP12ihipStream_tbEUlT_E_NS1_11comp_targetILNS1_3genE9ELNS1_11target_archE1100ELNS1_3gpuE3ELNS1_3repE0EEENS1_52radix_sort_onesweep_histogram_config_static_selectorELNS0_4arch9wavefront6targetE1EEEvSA_ ; -- Begin function _ZN7rocprim17ROCPRIM_400000_NS6detail17trampoline_kernelINS0_14default_configENS1_35radix_sort_onesweep_config_selectorIiiEEZNS1_34radix_sort_onesweep_global_offsetsIS3_Lb0EPiS7_jNS0_19identity_decomposerEEE10hipError_tT1_T2_PT3_SC_jT4_jjP12ihipStream_tbEUlT_E_NS1_11comp_targetILNS1_3genE9ELNS1_11target_archE1100ELNS1_3gpuE3ELNS1_3repE0EEENS1_52radix_sort_onesweep_histogram_config_static_selectorELNS0_4arch9wavefront6targetE1EEEvSA_
	.globl	_ZN7rocprim17ROCPRIM_400000_NS6detail17trampoline_kernelINS0_14default_configENS1_35radix_sort_onesweep_config_selectorIiiEEZNS1_34radix_sort_onesweep_global_offsetsIS3_Lb0EPiS7_jNS0_19identity_decomposerEEE10hipError_tT1_T2_PT3_SC_jT4_jjP12ihipStream_tbEUlT_E_NS1_11comp_targetILNS1_3genE9ELNS1_11target_archE1100ELNS1_3gpuE3ELNS1_3repE0EEENS1_52radix_sort_onesweep_histogram_config_static_selectorELNS0_4arch9wavefront6targetE1EEEvSA_
	.p2align	8
	.type	_ZN7rocprim17ROCPRIM_400000_NS6detail17trampoline_kernelINS0_14default_configENS1_35radix_sort_onesweep_config_selectorIiiEEZNS1_34radix_sort_onesweep_global_offsetsIS3_Lb0EPiS7_jNS0_19identity_decomposerEEE10hipError_tT1_T2_PT3_SC_jT4_jjP12ihipStream_tbEUlT_E_NS1_11comp_targetILNS1_3genE9ELNS1_11target_archE1100ELNS1_3gpuE3ELNS1_3repE0EEENS1_52radix_sort_onesweep_histogram_config_static_selectorELNS0_4arch9wavefront6targetE1EEEvSA_,@function
_ZN7rocprim17ROCPRIM_400000_NS6detail17trampoline_kernelINS0_14default_configENS1_35radix_sort_onesweep_config_selectorIiiEEZNS1_34radix_sort_onesweep_global_offsetsIS3_Lb0EPiS7_jNS0_19identity_decomposerEEE10hipError_tT1_T2_PT3_SC_jT4_jjP12ihipStream_tbEUlT_E_NS1_11comp_targetILNS1_3genE9ELNS1_11target_archE1100ELNS1_3gpuE3ELNS1_3repE0EEENS1_52radix_sort_onesweep_histogram_config_static_selectorELNS0_4arch9wavefront6targetE1EEEvSA_: ; @_ZN7rocprim17ROCPRIM_400000_NS6detail17trampoline_kernelINS0_14default_configENS1_35radix_sort_onesweep_config_selectorIiiEEZNS1_34radix_sort_onesweep_global_offsetsIS3_Lb0EPiS7_jNS0_19identity_decomposerEEE10hipError_tT1_T2_PT3_SC_jT4_jjP12ihipStream_tbEUlT_E_NS1_11comp_targetILNS1_3genE9ELNS1_11target_archE1100ELNS1_3gpuE3ELNS1_3repE0EEENS1_52radix_sort_onesweep_histogram_config_static_selectorELNS0_4arch9wavefront6targetE1EEEvSA_
; %bb.0:
	.section	.rodata,"a",@progbits
	.p2align	6, 0x0
	.amdhsa_kernel _ZN7rocprim17ROCPRIM_400000_NS6detail17trampoline_kernelINS0_14default_configENS1_35radix_sort_onesweep_config_selectorIiiEEZNS1_34radix_sort_onesweep_global_offsetsIS3_Lb0EPiS7_jNS0_19identity_decomposerEEE10hipError_tT1_T2_PT3_SC_jT4_jjP12ihipStream_tbEUlT_E_NS1_11comp_targetILNS1_3genE9ELNS1_11target_archE1100ELNS1_3gpuE3ELNS1_3repE0EEENS1_52radix_sort_onesweep_histogram_config_static_selectorELNS0_4arch9wavefront6targetE1EEEvSA_
		.amdhsa_group_segment_fixed_size 0
		.amdhsa_private_segment_fixed_size 0
		.amdhsa_kernarg_size 40
		.amdhsa_user_sgpr_count 6
		.amdhsa_user_sgpr_private_segment_buffer 1
		.amdhsa_user_sgpr_dispatch_ptr 0
		.amdhsa_user_sgpr_queue_ptr 0
		.amdhsa_user_sgpr_kernarg_segment_ptr 1
		.amdhsa_user_sgpr_dispatch_id 0
		.amdhsa_user_sgpr_flat_scratch_init 0
		.amdhsa_user_sgpr_kernarg_preload_length 0
		.amdhsa_user_sgpr_kernarg_preload_offset 0
		.amdhsa_user_sgpr_private_segment_size 0
		.amdhsa_uses_dynamic_stack 0
		.amdhsa_system_sgpr_private_segment_wavefront_offset 0
		.amdhsa_system_sgpr_workgroup_id_x 1
		.amdhsa_system_sgpr_workgroup_id_y 0
		.amdhsa_system_sgpr_workgroup_id_z 0
		.amdhsa_system_sgpr_workgroup_info 0
		.amdhsa_system_vgpr_workitem_id 0
		.amdhsa_next_free_vgpr 1
		.amdhsa_next_free_sgpr 0
		.amdhsa_accum_offset 4
		.amdhsa_reserve_vcc 0
		.amdhsa_reserve_flat_scratch 0
		.amdhsa_float_round_mode_32 0
		.amdhsa_float_round_mode_16_64 0
		.amdhsa_float_denorm_mode_32 3
		.amdhsa_float_denorm_mode_16_64 3
		.amdhsa_dx10_clamp 1
		.amdhsa_ieee_mode 1
		.amdhsa_fp16_overflow 0
		.amdhsa_tg_split 0
		.amdhsa_exception_fp_ieee_invalid_op 0
		.amdhsa_exception_fp_denorm_src 0
		.amdhsa_exception_fp_ieee_div_zero 0
		.amdhsa_exception_fp_ieee_overflow 0
		.amdhsa_exception_fp_ieee_underflow 0
		.amdhsa_exception_fp_ieee_inexact 0
		.amdhsa_exception_int_div_zero 0
	.end_amdhsa_kernel
	.section	.text._ZN7rocprim17ROCPRIM_400000_NS6detail17trampoline_kernelINS0_14default_configENS1_35radix_sort_onesweep_config_selectorIiiEEZNS1_34radix_sort_onesweep_global_offsetsIS3_Lb0EPiS7_jNS0_19identity_decomposerEEE10hipError_tT1_T2_PT3_SC_jT4_jjP12ihipStream_tbEUlT_E_NS1_11comp_targetILNS1_3genE9ELNS1_11target_archE1100ELNS1_3gpuE3ELNS1_3repE0EEENS1_52radix_sort_onesweep_histogram_config_static_selectorELNS0_4arch9wavefront6targetE1EEEvSA_,"axG",@progbits,_ZN7rocprim17ROCPRIM_400000_NS6detail17trampoline_kernelINS0_14default_configENS1_35radix_sort_onesweep_config_selectorIiiEEZNS1_34radix_sort_onesweep_global_offsetsIS3_Lb0EPiS7_jNS0_19identity_decomposerEEE10hipError_tT1_T2_PT3_SC_jT4_jjP12ihipStream_tbEUlT_E_NS1_11comp_targetILNS1_3genE9ELNS1_11target_archE1100ELNS1_3gpuE3ELNS1_3repE0EEENS1_52radix_sort_onesweep_histogram_config_static_selectorELNS0_4arch9wavefront6targetE1EEEvSA_,comdat
.Lfunc_end356:
	.size	_ZN7rocprim17ROCPRIM_400000_NS6detail17trampoline_kernelINS0_14default_configENS1_35radix_sort_onesweep_config_selectorIiiEEZNS1_34radix_sort_onesweep_global_offsetsIS3_Lb0EPiS7_jNS0_19identity_decomposerEEE10hipError_tT1_T2_PT3_SC_jT4_jjP12ihipStream_tbEUlT_E_NS1_11comp_targetILNS1_3genE9ELNS1_11target_archE1100ELNS1_3gpuE3ELNS1_3repE0EEENS1_52radix_sort_onesweep_histogram_config_static_selectorELNS0_4arch9wavefront6targetE1EEEvSA_, .Lfunc_end356-_ZN7rocprim17ROCPRIM_400000_NS6detail17trampoline_kernelINS0_14default_configENS1_35radix_sort_onesweep_config_selectorIiiEEZNS1_34radix_sort_onesweep_global_offsetsIS3_Lb0EPiS7_jNS0_19identity_decomposerEEE10hipError_tT1_T2_PT3_SC_jT4_jjP12ihipStream_tbEUlT_E_NS1_11comp_targetILNS1_3genE9ELNS1_11target_archE1100ELNS1_3gpuE3ELNS1_3repE0EEENS1_52radix_sort_onesweep_histogram_config_static_selectorELNS0_4arch9wavefront6targetE1EEEvSA_
                                        ; -- End function
	.section	.AMDGPU.csdata,"",@progbits
; Kernel info:
; codeLenInByte = 0
; NumSgprs: 4
; NumVgprs: 0
; NumAgprs: 0
; TotalNumVgprs: 0
; ScratchSize: 0
; MemoryBound: 0
; FloatMode: 240
; IeeeMode: 1
; LDSByteSize: 0 bytes/workgroup (compile time only)
; SGPRBlocks: 0
; VGPRBlocks: 0
; NumSGPRsForWavesPerEU: 4
; NumVGPRsForWavesPerEU: 1
; AccumOffset: 4
; Occupancy: 8
; WaveLimiterHint : 0
; COMPUTE_PGM_RSRC2:SCRATCH_EN: 0
; COMPUTE_PGM_RSRC2:USER_SGPR: 6
; COMPUTE_PGM_RSRC2:TRAP_HANDLER: 0
; COMPUTE_PGM_RSRC2:TGID_X_EN: 1
; COMPUTE_PGM_RSRC2:TGID_Y_EN: 0
; COMPUTE_PGM_RSRC2:TGID_Z_EN: 0
; COMPUTE_PGM_RSRC2:TIDIG_COMP_CNT: 0
; COMPUTE_PGM_RSRC3_GFX90A:ACCUM_OFFSET: 0
; COMPUTE_PGM_RSRC3_GFX90A:TG_SPLIT: 0
	.section	.text._ZN7rocprim17ROCPRIM_400000_NS6detail17trampoline_kernelINS0_14default_configENS1_35radix_sort_onesweep_config_selectorIiiEEZNS1_34radix_sort_onesweep_global_offsetsIS3_Lb0EPiS7_jNS0_19identity_decomposerEEE10hipError_tT1_T2_PT3_SC_jT4_jjP12ihipStream_tbEUlT_E_NS1_11comp_targetILNS1_3genE8ELNS1_11target_archE1030ELNS1_3gpuE2ELNS1_3repE0EEENS1_52radix_sort_onesweep_histogram_config_static_selectorELNS0_4arch9wavefront6targetE1EEEvSA_,"axG",@progbits,_ZN7rocprim17ROCPRIM_400000_NS6detail17trampoline_kernelINS0_14default_configENS1_35radix_sort_onesweep_config_selectorIiiEEZNS1_34radix_sort_onesweep_global_offsetsIS3_Lb0EPiS7_jNS0_19identity_decomposerEEE10hipError_tT1_T2_PT3_SC_jT4_jjP12ihipStream_tbEUlT_E_NS1_11comp_targetILNS1_3genE8ELNS1_11target_archE1030ELNS1_3gpuE2ELNS1_3repE0EEENS1_52radix_sort_onesweep_histogram_config_static_selectorELNS0_4arch9wavefront6targetE1EEEvSA_,comdat
	.protected	_ZN7rocprim17ROCPRIM_400000_NS6detail17trampoline_kernelINS0_14default_configENS1_35radix_sort_onesweep_config_selectorIiiEEZNS1_34radix_sort_onesweep_global_offsetsIS3_Lb0EPiS7_jNS0_19identity_decomposerEEE10hipError_tT1_T2_PT3_SC_jT4_jjP12ihipStream_tbEUlT_E_NS1_11comp_targetILNS1_3genE8ELNS1_11target_archE1030ELNS1_3gpuE2ELNS1_3repE0EEENS1_52radix_sort_onesweep_histogram_config_static_selectorELNS0_4arch9wavefront6targetE1EEEvSA_ ; -- Begin function _ZN7rocprim17ROCPRIM_400000_NS6detail17trampoline_kernelINS0_14default_configENS1_35radix_sort_onesweep_config_selectorIiiEEZNS1_34radix_sort_onesweep_global_offsetsIS3_Lb0EPiS7_jNS0_19identity_decomposerEEE10hipError_tT1_T2_PT3_SC_jT4_jjP12ihipStream_tbEUlT_E_NS1_11comp_targetILNS1_3genE8ELNS1_11target_archE1030ELNS1_3gpuE2ELNS1_3repE0EEENS1_52radix_sort_onesweep_histogram_config_static_selectorELNS0_4arch9wavefront6targetE1EEEvSA_
	.globl	_ZN7rocprim17ROCPRIM_400000_NS6detail17trampoline_kernelINS0_14default_configENS1_35radix_sort_onesweep_config_selectorIiiEEZNS1_34radix_sort_onesweep_global_offsetsIS3_Lb0EPiS7_jNS0_19identity_decomposerEEE10hipError_tT1_T2_PT3_SC_jT4_jjP12ihipStream_tbEUlT_E_NS1_11comp_targetILNS1_3genE8ELNS1_11target_archE1030ELNS1_3gpuE2ELNS1_3repE0EEENS1_52radix_sort_onesweep_histogram_config_static_selectorELNS0_4arch9wavefront6targetE1EEEvSA_
	.p2align	8
	.type	_ZN7rocprim17ROCPRIM_400000_NS6detail17trampoline_kernelINS0_14default_configENS1_35radix_sort_onesweep_config_selectorIiiEEZNS1_34radix_sort_onesweep_global_offsetsIS3_Lb0EPiS7_jNS0_19identity_decomposerEEE10hipError_tT1_T2_PT3_SC_jT4_jjP12ihipStream_tbEUlT_E_NS1_11comp_targetILNS1_3genE8ELNS1_11target_archE1030ELNS1_3gpuE2ELNS1_3repE0EEENS1_52radix_sort_onesweep_histogram_config_static_selectorELNS0_4arch9wavefront6targetE1EEEvSA_,@function
_ZN7rocprim17ROCPRIM_400000_NS6detail17trampoline_kernelINS0_14default_configENS1_35radix_sort_onesweep_config_selectorIiiEEZNS1_34radix_sort_onesweep_global_offsetsIS3_Lb0EPiS7_jNS0_19identity_decomposerEEE10hipError_tT1_T2_PT3_SC_jT4_jjP12ihipStream_tbEUlT_E_NS1_11comp_targetILNS1_3genE8ELNS1_11target_archE1030ELNS1_3gpuE2ELNS1_3repE0EEENS1_52radix_sort_onesweep_histogram_config_static_selectorELNS0_4arch9wavefront6targetE1EEEvSA_: ; @_ZN7rocprim17ROCPRIM_400000_NS6detail17trampoline_kernelINS0_14default_configENS1_35radix_sort_onesweep_config_selectorIiiEEZNS1_34radix_sort_onesweep_global_offsetsIS3_Lb0EPiS7_jNS0_19identity_decomposerEEE10hipError_tT1_T2_PT3_SC_jT4_jjP12ihipStream_tbEUlT_E_NS1_11comp_targetILNS1_3genE8ELNS1_11target_archE1030ELNS1_3gpuE2ELNS1_3repE0EEENS1_52radix_sort_onesweep_histogram_config_static_selectorELNS0_4arch9wavefront6targetE1EEEvSA_
; %bb.0:
	.section	.rodata,"a",@progbits
	.p2align	6, 0x0
	.amdhsa_kernel _ZN7rocprim17ROCPRIM_400000_NS6detail17trampoline_kernelINS0_14default_configENS1_35radix_sort_onesweep_config_selectorIiiEEZNS1_34radix_sort_onesweep_global_offsetsIS3_Lb0EPiS7_jNS0_19identity_decomposerEEE10hipError_tT1_T2_PT3_SC_jT4_jjP12ihipStream_tbEUlT_E_NS1_11comp_targetILNS1_3genE8ELNS1_11target_archE1030ELNS1_3gpuE2ELNS1_3repE0EEENS1_52radix_sort_onesweep_histogram_config_static_selectorELNS0_4arch9wavefront6targetE1EEEvSA_
		.amdhsa_group_segment_fixed_size 0
		.amdhsa_private_segment_fixed_size 0
		.amdhsa_kernarg_size 40
		.amdhsa_user_sgpr_count 6
		.amdhsa_user_sgpr_private_segment_buffer 1
		.amdhsa_user_sgpr_dispatch_ptr 0
		.amdhsa_user_sgpr_queue_ptr 0
		.amdhsa_user_sgpr_kernarg_segment_ptr 1
		.amdhsa_user_sgpr_dispatch_id 0
		.amdhsa_user_sgpr_flat_scratch_init 0
		.amdhsa_user_sgpr_kernarg_preload_length 0
		.amdhsa_user_sgpr_kernarg_preload_offset 0
		.amdhsa_user_sgpr_private_segment_size 0
		.amdhsa_uses_dynamic_stack 0
		.amdhsa_system_sgpr_private_segment_wavefront_offset 0
		.amdhsa_system_sgpr_workgroup_id_x 1
		.amdhsa_system_sgpr_workgroup_id_y 0
		.amdhsa_system_sgpr_workgroup_id_z 0
		.amdhsa_system_sgpr_workgroup_info 0
		.amdhsa_system_vgpr_workitem_id 0
		.amdhsa_next_free_vgpr 1
		.amdhsa_next_free_sgpr 0
		.amdhsa_accum_offset 4
		.amdhsa_reserve_vcc 0
		.amdhsa_reserve_flat_scratch 0
		.amdhsa_float_round_mode_32 0
		.amdhsa_float_round_mode_16_64 0
		.amdhsa_float_denorm_mode_32 3
		.amdhsa_float_denorm_mode_16_64 3
		.amdhsa_dx10_clamp 1
		.amdhsa_ieee_mode 1
		.amdhsa_fp16_overflow 0
		.amdhsa_tg_split 0
		.amdhsa_exception_fp_ieee_invalid_op 0
		.amdhsa_exception_fp_denorm_src 0
		.amdhsa_exception_fp_ieee_div_zero 0
		.amdhsa_exception_fp_ieee_overflow 0
		.amdhsa_exception_fp_ieee_underflow 0
		.amdhsa_exception_fp_ieee_inexact 0
		.amdhsa_exception_int_div_zero 0
	.end_amdhsa_kernel
	.section	.text._ZN7rocprim17ROCPRIM_400000_NS6detail17trampoline_kernelINS0_14default_configENS1_35radix_sort_onesweep_config_selectorIiiEEZNS1_34radix_sort_onesweep_global_offsetsIS3_Lb0EPiS7_jNS0_19identity_decomposerEEE10hipError_tT1_T2_PT3_SC_jT4_jjP12ihipStream_tbEUlT_E_NS1_11comp_targetILNS1_3genE8ELNS1_11target_archE1030ELNS1_3gpuE2ELNS1_3repE0EEENS1_52radix_sort_onesweep_histogram_config_static_selectorELNS0_4arch9wavefront6targetE1EEEvSA_,"axG",@progbits,_ZN7rocprim17ROCPRIM_400000_NS6detail17trampoline_kernelINS0_14default_configENS1_35radix_sort_onesweep_config_selectorIiiEEZNS1_34radix_sort_onesweep_global_offsetsIS3_Lb0EPiS7_jNS0_19identity_decomposerEEE10hipError_tT1_T2_PT3_SC_jT4_jjP12ihipStream_tbEUlT_E_NS1_11comp_targetILNS1_3genE8ELNS1_11target_archE1030ELNS1_3gpuE2ELNS1_3repE0EEENS1_52radix_sort_onesweep_histogram_config_static_selectorELNS0_4arch9wavefront6targetE1EEEvSA_,comdat
.Lfunc_end357:
	.size	_ZN7rocprim17ROCPRIM_400000_NS6detail17trampoline_kernelINS0_14default_configENS1_35radix_sort_onesweep_config_selectorIiiEEZNS1_34radix_sort_onesweep_global_offsetsIS3_Lb0EPiS7_jNS0_19identity_decomposerEEE10hipError_tT1_T2_PT3_SC_jT4_jjP12ihipStream_tbEUlT_E_NS1_11comp_targetILNS1_3genE8ELNS1_11target_archE1030ELNS1_3gpuE2ELNS1_3repE0EEENS1_52radix_sort_onesweep_histogram_config_static_selectorELNS0_4arch9wavefront6targetE1EEEvSA_, .Lfunc_end357-_ZN7rocprim17ROCPRIM_400000_NS6detail17trampoline_kernelINS0_14default_configENS1_35radix_sort_onesweep_config_selectorIiiEEZNS1_34radix_sort_onesweep_global_offsetsIS3_Lb0EPiS7_jNS0_19identity_decomposerEEE10hipError_tT1_T2_PT3_SC_jT4_jjP12ihipStream_tbEUlT_E_NS1_11comp_targetILNS1_3genE8ELNS1_11target_archE1030ELNS1_3gpuE2ELNS1_3repE0EEENS1_52radix_sort_onesweep_histogram_config_static_selectorELNS0_4arch9wavefront6targetE1EEEvSA_
                                        ; -- End function
	.section	.AMDGPU.csdata,"",@progbits
; Kernel info:
; codeLenInByte = 0
; NumSgprs: 4
; NumVgprs: 0
; NumAgprs: 0
; TotalNumVgprs: 0
; ScratchSize: 0
; MemoryBound: 0
; FloatMode: 240
; IeeeMode: 1
; LDSByteSize: 0 bytes/workgroup (compile time only)
; SGPRBlocks: 0
; VGPRBlocks: 0
; NumSGPRsForWavesPerEU: 4
; NumVGPRsForWavesPerEU: 1
; AccumOffset: 4
; Occupancy: 8
; WaveLimiterHint : 0
; COMPUTE_PGM_RSRC2:SCRATCH_EN: 0
; COMPUTE_PGM_RSRC2:USER_SGPR: 6
; COMPUTE_PGM_RSRC2:TRAP_HANDLER: 0
; COMPUTE_PGM_RSRC2:TGID_X_EN: 1
; COMPUTE_PGM_RSRC2:TGID_Y_EN: 0
; COMPUTE_PGM_RSRC2:TGID_Z_EN: 0
; COMPUTE_PGM_RSRC2:TIDIG_COMP_CNT: 0
; COMPUTE_PGM_RSRC3_GFX90A:ACCUM_OFFSET: 0
; COMPUTE_PGM_RSRC3_GFX90A:TG_SPLIT: 0
	.section	.text._ZN7rocprim17ROCPRIM_400000_NS6detail17trampoline_kernelINS0_14default_configENS1_35radix_sort_onesweep_config_selectorIiiEEZNS1_34radix_sort_onesweep_global_offsetsIS3_Lb0EPiS7_jNS0_19identity_decomposerEEE10hipError_tT1_T2_PT3_SC_jT4_jjP12ihipStream_tbEUlT_E0_NS1_11comp_targetILNS1_3genE0ELNS1_11target_archE4294967295ELNS1_3gpuE0ELNS1_3repE0EEENS1_52radix_sort_onesweep_histogram_config_static_selectorELNS0_4arch9wavefront6targetE1EEEvSA_,"axG",@progbits,_ZN7rocprim17ROCPRIM_400000_NS6detail17trampoline_kernelINS0_14default_configENS1_35radix_sort_onesweep_config_selectorIiiEEZNS1_34radix_sort_onesweep_global_offsetsIS3_Lb0EPiS7_jNS0_19identity_decomposerEEE10hipError_tT1_T2_PT3_SC_jT4_jjP12ihipStream_tbEUlT_E0_NS1_11comp_targetILNS1_3genE0ELNS1_11target_archE4294967295ELNS1_3gpuE0ELNS1_3repE0EEENS1_52radix_sort_onesweep_histogram_config_static_selectorELNS0_4arch9wavefront6targetE1EEEvSA_,comdat
	.protected	_ZN7rocprim17ROCPRIM_400000_NS6detail17trampoline_kernelINS0_14default_configENS1_35radix_sort_onesweep_config_selectorIiiEEZNS1_34radix_sort_onesweep_global_offsetsIS3_Lb0EPiS7_jNS0_19identity_decomposerEEE10hipError_tT1_T2_PT3_SC_jT4_jjP12ihipStream_tbEUlT_E0_NS1_11comp_targetILNS1_3genE0ELNS1_11target_archE4294967295ELNS1_3gpuE0ELNS1_3repE0EEENS1_52radix_sort_onesweep_histogram_config_static_selectorELNS0_4arch9wavefront6targetE1EEEvSA_ ; -- Begin function _ZN7rocprim17ROCPRIM_400000_NS6detail17trampoline_kernelINS0_14default_configENS1_35radix_sort_onesweep_config_selectorIiiEEZNS1_34radix_sort_onesweep_global_offsetsIS3_Lb0EPiS7_jNS0_19identity_decomposerEEE10hipError_tT1_T2_PT3_SC_jT4_jjP12ihipStream_tbEUlT_E0_NS1_11comp_targetILNS1_3genE0ELNS1_11target_archE4294967295ELNS1_3gpuE0ELNS1_3repE0EEENS1_52radix_sort_onesweep_histogram_config_static_selectorELNS0_4arch9wavefront6targetE1EEEvSA_
	.globl	_ZN7rocprim17ROCPRIM_400000_NS6detail17trampoline_kernelINS0_14default_configENS1_35radix_sort_onesweep_config_selectorIiiEEZNS1_34radix_sort_onesweep_global_offsetsIS3_Lb0EPiS7_jNS0_19identity_decomposerEEE10hipError_tT1_T2_PT3_SC_jT4_jjP12ihipStream_tbEUlT_E0_NS1_11comp_targetILNS1_3genE0ELNS1_11target_archE4294967295ELNS1_3gpuE0ELNS1_3repE0EEENS1_52radix_sort_onesweep_histogram_config_static_selectorELNS0_4arch9wavefront6targetE1EEEvSA_
	.p2align	8
	.type	_ZN7rocprim17ROCPRIM_400000_NS6detail17trampoline_kernelINS0_14default_configENS1_35radix_sort_onesweep_config_selectorIiiEEZNS1_34radix_sort_onesweep_global_offsetsIS3_Lb0EPiS7_jNS0_19identity_decomposerEEE10hipError_tT1_T2_PT3_SC_jT4_jjP12ihipStream_tbEUlT_E0_NS1_11comp_targetILNS1_3genE0ELNS1_11target_archE4294967295ELNS1_3gpuE0ELNS1_3repE0EEENS1_52radix_sort_onesweep_histogram_config_static_selectorELNS0_4arch9wavefront6targetE1EEEvSA_,@function
_ZN7rocprim17ROCPRIM_400000_NS6detail17trampoline_kernelINS0_14default_configENS1_35radix_sort_onesweep_config_selectorIiiEEZNS1_34radix_sort_onesweep_global_offsetsIS3_Lb0EPiS7_jNS0_19identity_decomposerEEE10hipError_tT1_T2_PT3_SC_jT4_jjP12ihipStream_tbEUlT_E0_NS1_11comp_targetILNS1_3genE0ELNS1_11target_archE4294967295ELNS1_3gpuE0ELNS1_3repE0EEENS1_52radix_sort_onesweep_histogram_config_static_selectorELNS0_4arch9wavefront6targetE1EEEvSA_: ; @_ZN7rocprim17ROCPRIM_400000_NS6detail17trampoline_kernelINS0_14default_configENS1_35radix_sort_onesweep_config_selectorIiiEEZNS1_34radix_sort_onesweep_global_offsetsIS3_Lb0EPiS7_jNS0_19identity_decomposerEEE10hipError_tT1_T2_PT3_SC_jT4_jjP12ihipStream_tbEUlT_E0_NS1_11comp_targetILNS1_3genE0ELNS1_11target_archE4294967295ELNS1_3gpuE0ELNS1_3repE0EEENS1_52radix_sort_onesweep_histogram_config_static_selectorELNS0_4arch9wavefront6targetE1EEEvSA_
; %bb.0:
	.section	.rodata,"a",@progbits
	.p2align	6, 0x0
	.amdhsa_kernel _ZN7rocprim17ROCPRIM_400000_NS6detail17trampoline_kernelINS0_14default_configENS1_35radix_sort_onesweep_config_selectorIiiEEZNS1_34radix_sort_onesweep_global_offsetsIS3_Lb0EPiS7_jNS0_19identity_decomposerEEE10hipError_tT1_T2_PT3_SC_jT4_jjP12ihipStream_tbEUlT_E0_NS1_11comp_targetILNS1_3genE0ELNS1_11target_archE4294967295ELNS1_3gpuE0ELNS1_3repE0EEENS1_52radix_sort_onesweep_histogram_config_static_selectorELNS0_4arch9wavefront6targetE1EEEvSA_
		.amdhsa_group_segment_fixed_size 0
		.amdhsa_private_segment_fixed_size 0
		.amdhsa_kernarg_size 8
		.amdhsa_user_sgpr_count 6
		.amdhsa_user_sgpr_private_segment_buffer 1
		.amdhsa_user_sgpr_dispatch_ptr 0
		.amdhsa_user_sgpr_queue_ptr 0
		.amdhsa_user_sgpr_kernarg_segment_ptr 1
		.amdhsa_user_sgpr_dispatch_id 0
		.amdhsa_user_sgpr_flat_scratch_init 0
		.amdhsa_user_sgpr_kernarg_preload_length 0
		.amdhsa_user_sgpr_kernarg_preload_offset 0
		.amdhsa_user_sgpr_private_segment_size 0
		.amdhsa_uses_dynamic_stack 0
		.amdhsa_system_sgpr_private_segment_wavefront_offset 0
		.amdhsa_system_sgpr_workgroup_id_x 1
		.amdhsa_system_sgpr_workgroup_id_y 0
		.amdhsa_system_sgpr_workgroup_id_z 0
		.amdhsa_system_sgpr_workgroup_info 0
		.amdhsa_system_vgpr_workitem_id 0
		.amdhsa_next_free_vgpr 1
		.amdhsa_next_free_sgpr 0
		.amdhsa_accum_offset 4
		.amdhsa_reserve_vcc 0
		.amdhsa_reserve_flat_scratch 0
		.amdhsa_float_round_mode_32 0
		.amdhsa_float_round_mode_16_64 0
		.amdhsa_float_denorm_mode_32 3
		.amdhsa_float_denorm_mode_16_64 3
		.amdhsa_dx10_clamp 1
		.amdhsa_ieee_mode 1
		.amdhsa_fp16_overflow 0
		.amdhsa_tg_split 0
		.amdhsa_exception_fp_ieee_invalid_op 0
		.amdhsa_exception_fp_denorm_src 0
		.amdhsa_exception_fp_ieee_div_zero 0
		.amdhsa_exception_fp_ieee_overflow 0
		.amdhsa_exception_fp_ieee_underflow 0
		.amdhsa_exception_fp_ieee_inexact 0
		.amdhsa_exception_int_div_zero 0
	.end_amdhsa_kernel
	.section	.text._ZN7rocprim17ROCPRIM_400000_NS6detail17trampoline_kernelINS0_14default_configENS1_35radix_sort_onesweep_config_selectorIiiEEZNS1_34radix_sort_onesweep_global_offsetsIS3_Lb0EPiS7_jNS0_19identity_decomposerEEE10hipError_tT1_T2_PT3_SC_jT4_jjP12ihipStream_tbEUlT_E0_NS1_11comp_targetILNS1_3genE0ELNS1_11target_archE4294967295ELNS1_3gpuE0ELNS1_3repE0EEENS1_52radix_sort_onesweep_histogram_config_static_selectorELNS0_4arch9wavefront6targetE1EEEvSA_,"axG",@progbits,_ZN7rocprim17ROCPRIM_400000_NS6detail17trampoline_kernelINS0_14default_configENS1_35radix_sort_onesweep_config_selectorIiiEEZNS1_34radix_sort_onesweep_global_offsetsIS3_Lb0EPiS7_jNS0_19identity_decomposerEEE10hipError_tT1_T2_PT3_SC_jT4_jjP12ihipStream_tbEUlT_E0_NS1_11comp_targetILNS1_3genE0ELNS1_11target_archE4294967295ELNS1_3gpuE0ELNS1_3repE0EEENS1_52radix_sort_onesweep_histogram_config_static_selectorELNS0_4arch9wavefront6targetE1EEEvSA_,comdat
.Lfunc_end358:
	.size	_ZN7rocprim17ROCPRIM_400000_NS6detail17trampoline_kernelINS0_14default_configENS1_35radix_sort_onesweep_config_selectorIiiEEZNS1_34radix_sort_onesweep_global_offsetsIS3_Lb0EPiS7_jNS0_19identity_decomposerEEE10hipError_tT1_T2_PT3_SC_jT4_jjP12ihipStream_tbEUlT_E0_NS1_11comp_targetILNS1_3genE0ELNS1_11target_archE4294967295ELNS1_3gpuE0ELNS1_3repE0EEENS1_52radix_sort_onesweep_histogram_config_static_selectorELNS0_4arch9wavefront6targetE1EEEvSA_, .Lfunc_end358-_ZN7rocprim17ROCPRIM_400000_NS6detail17trampoline_kernelINS0_14default_configENS1_35radix_sort_onesweep_config_selectorIiiEEZNS1_34radix_sort_onesweep_global_offsetsIS3_Lb0EPiS7_jNS0_19identity_decomposerEEE10hipError_tT1_T2_PT3_SC_jT4_jjP12ihipStream_tbEUlT_E0_NS1_11comp_targetILNS1_3genE0ELNS1_11target_archE4294967295ELNS1_3gpuE0ELNS1_3repE0EEENS1_52radix_sort_onesweep_histogram_config_static_selectorELNS0_4arch9wavefront6targetE1EEEvSA_
                                        ; -- End function
	.section	.AMDGPU.csdata,"",@progbits
; Kernel info:
; codeLenInByte = 0
; NumSgprs: 4
; NumVgprs: 0
; NumAgprs: 0
; TotalNumVgprs: 0
; ScratchSize: 0
; MemoryBound: 0
; FloatMode: 240
; IeeeMode: 1
; LDSByteSize: 0 bytes/workgroup (compile time only)
; SGPRBlocks: 0
; VGPRBlocks: 0
; NumSGPRsForWavesPerEU: 4
; NumVGPRsForWavesPerEU: 1
; AccumOffset: 4
; Occupancy: 8
; WaveLimiterHint : 0
; COMPUTE_PGM_RSRC2:SCRATCH_EN: 0
; COMPUTE_PGM_RSRC2:USER_SGPR: 6
; COMPUTE_PGM_RSRC2:TRAP_HANDLER: 0
; COMPUTE_PGM_RSRC2:TGID_X_EN: 1
; COMPUTE_PGM_RSRC2:TGID_Y_EN: 0
; COMPUTE_PGM_RSRC2:TGID_Z_EN: 0
; COMPUTE_PGM_RSRC2:TIDIG_COMP_CNT: 0
; COMPUTE_PGM_RSRC3_GFX90A:ACCUM_OFFSET: 0
; COMPUTE_PGM_RSRC3_GFX90A:TG_SPLIT: 0
	.section	.text._ZN7rocprim17ROCPRIM_400000_NS6detail17trampoline_kernelINS0_14default_configENS1_35radix_sort_onesweep_config_selectorIiiEEZNS1_34radix_sort_onesweep_global_offsetsIS3_Lb0EPiS7_jNS0_19identity_decomposerEEE10hipError_tT1_T2_PT3_SC_jT4_jjP12ihipStream_tbEUlT_E0_NS1_11comp_targetILNS1_3genE6ELNS1_11target_archE950ELNS1_3gpuE13ELNS1_3repE0EEENS1_52radix_sort_onesweep_histogram_config_static_selectorELNS0_4arch9wavefront6targetE1EEEvSA_,"axG",@progbits,_ZN7rocprim17ROCPRIM_400000_NS6detail17trampoline_kernelINS0_14default_configENS1_35radix_sort_onesweep_config_selectorIiiEEZNS1_34radix_sort_onesweep_global_offsetsIS3_Lb0EPiS7_jNS0_19identity_decomposerEEE10hipError_tT1_T2_PT3_SC_jT4_jjP12ihipStream_tbEUlT_E0_NS1_11comp_targetILNS1_3genE6ELNS1_11target_archE950ELNS1_3gpuE13ELNS1_3repE0EEENS1_52radix_sort_onesweep_histogram_config_static_selectorELNS0_4arch9wavefront6targetE1EEEvSA_,comdat
	.protected	_ZN7rocprim17ROCPRIM_400000_NS6detail17trampoline_kernelINS0_14default_configENS1_35radix_sort_onesweep_config_selectorIiiEEZNS1_34radix_sort_onesweep_global_offsetsIS3_Lb0EPiS7_jNS0_19identity_decomposerEEE10hipError_tT1_T2_PT3_SC_jT4_jjP12ihipStream_tbEUlT_E0_NS1_11comp_targetILNS1_3genE6ELNS1_11target_archE950ELNS1_3gpuE13ELNS1_3repE0EEENS1_52radix_sort_onesweep_histogram_config_static_selectorELNS0_4arch9wavefront6targetE1EEEvSA_ ; -- Begin function _ZN7rocprim17ROCPRIM_400000_NS6detail17trampoline_kernelINS0_14default_configENS1_35radix_sort_onesweep_config_selectorIiiEEZNS1_34radix_sort_onesweep_global_offsetsIS3_Lb0EPiS7_jNS0_19identity_decomposerEEE10hipError_tT1_T2_PT3_SC_jT4_jjP12ihipStream_tbEUlT_E0_NS1_11comp_targetILNS1_3genE6ELNS1_11target_archE950ELNS1_3gpuE13ELNS1_3repE0EEENS1_52radix_sort_onesweep_histogram_config_static_selectorELNS0_4arch9wavefront6targetE1EEEvSA_
	.globl	_ZN7rocprim17ROCPRIM_400000_NS6detail17trampoline_kernelINS0_14default_configENS1_35radix_sort_onesweep_config_selectorIiiEEZNS1_34radix_sort_onesweep_global_offsetsIS3_Lb0EPiS7_jNS0_19identity_decomposerEEE10hipError_tT1_T2_PT3_SC_jT4_jjP12ihipStream_tbEUlT_E0_NS1_11comp_targetILNS1_3genE6ELNS1_11target_archE950ELNS1_3gpuE13ELNS1_3repE0EEENS1_52radix_sort_onesweep_histogram_config_static_selectorELNS0_4arch9wavefront6targetE1EEEvSA_
	.p2align	8
	.type	_ZN7rocprim17ROCPRIM_400000_NS6detail17trampoline_kernelINS0_14default_configENS1_35radix_sort_onesweep_config_selectorIiiEEZNS1_34radix_sort_onesweep_global_offsetsIS3_Lb0EPiS7_jNS0_19identity_decomposerEEE10hipError_tT1_T2_PT3_SC_jT4_jjP12ihipStream_tbEUlT_E0_NS1_11comp_targetILNS1_3genE6ELNS1_11target_archE950ELNS1_3gpuE13ELNS1_3repE0EEENS1_52radix_sort_onesweep_histogram_config_static_selectorELNS0_4arch9wavefront6targetE1EEEvSA_,@function
_ZN7rocprim17ROCPRIM_400000_NS6detail17trampoline_kernelINS0_14default_configENS1_35radix_sort_onesweep_config_selectorIiiEEZNS1_34radix_sort_onesweep_global_offsetsIS3_Lb0EPiS7_jNS0_19identity_decomposerEEE10hipError_tT1_T2_PT3_SC_jT4_jjP12ihipStream_tbEUlT_E0_NS1_11comp_targetILNS1_3genE6ELNS1_11target_archE950ELNS1_3gpuE13ELNS1_3repE0EEENS1_52radix_sort_onesweep_histogram_config_static_selectorELNS0_4arch9wavefront6targetE1EEEvSA_: ; @_ZN7rocprim17ROCPRIM_400000_NS6detail17trampoline_kernelINS0_14default_configENS1_35radix_sort_onesweep_config_selectorIiiEEZNS1_34radix_sort_onesweep_global_offsetsIS3_Lb0EPiS7_jNS0_19identity_decomposerEEE10hipError_tT1_T2_PT3_SC_jT4_jjP12ihipStream_tbEUlT_E0_NS1_11comp_targetILNS1_3genE6ELNS1_11target_archE950ELNS1_3gpuE13ELNS1_3repE0EEENS1_52radix_sort_onesweep_histogram_config_static_selectorELNS0_4arch9wavefront6targetE1EEEvSA_
; %bb.0:
	.section	.rodata,"a",@progbits
	.p2align	6, 0x0
	.amdhsa_kernel _ZN7rocprim17ROCPRIM_400000_NS6detail17trampoline_kernelINS0_14default_configENS1_35radix_sort_onesweep_config_selectorIiiEEZNS1_34radix_sort_onesweep_global_offsetsIS3_Lb0EPiS7_jNS0_19identity_decomposerEEE10hipError_tT1_T2_PT3_SC_jT4_jjP12ihipStream_tbEUlT_E0_NS1_11comp_targetILNS1_3genE6ELNS1_11target_archE950ELNS1_3gpuE13ELNS1_3repE0EEENS1_52radix_sort_onesweep_histogram_config_static_selectorELNS0_4arch9wavefront6targetE1EEEvSA_
		.amdhsa_group_segment_fixed_size 0
		.amdhsa_private_segment_fixed_size 0
		.amdhsa_kernarg_size 8
		.amdhsa_user_sgpr_count 6
		.amdhsa_user_sgpr_private_segment_buffer 1
		.amdhsa_user_sgpr_dispatch_ptr 0
		.amdhsa_user_sgpr_queue_ptr 0
		.amdhsa_user_sgpr_kernarg_segment_ptr 1
		.amdhsa_user_sgpr_dispatch_id 0
		.amdhsa_user_sgpr_flat_scratch_init 0
		.amdhsa_user_sgpr_kernarg_preload_length 0
		.amdhsa_user_sgpr_kernarg_preload_offset 0
		.amdhsa_user_sgpr_private_segment_size 0
		.amdhsa_uses_dynamic_stack 0
		.amdhsa_system_sgpr_private_segment_wavefront_offset 0
		.amdhsa_system_sgpr_workgroup_id_x 1
		.amdhsa_system_sgpr_workgroup_id_y 0
		.amdhsa_system_sgpr_workgroup_id_z 0
		.amdhsa_system_sgpr_workgroup_info 0
		.amdhsa_system_vgpr_workitem_id 0
		.amdhsa_next_free_vgpr 1
		.amdhsa_next_free_sgpr 0
		.amdhsa_accum_offset 4
		.amdhsa_reserve_vcc 0
		.amdhsa_reserve_flat_scratch 0
		.amdhsa_float_round_mode_32 0
		.amdhsa_float_round_mode_16_64 0
		.amdhsa_float_denorm_mode_32 3
		.amdhsa_float_denorm_mode_16_64 3
		.amdhsa_dx10_clamp 1
		.amdhsa_ieee_mode 1
		.amdhsa_fp16_overflow 0
		.amdhsa_tg_split 0
		.amdhsa_exception_fp_ieee_invalid_op 0
		.amdhsa_exception_fp_denorm_src 0
		.amdhsa_exception_fp_ieee_div_zero 0
		.amdhsa_exception_fp_ieee_overflow 0
		.amdhsa_exception_fp_ieee_underflow 0
		.amdhsa_exception_fp_ieee_inexact 0
		.amdhsa_exception_int_div_zero 0
	.end_amdhsa_kernel
	.section	.text._ZN7rocprim17ROCPRIM_400000_NS6detail17trampoline_kernelINS0_14default_configENS1_35radix_sort_onesweep_config_selectorIiiEEZNS1_34radix_sort_onesweep_global_offsetsIS3_Lb0EPiS7_jNS0_19identity_decomposerEEE10hipError_tT1_T2_PT3_SC_jT4_jjP12ihipStream_tbEUlT_E0_NS1_11comp_targetILNS1_3genE6ELNS1_11target_archE950ELNS1_3gpuE13ELNS1_3repE0EEENS1_52radix_sort_onesweep_histogram_config_static_selectorELNS0_4arch9wavefront6targetE1EEEvSA_,"axG",@progbits,_ZN7rocprim17ROCPRIM_400000_NS6detail17trampoline_kernelINS0_14default_configENS1_35radix_sort_onesweep_config_selectorIiiEEZNS1_34radix_sort_onesweep_global_offsetsIS3_Lb0EPiS7_jNS0_19identity_decomposerEEE10hipError_tT1_T2_PT3_SC_jT4_jjP12ihipStream_tbEUlT_E0_NS1_11comp_targetILNS1_3genE6ELNS1_11target_archE950ELNS1_3gpuE13ELNS1_3repE0EEENS1_52radix_sort_onesweep_histogram_config_static_selectorELNS0_4arch9wavefront6targetE1EEEvSA_,comdat
.Lfunc_end359:
	.size	_ZN7rocprim17ROCPRIM_400000_NS6detail17trampoline_kernelINS0_14default_configENS1_35radix_sort_onesweep_config_selectorIiiEEZNS1_34radix_sort_onesweep_global_offsetsIS3_Lb0EPiS7_jNS0_19identity_decomposerEEE10hipError_tT1_T2_PT3_SC_jT4_jjP12ihipStream_tbEUlT_E0_NS1_11comp_targetILNS1_3genE6ELNS1_11target_archE950ELNS1_3gpuE13ELNS1_3repE0EEENS1_52radix_sort_onesweep_histogram_config_static_selectorELNS0_4arch9wavefront6targetE1EEEvSA_, .Lfunc_end359-_ZN7rocprim17ROCPRIM_400000_NS6detail17trampoline_kernelINS0_14default_configENS1_35radix_sort_onesweep_config_selectorIiiEEZNS1_34radix_sort_onesweep_global_offsetsIS3_Lb0EPiS7_jNS0_19identity_decomposerEEE10hipError_tT1_T2_PT3_SC_jT4_jjP12ihipStream_tbEUlT_E0_NS1_11comp_targetILNS1_3genE6ELNS1_11target_archE950ELNS1_3gpuE13ELNS1_3repE0EEENS1_52radix_sort_onesweep_histogram_config_static_selectorELNS0_4arch9wavefront6targetE1EEEvSA_
                                        ; -- End function
	.section	.AMDGPU.csdata,"",@progbits
; Kernel info:
; codeLenInByte = 0
; NumSgprs: 4
; NumVgprs: 0
; NumAgprs: 0
; TotalNumVgprs: 0
; ScratchSize: 0
; MemoryBound: 0
; FloatMode: 240
; IeeeMode: 1
; LDSByteSize: 0 bytes/workgroup (compile time only)
; SGPRBlocks: 0
; VGPRBlocks: 0
; NumSGPRsForWavesPerEU: 4
; NumVGPRsForWavesPerEU: 1
; AccumOffset: 4
; Occupancy: 8
; WaveLimiterHint : 0
; COMPUTE_PGM_RSRC2:SCRATCH_EN: 0
; COMPUTE_PGM_RSRC2:USER_SGPR: 6
; COMPUTE_PGM_RSRC2:TRAP_HANDLER: 0
; COMPUTE_PGM_RSRC2:TGID_X_EN: 1
; COMPUTE_PGM_RSRC2:TGID_Y_EN: 0
; COMPUTE_PGM_RSRC2:TGID_Z_EN: 0
; COMPUTE_PGM_RSRC2:TIDIG_COMP_CNT: 0
; COMPUTE_PGM_RSRC3_GFX90A:ACCUM_OFFSET: 0
; COMPUTE_PGM_RSRC3_GFX90A:TG_SPLIT: 0
	.section	.text._ZN7rocprim17ROCPRIM_400000_NS6detail17trampoline_kernelINS0_14default_configENS1_35radix_sort_onesweep_config_selectorIiiEEZNS1_34radix_sort_onesweep_global_offsetsIS3_Lb0EPiS7_jNS0_19identity_decomposerEEE10hipError_tT1_T2_PT3_SC_jT4_jjP12ihipStream_tbEUlT_E0_NS1_11comp_targetILNS1_3genE5ELNS1_11target_archE942ELNS1_3gpuE9ELNS1_3repE0EEENS1_52radix_sort_onesweep_histogram_config_static_selectorELNS0_4arch9wavefront6targetE1EEEvSA_,"axG",@progbits,_ZN7rocprim17ROCPRIM_400000_NS6detail17trampoline_kernelINS0_14default_configENS1_35radix_sort_onesweep_config_selectorIiiEEZNS1_34radix_sort_onesweep_global_offsetsIS3_Lb0EPiS7_jNS0_19identity_decomposerEEE10hipError_tT1_T2_PT3_SC_jT4_jjP12ihipStream_tbEUlT_E0_NS1_11comp_targetILNS1_3genE5ELNS1_11target_archE942ELNS1_3gpuE9ELNS1_3repE0EEENS1_52radix_sort_onesweep_histogram_config_static_selectorELNS0_4arch9wavefront6targetE1EEEvSA_,comdat
	.protected	_ZN7rocprim17ROCPRIM_400000_NS6detail17trampoline_kernelINS0_14default_configENS1_35radix_sort_onesweep_config_selectorIiiEEZNS1_34radix_sort_onesweep_global_offsetsIS3_Lb0EPiS7_jNS0_19identity_decomposerEEE10hipError_tT1_T2_PT3_SC_jT4_jjP12ihipStream_tbEUlT_E0_NS1_11comp_targetILNS1_3genE5ELNS1_11target_archE942ELNS1_3gpuE9ELNS1_3repE0EEENS1_52radix_sort_onesweep_histogram_config_static_selectorELNS0_4arch9wavefront6targetE1EEEvSA_ ; -- Begin function _ZN7rocprim17ROCPRIM_400000_NS6detail17trampoline_kernelINS0_14default_configENS1_35radix_sort_onesweep_config_selectorIiiEEZNS1_34radix_sort_onesweep_global_offsetsIS3_Lb0EPiS7_jNS0_19identity_decomposerEEE10hipError_tT1_T2_PT3_SC_jT4_jjP12ihipStream_tbEUlT_E0_NS1_11comp_targetILNS1_3genE5ELNS1_11target_archE942ELNS1_3gpuE9ELNS1_3repE0EEENS1_52radix_sort_onesweep_histogram_config_static_selectorELNS0_4arch9wavefront6targetE1EEEvSA_
	.globl	_ZN7rocprim17ROCPRIM_400000_NS6detail17trampoline_kernelINS0_14default_configENS1_35radix_sort_onesweep_config_selectorIiiEEZNS1_34radix_sort_onesweep_global_offsetsIS3_Lb0EPiS7_jNS0_19identity_decomposerEEE10hipError_tT1_T2_PT3_SC_jT4_jjP12ihipStream_tbEUlT_E0_NS1_11comp_targetILNS1_3genE5ELNS1_11target_archE942ELNS1_3gpuE9ELNS1_3repE0EEENS1_52radix_sort_onesweep_histogram_config_static_selectorELNS0_4arch9wavefront6targetE1EEEvSA_
	.p2align	8
	.type	_ZN7rocprim17ROCPRIM_400000_NS6detail17trampoline_kernelINS0_14default_configENS1_35radix_sort_onesweep_config_selectorIiiEEZNS1_34radix_sort_onesweep_global_offsetsIS3_Lb0EPiS7_jNS0_19identity_decomposerEEE10hipError_tT1_T2_PT3_SC_jT4_jjP12ihipStream_tbEUlT_E0_NS1_11comp_targetILNS1_3genE5ELNS1_11target_archE942ELNS1_3gpuE9ELNS1_3repE0EEENS1_52radix_sort_onesweep_histogram_config_static_selectorELNS0_4arch9wavefront6targetE1EEEvSA_,@function
_ZN7rocprim17ROCPRIM_400000_NS6detail17trampoline_kernelINS0_14default_configENS1_35radix_sort_onesweep_config_selectorIiiEEZNS1_34radix_sort_onesweep_global_offsetsIS3_Lb0EPiS7_jNS0_19identity_decomposerEEE10hipError_tT1_T2_PT3_SC_jT4_jjP12ihipStream_tbEUlT_E0_NS1_11comp_targetILNS1_3genE5ELNS1_11target_archE942ELNS1_3gpuE9ELNS1_3repE0EEENS1_52radix_sort_onesweep_histogram_config_static_selectorELNS0_4arch9wavefront6targetE1EEEvSA_: ; @_ZN7rocprim17ROCPRIM_400000_NS6detail17trampoline_kernelINS0_14default_configENS1_35radix_sort_onesweep_config_selectorIiiEEZNS1_34radix_sort_onesweep_global_offsetsIS3_Lb0EPiS7_jNS0_19identity_decomposerEEE10hipError_tT1_T2_PT3_SC_jT4_jjP12ihipStream_tbEUlT_E0_NS1_11comp_targetILNS1_3genE5ELNS1_11target_archE942ELNS1_3gpuE9ELNS1_3repE0EEENS1_52radix_sort_onesweep_histogram_config_static_selectorELNS0_4arch9wavefront6targetE1EEEvSA_
; %bb.0:
	.section	.rodata,"a",@progbits
	.p2align	6, 0x0
	.amdhsa_kernel _ZN7rocprim17ROCPRIM_400000_NS6detail17trampoline_kernelINS0_14default_configENS1_35radix_sort_onesweep_config_selectorIiiEEZNS1_34radix_sort_onesweep_global_offsetsIS3_Lb0EPiS7_jNS0_19identity_decomposerEEE10hipError_tT1_T2_PT3_SC_jT4_jjP12ihipStream_tbEUlT_E0_NS1_11comp_targetILNS1_3genE5ELNS1_11target_archE942ELNS1_3gpuE9ELNS1_3repE0EEENS1_52radix_sort_onesweep_histogram_config_static_selectorELNS0_4arch9wavefront6targetE1EEEvSA_
		.amdhsa_group_segment_fixed_size 0
		.amdhsa_private_segment_fixed_size 0
		.amdhsa_kernarg_size 8
		.amdhsa_user_sgpr_count 6
		.amdhsa_user_sgpr_private_segment_buffer 1
		.amdhsa_user_sgpr_dispatch_ptr 0
		.amdhsa_user_sgpr_queue_ptr 0
		.amdhsa_user_sgpr_kernarg_segment_ptr 1
		.amdhsa_user_sgpr_dispatch_id 0
		.amdhsa_user_sgpr_flat_scratch_init 0
		.amdhsa_user_sgpr_kernarg_preload_length 0
		.amdhsa_user_sgpr_kernarg_preload_offset 0
		.amdhsa_user_sgpr_private_segment_size 0
		.amdhsa_uses_dynamic_stack 0
		.amdhsa_system_sgpr_private_segment_wavefront_offset 0
		.amdhsa_system_sgpr_workgroup_id_x 1
		.amdhsa_system_sgpr_workgroup_id_y 0
		.amdhsa_system_sgpr_workgroup_id_z 0
		.amdhsa_system_sgpr_workgroup_info 0
		.amdhsa_system_vgpr_workitem_id 0
		.amdhsa_next_free_vgpr 1
		.amdhsa_next_free_sgpr 0
		.amdhsa_accum_offset 4
		.amdhsa_reserve_vcc 0
		.amdhsa_reserve_flat_scratch 0
		.amdhsa_float_round_mode_32 0
		.amdhsa_float_round_mode_16_64 0
		.amdhsa_float_denorm_mode_32 3
		.amdhsa_float_denorm_mode_16_64 3
		.amdhsa_dx10_clamp 1
		.amdhsa_ieee_mode 1
		.amdhsa_fp16_overflow 0
		.amdhsa_tg_split 0
		.amdhsa_exception_fp_ieee_invalid_op 0
		.amdhsa_exception_fp_denorm_src 0
		.amdhsa_exception_fp_ieee_div_zero 0
		.amdhsa_exception_fp_ieee_overflow 0
		.amdhsa_exception_fp_ieee_underflow 0
		.amdhsa_exception_fp_ieee_inexact 0
		.amdhsa_exception_int_div_zero 0
	.end_amdhsa_kernel
	.section	.text._ZN7rocprim17ROCPRIM_400000_NS6detail17trampoline_kernelINS0_14default_configENS1_35radix_sort_onesweep_config_selectorIiiEEZNS1_34radix_sort_onesweep_global_offsetsIS3_Lb0EPiS7_jNS0_19identity_decomposerEEE10hipError_tT1_T2_PT3_SC_jT4_jjP12ihipStream_tbEUlT_E0_NS1_11comp_targetILNS1_3genE5ELNS1_11target_archE942ELNS1_3gpuE9ELNS1_3repE0EEENS1_52radix_sort_onesweep_histogram_config_static_selectorELNS0_4arch9wavefront6targetE1EEEvSA_,"axG",@progbits,_ZN7rocprim17ROCPRIM_400000_NS6detail17trampoline_kernelINS0_14default_configENS1_35radix_sort_onesweep_config_selectorIiiEEZNS1_34radix_sort_onesweep_global_offsetsIS3_Lb0EPiS7_jNS0_19identity_decomposerEEE10hipError_tT1_T2_PT3_SC_jT4_jjP12ihipStream_tbEUlT_E0_NS1_11comp_targetILNS1_3genE5ELNS1_11target_archE942ELNS1_3gpuE9ELNS1_3repE0EEENS1_52radix_sort_onesweep_histogram_config_static_selectorELNS0_4arch9wavefront6targetE1EEEvSA_,comdat
.Lfunc_end360:
	.size	_ZN7rocprim17ROCPRIM_400000_NS6detail17trampoline_kernelINS0_14default_configENS1_35radix_sort_onesweep_config_selectorIiiEEZNS1_34radix_sort_onesweep_global_offsetsIS3_Lb0EPiS7_jNS0_19identity_decomposerEEE10hipError_tT1_T2_PT3_SC_jT4_jjP12ihipStream_tbEUlT_E0_NS1_11comp_targetILNS1_3genE5ELNS1_11target_archE942ELNS1_3gpuE9ELNS1_3repE0EEENS1_52radix_sort_onesweep_histogram_config_static_selectorELNS0_4arch9wavefront6targetE1EEEvSA_, .Lfunc_end360-_ZN7rocprim17ROCPRIM_400000_NS6detail17trampoline_kernelINS0_14default_configENS1_35radix_sort_onesweep_config_selectorIiiEEZNS1_34radix_sort_onesweep_global_offsetsIS3_Lb0EPiS7_jNS0_19identity_decomposerEEE10hipError_tT1_T2_PT3_SC_jT4_jjP12ihipStream_tbEUlT_E0_NS1_11comp_targetILNS1_3genE5ELNS1_11target_archE942ELNS1_3gpuE9ELNS1_3repE0EEENS1_52radix_sort_onesweep_histogram_config_static_selectorELNS0_4arch9wavefront6targetE1EEEvSA_
                                        ; -- End function
	.section	.AMDGPU.csdata,"",@progbits
; Kernel info:
; codeLenInByte = 0
; NumSgprs: 4
; NumVgprs: 0
; NumAgprs: 0
; TotalNumVgprs: 0
; ScratchSize: 0
; MemoryBound: 0
; FloatMode: 240
; IeeeMode: 1
; LDSByteSize: 0 bytes/workgroup (compile time only)
; SGPRBlocks: 0
; VGPRBlocks: 0
; NumSGPRsForWavesPerEU: 4
; NumVGPRsForWavesPerEU: 1
; AccumOffset: 4
; Occupancy: 8
; WaveLimiterHint : 0
; COMPUTE_PGM_RSRC2:SCRATCH_EN: 0
; COMPUTE_PGM_RSRC2:USER_SGPR: 6
; COMPUTE_PGM_RSRC2:TRAP_HANDLER: 0
; COMPUTE_PGM_RSRC2:TGID_X_EN: 1
; COMPUTE_PGM_RSRC2:TGID_Y_EN: 0
; COMPUTE_PGM_RSRC2:TGID_Z_EN: 0
; COMPUTE_PGM_RSRC2:TIDIG_COMP_CNT: 0
; COMPUTE_PGM_RSRC3_GFX90A:ACCUM_OFFSET: 0
; COMPUTE_PGM_RSRC3_GFX90A:TG_SPLIT: 0
	.section	.text._ZN7rocprim17ROCPRIM_400000_NS6detail17trampoline_kernelINS0_14default_configENS1_35radix_sort_onesweep_config_selectorIiiEEZNS1_34radix_sort_onesweep_global_offsetsIS3_Lb0EPiS7_jNS0_19identity_decomposerEEE10hipError_tT1_T2_PT3_SC_jT4_jjP12ihipStream_tbEUlT_E0_NS1_11comp_targetILNS1_3genE2ELNS1_11target_archE906ELNS1_3gpuE6ELNS1_3repE0EEENS1_52radix_sort_onesweep_histogram_config_static_selectorELNS0_4arch9wavefront6targetE1EEEvSA_,"axG",@progbits,_ZN7rocprim17ROCPRIM_400000_NS6detail17trampoline_kernelINS0_14default_configENS1_35radix_sort_onesweep_config_selectorIiiEEZNS1_34radix_sort_onesweep_global_offsetsIS3_Lb0EPiS7_jNS0_19identity_decomposerEEE10hipError_tT1_T2_PT3_SC_jT4_jjP12ihipStream_tbEUlT_E0_NS1_11comp_targetILNS1_3genE2ELNS1_11target_archE906ELNS1_3gpuE6ELNS1_3repE0EEENS1_52radix_sort_onesweep_histogram_config_static_selectorELNS0_4arch9wavefront6targetE1EEEvSA_,comdat
	.protected	_ZN7rocprim17ROCPRIM_400000_NS6detail17trampoline_kernelINS0_14default_configENS1_35radix_sort_onesweep_config_selectorIiiEEZNS1_34radix_sort_onesweep_global_offsetsIS3_Lb0EPiS7_jNS0_19identity_decomposerEEE10hipError_tT1_T2_PT3_SC_jT4_jjP12ihipStream_tbEUlT_E0_NS1_11comp_targetILNS1_3genE2ELNS1_11target_archE906ELNS1_3gpuE6ELNS1_3repE0EEENS1_52radix_sort_onesweep_histogram_config_static_selectorELNS0_4arch9wavefront6targetE1EEEvSA_ ; -- Begin function _ZN7rocprim17ROCPRIM_400000_NS6detail17trampoline_kernelINS0_14default_configENS1_35radix_sort_onesweep_config_selectorIiiEEZNS1_34radix_sort_onesweep_global_offsetsIS3_Lb0EPiS7_jNS0_19identity_decomposerEEE10hipError_tT1_T2_PT3_SC_jT4_jjP12ihipStream_tbEUlT_E0_NS1_11comp_targetILNS1_3genE2ELNS1_11target_archE906ELNS1_3gpuE6ELNS1_3repE0EEENS1_52radix_sort_onesweep_histogram_config_static_selectorELNS0_4arch9wavefront6targetE1EEEvSA_
	.globl	_ZN7rocprim17ROCPRIM_400000_NS6detail17trampoline_kernelINS0_14default_configENS1_35radix_sort_onesweep_config_selectorIiiEEZNS1_34radix_sort_onesweep_global_offsetsIS3_Lb0EPiS7_jNS0_19identity_decomposerEEE10hipError_tT1_T2_PT3_SC_jT4_jjP12ihipStream_tbEUlT_E0_NS1_11comp_targetILNS1_3genE2ELNS1_11target_archE906ELNS1_3gpuE6ELNS1_3repE0EEENS1_52radix_sort_onesweep_histogram_config_static_selectorELNS0_4arch9wavefront6targetE1EEEvSA_
	.p2align	8
	.type	_ZN7rocprim17ROCPRIM_400000_NS6detail17trampoline_kernelINS0_14default_configENS1_35radix_sort_onesweep_config_selectorIiiEEZNS1_34radix_sort_onesweep_global_offsetsIS3_Lb0EPiS7_jNS0_19identity_decomposerEEE10hipError_tT1_T2_PT3_SC_jT4_jjP12ihipStream_tbEUlT_E0_NS1_11comp_targetILNS1_3genE2ELNS1_11target_archE906ELNS1_3gpuE6ELNS1_3repE0EEENS1_52radix_sort_onesweep_histogram_config_static_selectorELNS0_4arch9wavefront6targetE1EEEvSA_,@function
_ZN7rocprim17ROCPRIM_400000_NS6detail17trampoline_kernelINS0_14default_configENS1_35radix_sort_onesweep_config_selectorIiiEEZNS1_34radix_sort_onesweep_global_offsetsIS3_Lb0EPiS7_jNS0_19identity_decomposerEEE10hipError_tT1_T2_PT3_SC_jT4_jjP12ihipStream_tbEUlT_E0_NS1_11comp_targetILNS1_3genE2ELNS1_11target_archE906ELNS1_3gpuE6ELNS1_3repE0EEENS1_52radix_sort_onesweep_histogram_config_static_selectorELNS0_4arch9wavefront6targetE1EEEvSA_: ; @_ZN7rocprim17ROCPRIM_400000_NS6detail17trampoline_kernelINS0_14default_configENS1_35radix_sort_onesweep_config_selectorIiiEEZNS1_34radix_sort_onesweep_global_offsetsIS3_Lb0EPiS7_jNS0_19identity_decomposerEEE10hipError_tT1_T2_PT3_SC_jT4_jjP12ihipStream_tbEUlT_E0_NS1_11comp_targetILNS1_3genE2ELNS1_11target_archE906ELNS1_3gpuE6ELNS1_3repE0EEENS1_52radix_sort_onesweep_histogram_config_static_selectorELNS0_4arch9wavefront6targetE1EEEvSA_
; %bb.0:
	.section	.rodata,"a",@progbits
	.p2align	6, 0x0
	.amdhsa_kernel _ZN7rocprim17ROCPRIM_400000_NS6detail17trampoline_kernelINS0_14default_configENS1_35radix_sort_onesweep_config_selectorIiiEEZNS1_34radix_sort_onesweep_global_offsetsIS3_Lb0EPiS7_jNS0_19identity_decomposerEEE10hipError_tT1_T2_PT3_SC_jT4_jjP12ihipStream_tbEUlT_E0_NS1_11comp_targetILNS1_3genE2ELNS1_11target_archE906ELNS1_3gpuE6ELNS1_3repE0EEENS1_52radix_sort_onesweep_histogram_config_static_selectorELNS0_4arch9wavefront6targetE1EEEvSA_
		.amdhsa_group_segment_fixed_size 0
		.amdhsa_private_segment_fixed_size 0
		.amdhsa_kernarg_size 8
		.amdhsa_user_sgpr_count 6
		.amdhsa_user_sgpr_private_segment_buffer 1
		.amdhsa_user_sgpr_dispatch_ptr 0
		.amdhsa_user_sgpr_queue_ptr 0
		.amdhsa_user_sgpr_kernarg_segment_ptr 1
		.amdhsa_user_sgpr_dispatch_id 0
		.amdhsa_user_sgpr_flat_scratch_init 0
		.amdhsa_user_sgpr_kernarg_preload_length 0
		.amdhsa_user_sgpr_kernarg_preload_offset 0
		.amdhsa_user_sgpr_private_segment_size 0
		.amdhsa_uses_dynamic_stack 0
		.amdhsa_system_sgpr_private_segment_wavefront_offset 0
		.amdhsa_system_sgpr_workgroup_id_x 1
		.amdhsa_system_sgpr_workgroup_id_y 0
		.amdhsa_system_sgpr_workgroup_id_z 0
		.amdhsa_system_sgpr_workgroup_info 0
		.amdhsa_system_vgpr_workitem_id 0
		.amdhsa_next_free_vgpr 1
		.amdhsa_next_free_sgpr 0
		.amdhsa_accum_offset 4
		.amdhsa_reserve_vcc 0
		.amdhsa_reserve_flat_scratch 0
		.amdhsa_float_round_mode_32 0
		.amdhsa_float_round_mode_16_64 0
		.amdhsa_float_denorm_mode_32 3
		.amdhsa_float_denorm_mode_16_64 3
		.amdhsa_dx10_clamp 1
		.amdhsa_ieee_mode 1
		.amdhsa_fp16_overflow 0
		.amdhsa_tg_split 0
		.amdhsa_exception_fp_ieee_invalid_op 0
		.amdhsa_exception_fp_denorm_src 0
		.amdhsa_exception_fp_ieee_div_zero 0
		.amdhsa_exception_fp_ieee_overflow 0
		.amdhsa_exception_fp_ieee_underflow 0
		.amdhsa_exception_fp_ieee_inexact 0
		.amdhsa_exception_int_div_zero 0
	.end_amdhsa_kernel
	.section	.text._ZN7rocprim17ROCPRIM_400000_NS6detail17trampoline_kernelINS0_14default_configENS1_35radix_sort_onesweep_config_selectorIiiEEZNS1_34radix_sort_onesweep_global_offsetsIS3_Lb0EPiS7_jNS0_19identity_decomposerEEE10hipError_tT1_T2_PT3_SC_jT4_jjP12ihipStream_tbEUlT_E0_NS1_11comp_targetILNS1_3genE2ELNS1_11target_archE906ELNS1_3gpuE6ELNS1_3repE0EEENS1_52radix_sort_onesweep_histogram_config_static_selectorELNS0_4arch9wavefront6targetE1EEEvSA_,"axG",@progbits,_ZN7rocprim17ROCPRIM_400000_NS6detail17trampoline_kernelINS0_14default_configENS1_35radix_sort_onesweep_config_selectorIiiEEZNS1_34radix_sort_onesweep_global_offsetsIS3_Lb0EPiS7_jNS0_19identity_decomposerEEE10hipError_tT1_T2_PT3_SC_jT4_jjP12ihipStream_tbEUlT_E0_NS1_11comp_targetILNS1_3genE2ELNS1_11target_archE906ELNS1_3gpuE6ELNS1_3repE0EEENS1_52radix_sort_onesweep_histogram_config_static_selectorELNS0_4arch9wavefront6targetE1EEEvSA_,comdat
.Lfunc_end361:
	.size	_ZN7rocprim17ROCPRIM_400000_NS6detail17trampoline_kernelINS0_14default_configENS1_35radix_sort_onesweep_config_selectorIiiEEZNS1_34radix_sort_onesweep_global_offsetsIS3_Lb0EPiS7_jNS0_19identity_decomposerEEE10hipError_tT1_T2_PT3_SC_jT4_jjP12ihipStream_tbEUlT_E0_NS1_11comp_targetILNS1_3genE2ELNS1_11target_archE906ELNS1_3gpuE6ELNS1_3repE0EEENS1_52radix_sort_onesweep_histogram_config_static_selectorELNS0_4arch9wavefront6targetE1EEEvSA_, .Lfunc_end361-_ZN7rocprim17ROCPRIM_400000_NS6detail17trampoline_kernelINS0_14default_configENS1_35radix_sort_onesweep_config_selectorIiiEEZNS1_34radix_sort_onesweep_global_offsetsIS3_Lb0EPiS7_jNS0_19identity_decomposerEEE10hipError_tT1_T2_PT3_SC_jT4_jjP12ihipStream_tbEUlT_E0_NS1_11comp_targetILNS1_3genE2ELNS1_11target_archE906ELNS1_3gpuE6ELNS1_3repE0EEENS1_52radix_sort_onesweep_histogram_config_static_selectorELNS0_4arch9wavefront6targetE1EEEvSA_
                                        ; -- End function
	.section	.AMDGPU.csdata,"",@progbits
; Kernel info:
; codeLenInByte = 0
; NumSgprs: 4
; NumVgprs: 0
; NumAgprs: 0
; TotalNumVgprs: 0
; ScratchSize: 0
; MemoryBound: 0
; FloatMode: 240
; IeeeMode: 1
; LDSByteSize: 0 bytes/workgroup (compile time only)
; SGPRBlocks: 0
; VGPRBlocks: 0
; NumSGPRsForWavesPerEU: 4
; NumVGPRsForWavesPerEU: 1
; AccumOffset: 4
; Occupancy: 8
; WaveLimiterHint : 0
; COMPUTE_PGM_RSRC2:SCRATCH_EN: 0
; COMPUTE_PGM_RSRC2:USER_SGPR: 6
; COMPUTE_PGM_RSRC2:TRAP_HANDLER: 0
; COMPUTE_PGM_RSRC2:TGID_X_EN: 1
; COMPUTE_PGM_RSRC2:TGID_Y_EN: 0
; COMPUTE_PGM_RSRC2:TGID_Z_EN: 0
; COMPUTE_PGM_RSRC2:TIDIG_COMP_CNT: 0
; COMPUTE_PGM_RSRC3_GFX90A:ACCUM_OFFSET: 0
; COMPUTE_PGM_RSRC3_GFX90A:TG_SPLIT: 0
	.section	.text._ZN7rocprim17ROCPRIM_400000_NS6detail17trampoline_kernelINS0_14default_configENS1_35radix_sort_onesweep_config_selectorIiiEEZNS1_34radix_sort_onesweep_global_offsetsIS3_Lb0EPiS7_jNS0_19identity_decomposerEEE10hipError_tT1_T2_PT3_SC_jT4_jjP12ihipStream_tbEUlT_E0_NS1_11comp_targetILNS1_3genE4ELNS1_11target_archE910ELNS1_3gpuE8ELNS1_3repE0EEENS1_52radix_sort_onesweep_histogram_config_static_selectorELNS0_4arch9wavefront6targetE1EEEvSA_,"axG",@progbits,_ZN7rocprim17ROCPRIM_400000_NS6detail17trampoline_kernelINS0_14default_configENS1_35radix_sort_onesweep_config_selectorIiiEEZNS1_34radix_sort_onesweep_global_offsetsIS3_Lb0EPiS7_jNS0_19identity_decomposerEEE10hipError_tT1_T2_PT3_SC_jT4_jjP12ihipStream_tbEUlT_E0_NS1_11comp_targetILNS1_3genE4ELNS1_11target_archE910ELNS1_3gpuE8ELNS1_3repE0EEENS1_52radix_sort_onesweep_histogram_config_static_selectorELNS0_4arch9wavefront6targetE1EEEvSA_,comdat
	.protected	_ZN7rocprim17ROCPRIM_400000_NS6detail17trampoline_kernelINS0_14default_configENS1_35radix_sort_onesweep_config_selectorIiiEEZNS1_34radix_sort_onesweep_global_offsetsIS3_Lb0EPiS7_jNS0_19identity_decomposerEEE10hipError_tT1_T2_PT3_SC_jT4_jjP12ihipStream_tbEUlT_E0_NS1_11comp_targetILNS1_3genE4ELNS1_11target_archE910ELNS1_3gpuE8ELNS1_3repE0EEENS1_52radix_sort_onesweep_histogram_config_static_selectorELNS0_4arch9wavefront6targetE1EEEvSA_ ; -- Begin function _ZN7rocprim17ROCPRIM_400000_NS6detail17trampoline_kernelINS0_14default_configENS1_35radix_sort_onesweep_config_selectorIiiEEZNS1_34radix_sort_onesweep_global_offsetsIS3_Lb0EPiS7_jNS0_19identity_decomposerEEE10hipError_tT1_T2_PT3_SC_jT4_jjP12ihipStream_tbEUlT_E0_NS1_11comp_targetILNS1_3genE4ELNS1_11target_archE910ELNS1_3gpuE8ELNS1_3repE0EEENS1_52radix_sort_onesweep_histogram_config_static_selectorELNS0_4arch9wavefront6targetE1EEEvSA_
	.globl	_ZN7rocprim17ROCPRIM_400000_NS6detail17trampoline_kernelINS0_14default_configENS1_35radix_sort_onesweep_config_selectorIiiEEZNS1_34radix_sort_onesweep_global_offsetsIS3_Lb0EPiS7_jNS0_19identity_decomposerEEE10hipError_tT1_T2_PT3_SC_jT4_jjP12ihipStream_tbEUlT_E0_NS1_11comp_targetILNS1_3genE4ELNS1_11target_archE910ELNS1_3gpuE8ELNS1_3repE0EEENS1_52radix_sort_onesweep_histogram_config_static_selectorELNS0_4arch9wavefront6targetE1EEEvSA_
	.p2align	8
	.type	_ZN7rocprim17ROCPRIM_400000_NS6detail17trampoline_kernelINS0_14default_configENS1_35radix_sort_onesweep_config_selectorIiiEEZNS1_34radix_sort_onesweep_global_offsetsIS3_Lb0EPiS7_jNS0_19identity_decomposerEEE10hipError_tT1_T2_PT3_SC_jT4_jjP12ihipStream_tbEUlT_E0_NS1_11comp_targetILNS1_3genE4ELNS1_11target_archE910ELNS1_3gpuE8ELNS1_3repE0EEENS1_52radix_sort_onesweep_histogram_config_static_selectorELNS0_4arch9wavefront6targetE1EEEvSA_,@function
_ZN7rocprim17ROCPRIM_400000_NS6detail17trampoline_kernelINS0_14default_configENS1_35radix_sort_onesweep_config_selectorIiiEEZNS1_34radix_sort_onesweep_global_offsetsIS3_Lb0EPiS7_jNS0_19identity_decomposerEEE10hipError_tT1_T2_PT3_SC_jT4_jjP12ihipStream_tbEUlT_E0_NS1_11comp_targetILNS1_3genE4ELNS1_11target_archE910ELNS1_3gpuE8ELNS1_3repE0EEENS1_52radix_sort_onesweep_histogram_config_static_selectorELNS0_4arch9wavefront6targetE1EEEvSA_: ; @_ZN7rocprim17ROCPRIM_400000_NS6detail17trampoline_kernelINS0_14default_configENS1_35radix_sort_onesweep_config_selectorIiiEEZNS1_34radix_sort_onesweep_global_offsetsIS3_Lb0EPiS7_jNS0_19identity_decomposerEEE10hipError_tT1_T2_PT3_SC_jT4_jjP12ihipStream_tbEUlT_E0_NS1_11comp_targetILNS1_3genE4ELNS1_11target_archE910ELNS1_3gpuE8ELNS1_3repE0EEENS1_52radix_sort_onesweep_histogram_config_static_selectorELNS0_4arch9wavefront6targetE1EEEvSA_
; %bb.0:
	s_load_dwordx2 s[0:1], s[4:5], 0x0
	s_lshl_b32 s2, s6, 8
	s_mov_b32 s3, 0
	s_lshl_b64 s[2:3], s[2:3], 2
	v_lshlrev_b32_e32 v1, 2, v0
	s_waitcnt lgkmcnt(0)
	s_add_u32 s2, s0, s2
	s_movk_i32 s0, 0x100
	s_addc_u32 s3, s1, s3
	v_cmp_gt_u32_e32 vcc, s0, v0
                                        ; implicit-def: $vgpr3
	s_and_saveexec_b64 s[0:1], vcc
	s_cbranch_execz .LBB362_2
; %bb.1:
	global_load_dword v3, v1, s[2:3]
.LBB362_2:
	s_or_b64 exec, exec, s[0:1]
	v_mbcnt_lo_u32_b32 v2, -1, 0
	v_mbcnt_hi_u32_b32 v2, -1, v2
	v_and_b32_e32 v4, 15, v2
	s_waitcnt vmcnt(0)
	v_mov_b32_dpp v5, v3 row_shr:1 row_mask:0xf bank_mask:0xf
	v_cmp_ne_u32_e64 s[0:1], 0, v4
	v_cndmask_b32_e64 v5, 0, v5, s[0:1]
	v_add_u32_e32 v3, v5, v3
	v_cmp_lt_u32_e64 s[0:1], 1, v4
	s_nop 0
	v_mov_b32_dpp v5, v3 row_shr:2 row_mask:0xf bank_mask:0xf
	v_cndmask_b32_e64 v5, 0, v5, s[0:1]
	v_add_u32_e32 v3, v3, v5
	v_cmp_lt_u32_e64 s[0:1], 3, v4
	s_nop 0
	v_mov_b32_dpp v5, v3 row_shr:4 row_mask:0xf bank_mask:0xf
	v_cndmask_b32_e64 v5, 0, v5, s[0:1]
	v_add_u32_e32 v3, v3, v5
	v_cmp_lt_u32_e64 s[0:1], 7, v4
	s_nop 0
	v_mov_b32_dpp v5, v3 row_shr:8 row_mask:0xf bank_mask:0xf
	v_cndmask_b32_e64 v4, 0, v5, s[0:1]
	v_add_u32_e32 v3, v3, v4
	v_bfe_i32 v5, v2, 4, 1
	v_cmp_lt_u32_e64 s[0:1], 31, v2
	v_mov_b32_dpp v4, v3 row_bcast:15 row_mask:0xf bank_mask:0xf
	v_and_b32_e32 v4, v5, v4
	v_add_u32_e32 v3, v3, v4
	v_or_b32_e32 v5, 63, v0
	s_nop 0
	v_mov_b32_dpp v4, v3 row_bcast:31 row_mask:0xf bank_mask:0xf
	v_cndmask_b32_e64 v4, 0, v4, s[0:1]
	v_add_u32_e32 v3, v3, v4
	v_lshrrev_b32_e32 v4, 6, v0
	v_cmp_eq_u32_e64 s[0:1], v5, v0
	s_and_saveexec_b64 s[4:5], s[0:1]
	s_cbranch_execz .LBB362_4
; %bb.3:
	v_lshlrev_b32_e32 v5, 2, v4
	ds_write_b32 v5, v3
.LBB362_4:
	s_or_b64 exec, exec, s[4:5]
	v_cmp_gt_u32_e64 s[0:1], 8, v0
	s_waitcnt lgkmcnt(0)
	s_barrier
	s_and_saveexec_b64 s[4:5], s[0:1]
	s_cbranch_execz .LBB362_6
; %bb.5:
	ds_read_b32 v5, v1
	v_and_b32_e32 v6, 7, v2
	v_cmp_ne_u32_e64 s[0:1], 0, v6
	s_waitcnt lgkmcnt(0)
	v_mov_b32_dpp v7, v5 row_shr:1 row_mask:0xf bank_mask:0xf
	v_cndmask_b32_e64 v7, 0, v7, s[0:1]
	v_add_u32_e32 v5, v7, v5
	v_cmp_lt_u32_e64 s[0:1], 1, v6
	s_nop 0
	v_mov_b32_dpp v7, v5 row_shr:2 row_mask:0xf bank_mask:0xf
	v_cndmask_b32_e64 v7, 0, v7, s[0:1]
	v_add_u32_e32 v5, v5, v7
	v_cmp_lt_u32_e64 s[0:1], 3, v6
	s_nop 0
	v_mov_b32_dpp v7, v5 row_shr:4 row_mask:0xf bank_mask:0xf
	v_cndmask_b32_e64 v6, 0, v7, s[0:1]
	v_add_u32_e32 v5, v5, v6
	ds_write_b32 v1, v5
.LBB362_6:
	s_or_b64 exec, exec, s[4:5]
	v_cmp_lt_u32_e64 s[0:1], 63, v0
	v_mov_b32_e32 v0, 0
	s_waitcnt lgkmcnt(0)
	s_barrier
	s_and_saveexec_b64 s[4:5], s[0:1]
	s_cbranch_execz .LBB362_8
; %bb.7:
	v_lshl_add_u32 v0, v4, 2, -4
	ds_read_b32 v0, v0
.LBB362_8:
	s_or_b64 exec, exec, s[4:5]
	v_add_u32_e32 v4, -1, v2
	v_and_b32_e32 v5, 64, v2
	v_cmp_lt_i32_e64 s[0:1], v4, v5
	v_cndmask_b32_e64 v4, v4, v2, s[0:1]
	s_waitcnt lgkmcnt(0)
	v_add_u32_e32 v3, v0, v3
	v_lshlrev_b32_e32 v4, 2, v4
	ds_bpermute_b32 v3, v4, v3
	s_and_saveexec_b64 s[0:1], vcc
	s_cbranch_execz .LBB362_10
; %bb.9:
	v_cmp_eq_u32_e32 vcc, 0, v2
	s_waitcnt lgkmcnt(0)
	v_cndmask_b32_e32 v0, v3, v0, vcc
	global_store_dword v1, v0, s[2:3]
.LBB362_10:
	s_endpgm
	.section	.rodata,"a",@progbits
	.p2align	6, 0x0
	.amdhsa_kernel _ZN7rocprim17ROCPRIM_400000_NS6detail17trampoline_kernelINS0_14default_configENS1_35radix_sort_onesweep_config_selectorIiiEEZNS1_34radix_sort_onesweep_global_offsetsIS3_Lb0EPiS7_jNS0_19identity_decomposerEEE10hipError_tT1_T2_PT3_SC_jT4_jjP12ihipStream_tbEUlT_E0_NS1_11comp_targetILNS1_3genE4ELNS1_11target_archE910ELNS1_3gpuE8ELNS1_3repE0EEENS1_52radix_sort_onesweep_histogram_config_static_selectorELNS0_4arch9wavefront6targetE1EEEvSA_
		.amdhsa_group_segment_fixed_size 32
		.amdhsa_private_segment_fixed_size 0
		.amdhsa_kernarg_size 8
		.amdhsa_user_sgpr_count 6
		.amdhsa_user_sgpr_private_segment_buffer 1
		.amdhsa_user_sgpr_dispatch_ptr 0
		.amdhsa_user_sgpr_queue_ptr 0
		.amdhsa_user_sgpr_kernarg_segment_ptr 1
		.amdhsa_user_sgpr_dispatch_id 0
		.amdhsa_user_sgpr_flat_scratch_init 0
		.amdhsa_user_sgpr_kernarg_preload_length 0
		.amdhsa_user_sgpr_kernarg_preload_offset 0
		.amdhsa_user_sgpr_private_segment_size 0
		.amdhsa_uses_dynamic_stack 0
		.amdhsa_system_sgpr_private_segment_wavefront_offset 0
		.amdhsa_system_sgpr_workgroup_id_x 1
		.amdhsa_system_sgpr_workgroup_id_y 0
		.amdhsa_system_sgpr_workgroup_id_z 0
		.amdhsa_system_sgpr_workgroup_info 0
		.amdhsa_system_vgpr_workitem_id 0
		.amdhsa_next_free_vgpr 8
		.amdhsa_next_free_sgpr 7
		.amdhsa_accum_offset 8
		.amdhsa_reserve_vcc 1
		.amdhsa_reserve_flat_scratch 0
		.amdhsa_float_round_mode_32 0
		.amdhsa_float_round_mode_16_64 0
		.amdhsa_float_denorm_mode_32 3
		.amdhsa_float_denorm_mode_16_64 3
		.amdhsa_dx10_clamp 1
		.amdhsa_ieee_mode 1
		.amdhsa_fp16_overflow 0
		.amdhsa_tg_split 0
		.amdhsa_exception_fp_ieee_invalid_op 0
		.amdhsa_exception_fp_denorm_src 0
		.amdhsa_exception_fp_ieee_div_zero 0
		.amdhsa_exception_fp_ieee_overflow 0
		.amdhsa_exception_fp_ieee_underflow 0
		.amdhsa_exception_fp_ieee_inexact 0
		.amdhsa_exception_int_div_zero 0
	.end_amdhsa_kernel
	.section	.text._ZN7rocprim17ROCPRIM_400000_NS6detail17trampoline_kernelINS0_14default_configENS1_35radix_sort_onesweep_config_selectorIiiEEZNS1_34radix_sort_onesweep_global_offsetsIS3_Lb0EPiS7_jNS0_19identity_decomposerEEE10hipError_tT1_T2_PT3_SC_jT4_jjP12ihipStream_tbEUlT_E0_NS1_11comp_targetILNS1_3genE4ELNS1_11target_archE910ELNS1_3gpuE8ELNS1_3repE0EEENS1_52radix_sort_onesweep_histogram_config_static_selectorELNS0_4arch9wavefront6targetE1EEEvSA_,"axG",@progbits,_ZN7rocprim17ROCPRIM_400000_NS6detail17trampoline_kernelINS0_14default_configENS1_35radix_sort_onesweep_config_selectorIiiEEZNS1_34radix_sort_onesweep_global_offsetsIS3_Lb0EPiS7_jNS0_19identity_decomposerEEE10hipError_tT1_T2_PT3_SC_jT4_jjP12ihipStream_tbEUlT_E0_NS1_11comp_targetILNS1_3genE4ELNS1_11target_archE910ELNS1_3gpuE8ELNS1_3repE0EEENS1_52radix_sort_onesweep_histogram_config_static_selectorELNS0_4arch9wavefront6targetE1EEEvSA_,comdat
.Lfunc_end362:
	.size	_ZN7rocprim17ROCPRIM_400000_NS6detail17trampoline_kernelINS0_14default_configENS1_35radix_sort_onesweep_config_selectorIiiEEZNS1_34radix_sort_onesweep_global_offsetsIS3_Lb0EPiS7_jNS0_19identity_decomposerEEE10hipError_tT1_T2_PT3_SC_jT4_jjP12ihipStream_tbEUlT_E0_NS1_11comp_targetILNS1_3genE4ELNS1_11target_archE910ELNS1_3gpuE8ELNS1_3repE0EEENS1_52radix_sort_onesweep_histogram_config_static_selectorELNS0_4arch9wavefront6targetE1EEEvSA_, .Lfunc_end362-_ZN7rocprim17ROCPRIM_400000_NS6detail17trampoline_kernelINS0_14default_configENS1_35radix_sort_onesweep_config_selectorIiiEEZNS1_34radix_sort_onesweep_global_offsetsIS3_Lb0EPiS7_jNS0_19identity_decomposerEEE10hipError_tT1_T2_PT3_SC_jT4_jjP12ihipStream_tbEUlT_E0_NS1_11comp_targetILNS1_3genE4ELNS1_11target_archE910ELNS1_3gpuE8ELNS1_3repE0EEENS1_52radix_sort_onesweep_histogram_config_static_selectorELNS0_4arch9wavefront6targetE1EEEvSA_
                                        ; -- End function
	.section	.AMDGPU.csdata,"",@progbits
; Kernel info:
; codeLenInByte = 576
; NumSgprs: 11
; NumVgprs: 8
; NumAgprs: 0
; TotalNumVgprs: 8
; ScratchSize: 0
; MemoryBound: 0
; FloatMode: 240
; IeeeMode: 1
; LDSByteSize: 32 bytes/workgroup (compile time only)
; SGPRBlocks: 1
; VGPRBlocks: 0
; NumSGPRsForWavesPerEU: 11
; NumVGPRsForWavesPerEU: 8
; AccumOffset: 8
; Occupancy: 8
; WaveLimiterHint : 0
; COMPUTE_PGM_RSRC2:SCRATCH_EN: 0
; COMPUTE_PGM_RSRC2:USER_SGPR: 6
; COMPUTE_PGM_RSRC2:TRAP_HANDLER: 0
; COMPUTE_PGM_RSRC2:TGID_X_EN: 1
; COMPUTE_PGM_RSRC2:TGID_Y_EN: 0
; COMPUTE_PGM_RSRC2:TGID_Z_EN: 0
; COMPUTE_PGM_RSRC2:TIDIG_COMP_CNT: 0
; COMPUTE_PGM_RSRC3_GFX90A:ACCUM_OFFSET: 1
; COMPUTE_PGM_RSRC3_GFX90A:TG_SPLIT: 0
	.section	.text._ZN7rocprim17ROCPRIM_400000_NS6detail17trampoline_kernelINS0_14default_configENS1_35radix_sort_onesweep_config_selectorIiiEEZNS1_34radix_sort_onesweep_global_offsetsIS3_Lb0EPiS7_jNS0_19identity_decomposerEEE10hipError_tT1_T2_PT3_SC_jT4_jjP12ihipStream_tbEUlT_E0_NS1_11comp_targetILNS1_3genE3ELNS1_11target_archE908ELNS1_3gpuE7ELNS1_3repE0EEENS1_52radix_sort_onesweep_histogram_config_static_selectorELNS0_4arch9wavefront6targetE1EEEvSA_,"axG",@progbits,_ZN7rocprim17ROCPRIM_400000_NS6detail17trampoline_kernelINS0_14default_configENS1_35radix_sort_onesweep_config_selectorIiiEEZNS1_34radix_sort_onesweep_global_offsetsIS3_Lb0EPiS7_jNS0_19identity_decomposerEEE10hipError_tT1_T2_PT3_SC_jT4_jjP12ihipStream_tbEUlT_E0_NS1_11comp_targetILNS1_3genE3ELNS1_11target_archE908ELNS1_3gpuE7ELNS1_3repE0EEENS1_52radix_sort_onesweep_histogram_config_static_selectorELNS0_4arch9wavefront6targetE1EEEvSA_,comdat
	.protected	_ZN7rocprim17ROCPRIM_400000_NS6detail17trampoline_kernelINS0_14default_configENS1_35radix_sort_onesweep_config_selectorIiiEEZNS1_34radix_sort_onesweep_global_offsetsIS3_Lb0EPiS7_jNS0_19identity_decomposerEEE10hipError_tT1_T2_PT3_SC_jT4_jjP12ihipStream_tbEUlT_E0_NS1_11comp_targetILNS1_3genE3ELNS1_11target_archE908ELNS1_3gpuE7ELNS1_3repE0EEENS1_52radix_sort_onesweep_histogram_config_static_selectorELNS0_4arch9wavefront6targetE1EEEvSA_ ; -- Begin function _ZN7rocprim17ROCPRIM_400000_NS6detail17trampoline_kernelINS0_14default_configENS1_35radix_sort_onesweep_config_selectorIiiEEZNS1_34radix_sort_onesweep_global_offsetsIS3_Lb0EPiS7_jNS0_19identity_decomposerEEE10hipError_tT1_T2_PT3_SC_jT4_jjP12ihipStream_tbEUlT_E0_NS1_11comp_targetILNS1_3genE3ELNS1_11target_archE908ELNS1_3gpuE7ELNS1_3repE0EEENS1_52radix_sort_onesweep_histogram_config_static_selectorELNS0_4arch9wavefront6targetE1EEEvSA_
	.globl	_ZN7rocprim17ROCPRIM_400000_NS6detail17trampoline_kernelINS0_14default_configENS1_35radix_sort_onesweep_config_selectorIiiEEZNS1_34radix_sort_onesweep_global_offsetsIS3_Lb0EPiS7_jNS0_19identity_decomposerEEE10hipError_tT1_T2_PT3_SC_jT4_jjP12ihipStream_tbEUlT_E0_NS1_11comp_targetILNS1_3genE3ELNS1_11target_archE908ELNS1_3gpuE7ELNS1_3repE0EEENS1_52radix_sort_onesweep_histogram_config_static_selectorELNS0_4arch9wavefront6targetE1EEEvSA_
	.p2align	8
	.type	_ZN7rocprim17ROCPRIM_400000_NS6detail17trampoline_kernelINS0_14default_configENS1_35radix_sort_onesweep_config_selectorIiiEEZNS1_34radix_sort_onesweep_global_offsetsIS3_Lb0EPiS7_jNS0_19identity_decomposerEEE10hipError_tT1_T2_PT3_SC_jT4_jjP12ihipStream_tbEUlT_E0_NS1_11comp_targetILNS1_3genE3ELNS1_11target_archE908ELNS1_3gpuE7ELNS1_3repE0EEENS1_52radix_sort_onesweep_histogram_config_static_selectorELNS0_4arch9wavefront6targetE1EEEvSA_,@function
_ZN7rocprim17ROCPRIM_400000_NS6detail17trampoline_kernelINS0_14default_configENS1_35radix_sort_onesweep_config_selectorIiiEEZNS1_34radix_sort_onesweep_global_offsetsIS3_Lb0EPiS7_jNS0_19identity_decomposerEEE10hipError_tT1_T2_PT3_SC_jT4_jjP12ihipStream_tbEUlT_E0_NS1_11comp_targetILNS1_3genE3ELNS1_11target_archE908ELNS1_3gpuE7ELNS1_3repE0EEENS1_52radix_sort_onesweep_histogram_config_static_selectorELNS0_4arch9wavefront6targetE1EEEvSA_: ; @_ZN7rocprim17ROCPRIM_400000_NS6detail17trampoline_kernelINS0_14default_configENS1_35radix_sort_onesweep_config_selectorIiiEEZNS1_34radix_sort_onesweep_global_offsetsIS3_Lb0EPiS7_jNS0_19identity_decomposerEEE10hipError_tT1_T2_PT3_SC_jT4_jjP12ihipStream_tbEUlT_E0_NS1_11comp_targetILNS1_3genE3ELNS1_11target_archE908ELNS1_3gpuE7ELNS1_3repE0EEENS1_52radix_sort_onesweep_histogram_config_static_selectorELNS0_4arch9wavefront6targetE1EEEvSA_
; %bb.0:
	.section	.rodata,"a",@progbits
	.p2align	6, 0x0
	.amdhsa_kernel _ZN7rocprim17ROCPRIM_400000_NS6detail17trampoline_kernelINS0_14default_configENS1_35radix_sort_onesweep_config_selectorIiiEEZNS1_34radix_sort_onesweep_global_offsetsIS3_Lb0EPiS7_jNS0_19identity_decomposerEEE10hipError_tT1_T2_PT3_SC_jT4_jjP12ihipStream_tbEUlT_E0_NS1_11comp_targetILNS1_3genE3ELNS1_11target_archE908ELNS1_3gpuE7ELNS1_3repE0EEENS1_52radix_sort_onesweep_histogram_config_static_selectorELNS0_4arch9wavefront6targetE1EEEvSA_
		.amdhsa_group_segment_fixed_size 0
		.amdhsa_private_segment_fixed_size 0
		.amdhsa_kernarg_size 8
		.amdhsa_user_sgpr_count 6
		.amdhsa_user_sgpr_private_segment_buffer 1
		.amdhsa_user_sgpr_dispatch_ptr 0
		.amdhsa_user_sgpr_queue_ptr 0
		.amdhsa_user_sgpr_kernarg_segment_ptr 1
		.amdhsa_user_sgpr_dispatch_id 0
		.amdhsa_user_sgpr_flat_scratch_init 0
		.amdhsa_user_sgpr_kernarg_preload_length 0
		.amdhsa_user_sgpr_kernarg_preload_offset 0
		.amdhsa_user_sgpr_private_segment_size 0
		.amdhsa_uses_dynamic_stack 0
		.amdhsa_system_sgpr_private_segment_wavefront_offset 0
		.amdhsa_system_sgpr_workgroup_id_x 1
		.amdhsa_system_sgpr_workgroup_id_y 0
		.amdhsa_system_sgpr_workgroup_id_z 0
		.amdhsa_system_sgpr_workgroup_info 0
		.amdhsa_system_vgpr_workitem_id 0
		.amdhsa_next_free_vgpr 1
		.amdhsa_next_free_sgpr 0
		.amdhsa_accum_offset 4
		.amdhsa_reserve_vcc 0
		.amdhsa_reserve_flat_scratch 0
		.amdhsa_float_round_mode_32 0
		.amdhsa_float_round_mode_16_64 0
		.amdhsa_float_denorm_mode_32 3
		.amdhsa_float_denorm_mode_16_64 3
		.amdhsa_dx10_clamp 1
		.amdhsa_ieee_mode 1
		.amdhsa_fp16_overflow 0
		.amdhsa_tg_split 0
		.amdhsa_exception_fp_ieee_invalid_op 0
		.amdhsa_exception_fp_denorm_src 0
		.amdhsa_exception_fp_ieee_div_zero 0
		.amdhsa_exception_fp_ieee_overflow 0
		.amdhsa_exception_fp_ieee_underflow 0
		.amdhsa_exception_fp_ieee_inexact 0
		.amdhsa_exception_int_div_zero 0
	.end_amdhsa_kernel
	.section	.text._ZN7rocprim17ROCPRIM_400000_NS6detail17trampoline_kernelINS0_14default_configENS1_35radix_sort_onesweep_config_selectorIiiEEZNS1_34radix_sort_onesweep_global_offsetsIS3_Lb0EPiS7_jNS0_19identity_decomposerEEE10hipError_tT1_T2_PT3_SC_jT4_jjP12ihipStream_tbEUlT_E0_NS1_11comp_targetILNS1_3genE3ELNS1_11target_archE908ELNS1_3gpuE7ELNS1_3repE0EEENS1_52radix_sort_onesweep_histogram_config_static_selectorELNS0_4arch9wavefront6targetE1EEEvSA_,"axG",@progbits,_ZN7rocprim17ROCPRIM_400000_NS6detail17trampoline_kernelINS0_14default_configENS1_35radix_sort_onesweep_config_selectorIiiEEZNS1_34radix_sort_onesweep_global_offsetsIS3_Lb0EPiS7_jNS0_19identity_decomposerEEE10hipError_tT1_T2_PT3_SC_jT4_jjP12ihipStream_tbEUlT_E0_NS1_11comp_targetILNS1_3genE3ELNS1_11target_archE908ELNS1_3gpuE7ELNS1_3repE0EEENS1_52radix_sort_onesweep_histogram_config_static_selectorELNS0_4arch9wavefront6targetE1EEEvSA_,comdat
.Lfunc_end363:
	.size	_ZN7rocprim17ROCPRIM_400000_NS6detail17trampoline_kernelINS0_14default_configENS1_35radix_sort_onesweep_config_selectorIiiEEZNS1_34radix_sort_onesweep_global_offsetsIS3_Lb0EPiS7_jNS0_19identity_decomposerEEE10hipError_tT1_T2_PT3_SC_jT4_jjP12ihipStream_tbEUlT_E0_NS1_11comp_targetILNS1_3genE3ELNS1_11target_archE908ELNS1_3gpuE7ELNS1_3repE0EEENS1_52radix_sort_onesweep_histogram_config_static_selectorELNS0_4arch9wavefront6targetE1EEEvSA_, .Lfunc_end363-_ZN7rocprim17ROCPRIM_400000_NS6detail17trampoline_kernelINS0_14default_configENS1_35radix_sort_onesweep_config_selectorIiiEEZNS1_34radix_sort_onesweep_global_offsetsIS3_Lb0EPiS7_jNS0_19identity_decomposerEEE10hipError_tT1_T2_PT3_SC_jT4_jjP12ihipStream_tbEUlT_E0_NS1_11comp_targetILNS1_3genE3ELNS1_11target_archE908ELNS1_3gpuE7ELNS1_3repE0EEENS1_52radix_sort_onesweep_histogram_config_static_selectorELNS0_4arch9wavefront6targetE1EEEvSA_
                                        ; -- End function
	.section	.AMDGPU.csdata,"",@progbits
; Kernel info:
; codeLenInByte = 0
; NumSgprs: 4
; NumVgprs: 0
; NumAgprs: 0
; TotalNumVgprs: 0
; ScratchSize: 0
; MemoryBound: 0
; FloatMode: 240
; IeeeMode: 1
; LDSByteSize: 0 bytes/workgroup (compile time only)
; SGPRBlocks: 0
; VGPRBlocks: 0
; NumSGPRsForWavesPerEU: 4
; NumVGPRsForWavesPerEU: 1
; AccumOffset: 4
; Occupancy: 8
; WaveLimiterHint : 0
; COMPUTE_PGM_RSRC2:SCRATCH_EN: 0
; COMPUTE_PGM_RSRC2:USER_SGPR: 6
; COMPUTE_PGM_RSRC2:TRAP_HANDLER: 0
; COMPUTE_PGM_RSRC2:TGID_X_EN: 1
; COMPUTE_PGM_RSRC2:TGID_Y_EN: 0
; COMPUTE_PGM_RSRC2:TGID_Z_EN: 0
; COMPUTE_PGM_RSRC2:TIDIG_COMP_CNT: 0
; COMPUTE_PGM_RSRC3_GFX90A:ACCUM_OFFSET: 0
; COMPUTE_PGM_RSRC3_GFX90A:TG_SPLIT: 0
	.section	.text._ZN7rocprim17ROCPRIM_400000_NS6detail17trampoline_kernelINS0_14default_configENS1_35radix_sort_onesweep_config_selectorIiiEEZNS1_34radix_sort_onesweep_global_offsetsIS3_Lb0EPiS7_jNS0_19identity_decomposerEEE10hipError_tT1_T2_PT3_SC_jT4_jjP12ihipStream_tbEUlT_E0_NS1_11comp_targetILNS1_3genE10ELNS1_11target_archE1201ELNS1_3gpuE5ELNS1_3repE0EEENS1_52radix_sort_onesweep_histogram_config_static_selectorELNS0_4arch9wavefront6targetE1EEEvSA_,"axG",@progbits,_ZN7rocprim17ROCPRIM_400000_NS6detail17trampoline_kernelINS0_14default_configENS1_35radix_sort_onesweep_config_selectorIiiEEZNS1_34radix_sort_onesweep_global_offsetsIS3_Lb0EPiS7_jNS0_19identity_decomposerEEE10hipError_tT1_T2_PT3_SC_jT4_jjP12ihipStream_tbEUlT_E0_NS1_11comp_targetILNS1_3genE10ELNS1_11target_archE1201ELNS1_3gpuE5ELNS1_3repE0EEENS1_52radix_sort_onesweep_histogram_config_static_selectorELNS0_4arch9wavefront6targetE1EEEvSA_,comdat
	.protected	_ZN7rocprim17ROCPRIM_400000_NS6detail17trampoline_kernelINS0_14default_configENS1_35radix_sort_onesweep_config_selectorIiiEEZNS1_34radix_sort_onesweep_global_offsetsIS3_Lb0EPiS7_jNS0_19identity_decomposerEEE10hipError_tT1_T2_PT3_SC_jT4_jjP12ihipStream_tbEUlT_E0_NS1_11comp_targetILNS1_3genE10ELNS1_11target_archE1201ELNS1_3gpuE5ELNS1_3repE0EEENS1_52radix_sort_onesweep_histogram_config_static_selectorELNS0_4arch9wavefront6targetE1EEEvSA_ ; -- Begin function _ZN7rocprim17ROCPRIM_400000_NS6detail17trampoline_kernelINS0_14default_configENS1_35radix_sort_onesweep_config_selectorIiiEEZNS1_34radix_sort_onesweep_global_offsetsIS3_Lb0EPiS7_jNS0_19identity_decomposerEEE10hipError_tT1_T2_PT3_SC_jT4_jjP12ihipStream_tbEUlT_E0_NS1_11comp_targetILNS1_3genE10ELNS1_11target_archE1201ELNS1_3gpuE5ELNS1_3repE0EEENS1_52radix_sort_onesweep_histogram_config_static_selectorELNS0_4arch9wavefront6targetE1EEEvSA_
	.globl	_ZN7rocprim17ROCPRIM_400000_NS6detail17trampoline_kernelINS0_14default_configENS1_35radix_sort_onesweep_config_selectorIiiEEZNS1_34radix_sort_onesweep_global_offsetsIS3_Lb0EPiS7_jNS0_19identity_decomposerEEE10hipError_tT1_T2_PT3_SC_jT4_jjP12ihipStream_tbEUlT_E0_NS1_11comp_targetILNS1_3genE10ELNS1_11target_archE1201ELNS1_3gpuE5ELNS1_3repE0EEENS1_52radix_sort_onesweep_histogram_config_static_selectorELNS0_4arch9wavefront6targetE1EEEvSA_
	.p2align	8
	.type	_ZN7rocprim17ROCPRIM_400000_NS6detail17trampoline_kernelINS0_14default_configENS1_35radix_sort_onesweep_config_selectorIiiEEZNS1_34radix_sort_onesweep_global_offsetsIS3_Lb0EPiS7_jNS0_19identity_decomposerEEE10hipError_tT1_T2_PT3_SC_jT4_jjP12ihipStream_tbEUlT_E0_NS1_11comp_targetILNS1_3genE10ELNS1_11target_archE1201ELNS1_3gpuE5ELNS1_3repE0EEENS1_52radix_sort_onesweep_histogram_config_static_selectorELNS0_4arch9wavefront6targetE1EEEvSA_,@function
_ZN7rocprim17ROCPRIM_400000_NS6detail17trampoline_kernelINS0_14default_configENS1_35radix_sort_onesweep_config_selectorIiiEEZNS1_34radix_sort_onesweep_global_offsetsIS3_Lb0EPiS7_jNS0_19identity_decomposerEEE10hipError_tT1_T2_PT3_SC_jT4_jjP12ihipStream_tbEUlT_E0_NS1_11comp_targetILNS1_3genE10ELNS1_11target_archE1201ELNS1_3gpuE5ELNS1_3repE0EEENS1_52radix_sort_onesweep_histogram_config_static_selectorELNS0_4arch9wavefront6targetE1EEEvSA_: ; @_ZN7rocprim17ROCPRIM_400000_NS6detail17trampoline_kernelINS0_14default_configENS1_35radix_sort_onesweep_config_selectorIiiEEZNS1_34radix_sort_onesweep_global_offsetsIS3_Lb0EPiS7_jNS0_19identity_decomposerEEE10hipError_tT1_T2_PT3_SC_jT4_jjP12ihipStream_tbEUlT_E0_NS1_11comp_targetILNS1_3genE10ELNS1_11target_archE1201ELNS1_3gpuE5ELNS1_3repE0EEENS1_52radix_sort_onesweep_histogram_config_static_selectorELNS0_4arch9wavefront6targetE1EEEvSA_
; %bb.0:
	.section	.rodata,"a",@progbits
	.p2align	6, 0x0
	.amdhsa_kernel _ZN7rocprim17ROCPRIM_400000_NS6detail17trampoline_kernelINS0_14default_configENS1_35radix_sort_onesweep_config_selectorIiiEEZNS1_34radix_sort_onesweep_global_offsetsIS3_Lb0EPiS7_jNS0_19identity_decomposerEEE10hipError_tT1_T2_PT3_SC_jT4_jjP12ihipStream_tbEUlT_E0_NS1_11comp_targetILNS1_3genE10ELNS1_11target_archE1201ELNS1_3gpuE5ELNS1_3repE0EEENS1_52radix_sort_onesweep_histogram_config_static_selectorELNS0_4arch9wavefront6targetE1EEEvSA_
		.amdhsa_group_segment_fixed_size 0
		.amdhsa_private_segment_fixed_size 0
		.amdhsa_kernarg_size 8
		.amdhsa_user_sgpr_count 6
		.amdhsa_user_sgpr_private_segment_buffer 1
		.amdhsa_user_sgpr_dispatch_ptr 0
		.amdhsa_user_sgpr_queue_ptr 0
		.amdhsa_user_sgpr_kernarg_segment_ptr 1
		.amdhsa_user_sgpr_dispatch_id 0
		.amdhsa_user_sgpr_flat_scratch_init 0
		.amdhsa_user_sgpr_kernarg_preload_length 0
		.amdhsa_user_sgpr_kernarg_preload_offset 0
		.amdhsa_user_sgpr_private_segment_size 0
		.amdhsa_uses_dynamic_stack 0
		.amdhsa_system_sgpr_private_segment_wavefront_offset 0
		.amdhsa_system_sgpr_workgroup_id_x 1
		.amdhsa_system_sgpr_workgroup_id_y 0
		.amdhsa_system_sgpr_workgroup_id_z 0
		.amdhsa_system_sgpr_workgroup_info 0
		.amdhsa_system_vgpr_workitem_id 0
		.amdhsa_next_free_vgpr 1
		.amdhsa_next_free_sgpr 0
		.amdhsa_accum_offset 4
		.amdhsa_reserve_vcc 0
		.amdhsa_reserve_flat_scratch 0
		.amdhsa_float_round_mode_32 0
		.amdhsa_float_round_mode_16_64 0
		.amdhsa_float_denorm_mode_32 3
		.amdhsa_float_denorm_mode_16_64 3
		.amdhsa_dx10_clamp 1
		.amdhsa_ieee_mode 1
		.amdhsa_fp16_overflow 0
		.amdhsa_tg_split 0
		.amdhsa_exception_fp_ieee_invalid_op 0
		.amdhsa_exception_fp_denorm_src 0
		.amdhsa_exception_fp_ieee_div_zero 0
		.amdhsa_exception_fp_ieee_overflow 0
		.amdhsa_exception_fp_ieee_underflow 0
		.amdhsa_exception_fp_ieee_inexact 0
		.amdhsa_exception_int_div_zero 0
	.end_amdhsa_kernel
	.section	.text._ZN7rocprim17ROCPRIM_400000_NS6detail17trampoline_kernelINS0_14default_configENS1_35radix_sort_onesweep_config_selectorIiiEEZNS1_34radix_sort_onesweep_global_offsetsIS3_Lb0EPiS7_jNS0_19identity_decomposerEEE10hipError_tT1_T2_PT3_SC_jT4_jjP12ihipStream_tbEUlT_E0_NS1_11comp_targetILNS1_3genE10ELNS1_11target_archE1201ELNS1_3gpuE5ELNS1_3repE0EEENS1_52radix_sort_onesweep_histogram_config_static_selectorELNS0_4arch9wavefront6targetE1EEEvSA_,"axG",@progbits,_ZN7rocprim17ROCPRIM_400000_NS6detail17trampoline_kernelINS0_14default_configENS1_35radix_sort_onesweep_config_selectorIiiEEZNS1_34radix_sort_onesweep_global_offsetsIS3_Lb0EPiS7_jNS0_19identity_decomposerEEE10hipError_tT1_T2_PT3_SC_jT4_jjP12ihipStream_tbEUlT_E0_NS1_11comp_targetILNS1_3genE10ELNS1_11target_archE1201ELNS1_3gpuE5ELNS1_3repE0EEENS1_52radix_sort_onesweep_histogram_config_static_selectorELNS0_4arch9wavefront6targetE1EEEvSA_,comdat
.Lfunc_end364:
	.size	_ZN7rocprim17ROCPRIM_400000_NS6detail17trampoline_kernelINS0_14default_configENS1_35radix_sort_onesweep_config_selectorIiiEEZNS1_34radix_sort_onesweep_global_offsetsIS3_Lb0EPiS7_jNS0_19identity_decomposerEEE10hipError_tT1_T2_PT3_SC_jT4_jjP12ihipStream_tbEUlT_E0_NS1_11comp_targetILNS1_3genE10ELNS1_11target_archE1201ELNS1_3gpuE5ELNS1_3repE0EEENS1_52radix_sort_onesweep_histogram_config_static_selectorELNS0_4arch9wavefront6targetE1EEEvSA_, .Lfunc_end364-_ZN7rocprim17ROCPRIM_400000_NS6detail17trampoline_kernelINS0_14default_configENS1_35radix_sort_onesweep_config_selectorIiiEEZNS1_34radix_sort_onesweep_global_offsetsIS3_Lb0EPiS7_jNS0_19identity_decomposerEEE10hipError_tT1_T2_PT3_SC_jT4_jjP12ihipStream_tbEUlT_E0_NS1_11comp_targetILNS1_3genE10ELNS1_11target_archE1201ELNS1_3gpuE5ELNS1_3repE0EEENS1_52radix_sort_onesweep_histogram_config_static_selectorELNS0_4arch9wavefront6targetE1EEEvSA_
                                        ; -- End function
	.section	.AMDGPU.csdata,"",@progbits
; Kernel info:
; codeLenInByte = 0
; NumSgprs: 4
; NumVgprs: 0
; NumAgprs: 0
; TotalNumVgprs: 0
; ScratchSize: 0
; MemoryBound: 0
; FloatMode: 240
; IeeeMode: 1
; LDSByteSize: 0 bytes/workgroup (compile time only)
; SGPRBlocks: 0
; VGPRBlocks: 0
; NumSGPRsForWavesPerEU: 4
; NumVGPRsForWavesPerEU: 1
; AccumOffset: 4
; Occupancy: 8
; WaveLimiterHint : 0
; COMPUTE_PGM_RSRC2:SCRATCH_EN: 0
; COMPUTE_PGM_RSRC2:USER_SGPR: 6
; COMPUTE_PGM_RSRC2:TRAP_HANDLER: 0
; COMPUTE_PGM_RSRC2:TGID_X_EN: 1
; COMPUTE_PGM_RSRC2:TGID_Y_EN: 0
; COMPUTE_PGM_RSRC2:TGID_Z_EN: 0
; COMPUTE_PGM_RSRC2:TIDIG_COMP_CNT: 0
; COMPUTE_PGM_RSRC3_GFX90A:ACCUM_OFFSET: 0
; COMPUTE_PGM_RSRC3_GFX90A:TG_SPLIT: 0
	.section	.text._ZN7rocprim17ROCPRIM_400000_NS6detail17trampoline_kernelINS0_14default_configENS1_35radix_sort_onesweep_config_selectorIiiEEZNS1_34radix_sort_onesweep_global_offsetsIS3_Lb0EPiS7_jNS0_19identity_decomposerEEE10hipError_tT1_T2_PT3_SC_jT4_jjP12ihipStream_tbEUlT_E0_NS1_11comp_targetILNS1_3genE9ELNS1_11target_archE1100ELNS1_3gpuE3ELNS1_3repE0EEENS1_52radix_sort_onesweep_histogram_config_static_selectorELNS0_4arch9wavefront6targetE1EEEvSA_,"axG",@progbits,_ZN7rocprim17ROCPRIM_400000_NS6detail17trampoline_kernelINS0_14default_configENS1_35radix_sort_onesweep_config_selectorIiiEEZNS1_34radix_sort_onesweep_global_offsetsIS3_Lb0EPiS7_jNS0_19identity_decomposerEEE10hipError_tT1_T2_PT3_SC_jT4_jjP12ihipStream_tbEUlT_E0_NS1_11comp_targetILNS1_3genE9ELNS1_11target_archE1100ELNS1_3gpuE3ELNS1_3repE0EEENS1_52radix_sort_onesweep_histogram_config_static_selectorELNS0_4arch9wavefront6targetE1EEEvSA_,comdat
	.protected	_ZN7rocprim17ROCPRIM_400000_NS6detail17trampoline_kernelINS0_14default_configENS1_35radix_sort_onesweep_config_selectorIiiEEZNS1_34radix_sort_onesweep_global_offsetsIS3_Lb0EPiS7_jNS0_19identity_decomposerEEE10hipError_tT1_T2_PT3_SC_jT4_jjP12ihipStream_tbEUlT_E0_NS1_11comp_targetILNS1_3genE9ELNS1_11target_archE1100ELNS1_3gpuE3ELNS1_3repE0EEENS1_52radix_sort_onesweep_histogram_config_static_selectorELNS0_4arch9wavefront6targetE1EEEvSA_ ; -- Begin function _ZN7rocprim17ROCPRIM_400000_NS6detail17trampoline_kernelINS0_14default_configENS1_35radix_sort_onesweep_config_selectorIiiEEZNS1_34radix_sort_onesweep_global_offsetsIS3_Lb0EPiS7_jNS0_19identity_decomposerEEE10hipError_tT1_T2_PT3_SC_jT4_jjP12ihipStream_tbEUlT_E0_NS1_11comp_targetILNS1_3genE9ELNS1_11target_archE1100ELNS1_3gpuE3ELNS1_3repE0EEENS1_52radix_sort_onesweep_histogram_config_static_selectorELNS0_4arch9wavefront6targetE1EEEvSA_
	.globl	_ZN7rocprim17ROCPRIM_400000_NS6detail17trampoline_kernelINS0_14default_configENS1_35radix_sort_onesweep_config_selectorIiiEEZNS1_34radix_sort_onesweep_global_offsetsIS3_Lb0EPiS7_jNS0_19identity_decomposerEEE10hipError_tT1_T2_PT3_SC_jT4_jjP12ihipStream_tbEUlT_E0_NS1_11comp_targetILNS1_3genE9ELNS1_11target_archE1100ELNS1_3gpuE3ELNS1_3repE0EEENS1_52radix_sort_onesweep_histogram_config_static_selectorELNS0_4arch9wavefront6targetE1EEEvSA_
	.p2align	8
	.type	_ZN7rocprim17ROCPRIM_400000_NS6detail17trampoline_kernelINS0_14default_configENS1_35radix_sort_onesweep_config_selectorIiiEEZNS1_34radix_sort_onesweep_global_offsetsIS3_Lb0EPiS7_jNS0_19identity_decomposerEEE10hipError_tT1_T2_PT3_SC_jT4_jjP12ihipStream_tbEUlT_E0_NS1_11comp_targetILNS1_3genE9ELNS1_11target_archE1100ELNS1_3gpuE3ELNS1_3repE0EEENS1_52radix_sort_onesweep_histogram_config_static_selectorELNS0_4arch9wavefront6targetE1EEEvSA_,@function
_ZN7rocprim17ROCPRIM_400000_NS6detail17trampoline_kernelINS0_14default_configENS1_35radix_sort_onesweep_config_selectorIiiEEZNS1_34radix_sort_onesweep_global_offsetsIS3_Lb0EPiS7_jNS0_19identity_decomposerEEE10hipError_tT1_T2_PT3_SC_jT4_jjP12ihipStream_tbEUlT_E0_NS1_11comp_targetILNS1_3genE9ELNS1_11target_archE1100ELNS1_3gpuE3ELNS1_3repE0EEENS1_52radix_sort_onesweep_histogram_config_static_selectorELNS0_4arch9wavefront6targetE1EEEvSA_: ; @_ZN7rocprim17ROCPRIM_400000_NS6detail17trampoline_kernelINS0_14default_configENS1_35radix_sort_onesweep_config_selectorIiiEEZNS1_34radix_sort_onesweep_global_offsetsIS3_Lb0EPiS7_jNS0_19identity_decomposerEEE10hipError_tT1_T2_PT3_SC_jT4_jjP12ihipStream_tbEUlT_E0_NS1_11comp_targetILNS1_3genE9ELNS1_11target_archE1100ELNS1_3gpuE3ELNS1_3repE0EEENS1_52radix_sort_onesweep_histogram_config_static_selectorELNS0_4arch9wavefront6targetE1EEEvSA_
; %bb.0:
	.section	.rodata,"a",@progbits
	.p2align	6, 0x0
	.amdhsa_kernel _ZN7rocprim17ROCPRIM_400000_NS6detail17trampoline_kernelINS0_14default_configENS1_35radix_sort_onesweep_config_selectorIiiEEZNS1_34radix_sort_onesweep_global_offsetsIS3_Lb0EPiS7_jNS0_19identity_decomposerEEE10hipError_tT1_T2_PT3_SC_jT4_jjP12ihipStream_tbEUlT_E0_NS1_11comp_targetILNS1_3genE9ELNS1_11target_archE1100ELNS1_3gpuE3ELNS1_3repE0EEENS1_52radix_sort_onesweep_histogram_config_static_selectorELNS0_4arch9wavefront6targetE1EEEvSA_
		.amdhsa_group_segment_fixed_size 0
		.amdhsa_private_segment_fixed_size 0
		.amdhsa_kernarg_size 8
		.amdhsa_user_sgpr_count 6
		.amdhsa_user_sgpr_private_segment_buffer 1
		.amdhsa_user_sgpr_dispatch_ptr 0
		.amdhsa_user_sgpr_queue_ptr 0
		.amdhsa_user_sgpr_kernarg_segment_ptr 1
		.amdhsa_user_sgpr_dispatch_id 0
		.amdhsa_user_sgpr_flat_scratch_init 0
		.amdhsa_user_sgpr_kernarg_preload_length 0
		.amdhsa_user_sgpr_kernarg_preload_offset 0
		.amdhsa_user_sgpr_private_segment_size 0
		.amdhsa_uses_dynamic_stack 0
		.amdhsa_system_sgpr_private_segment_wavefront_offset 0
		.amdhsa_system_sgpr_workgroup_id_x 1
		.amdhsa_system_sgpr_workgroup_id_y 0
		.amdhsa_system_sgpr_workgroup_id_z 0
		.amdhsa_system_sgpr_workgroup_info 0
		.amdhsa_system_vgpr_workitem_id 0
		.amdhsa_next_free_vgpr 1
		.amdhsa_next_free_sgpr 0
		.amdhsa_accum_offset 4
		.amdhsa_reserve_vcc 0
		.amdhsa_reserve_flat_scratch 0
		.amdhsa_float_round_mode_32 0
		.amdhsa_float_round_mode_16_64 0
		.amdhsa_float_denorm_mode_32 3
		.amdhsa_float_denorm_mode_16_64 3
		.amdhsa_dx10_clamp 1
		.amdhsa_ieee_mode 1
		.amdhsa_fp16_overflow 0
		.amdhsa_tg_split 0
		.amdhsa_exception_fp_ieee_invalid_op 0
		.amdhsa_exception_fp_denorm_src 0
		.amdhsa_exception_fp_ieee_div_zero 0
		.amdhsa_exception_fp_ieee_overflow 0
		.amdhsa_exception_fp_ieee_underflow 0
		.amdhsa_exception_fp_ieee_inexact 0
		.amdhsa_exception_int_div_zero 0
	.end_amdhsa_kernel
	.section	.text._ZN7rocprim17ROCPRIM_400000_NS6detail17trampoline_kernelINS0_14default_configENS1_35radix_sort_onesweep_config_selectorIiiEEZNS1_34radix_sort_onesweep_global_offsetsIS3_Lb0EPiS7_jNS0_19identity_decomposerEEE10hipError_tT1_T2_PT3_SC_jT4_jjP12ihipStream_tbEUlT_E0_NS1_11comp_targetILNS1_3genE9ELNS1_11target_archE1100ELNS1_3gpuE3ELNS1_3repE0EEENS1_52radix_sort_onesweep_histogram_config_static_selectorELNS0_4arch9wavefront6targetE1EEEvSA_,"axG",@progbits,_ZN7rocprim17ROCPRIM_400000_NS6detail17trampoline_kernelINS0_14default_configENS1_35radix_sort_onesweep_config_selectorIiiEEZNS1_34radix_sort_onesweep_global_offsetsIS3_Lb0EPiS7_jNS0_19identity_decomposerEEE10hipError_tT1_T2_PT3_SC_jT4_jjP12ihipStream_tbEUlT_E0_NS1_11comp_targetILNS1_3genE9ELNS1_11target_archE1100ELNS1_3gpuE3ELNS1_3repE0EEENS1_52radix_sort_onesweep_histogram_config_static_selectorELNS0_4arch9wavefront6targetE1EEEvSA_,comdat
.Lfunc_end365:
	.size	_ZN7rocprim17ROCPRIM_400000_NS6detail17trampoline_kernelINS0_14default_configENS1_35radix_sort_onesweep_config_selectorIiiEEZNS1_34radix_sort_onesweep_global_offsetsIS3_Lb0EPiS7_jNS0_19identity_decomposerEEE10hipError_tT1_T2_PT3_SC_jT4_jjP12ihipStream_tbEUlT_E0_NS1_11comp_targetILNS1_3genE9ELNS1_11target_archE1100ELNS1_3gpuE3ELNS1_3repE0EEENS1_52radix_sort_onesweep_histogram_config_static_selectorELNS0_4arch9wavefront6targetE1EEEvSA_, .Lfunc_end365-_ZN7rocprim17ROCPRIM_400000_NS6detail17trampoline_kernelINS0_14default_configENS1_35radix_sort_onesweep_config_selectorIiiEEZNS1_34radix_sort_onesweep_global_offsetsIS3_Lb0EPiS7_jNS0_19identity_decomposerEEE10hipError_tT1_T2_PT3_SC_jT4_jjP12ihipStream_tbEUlT_E0_NS1_11comp_targetILNS1_3genE9ELNS1_11target_archE1100ELNS1_3gpuE3ELNS1_3repE0EEENS1_52radix_sort_onesweep_histogram_config_static_selectorELNS0_4arch9wavefront6targetE1EEEvSA_
                                        ; -- End function
	.section	.AMDGPU.csdata,"",@progbits
; Kernel info:
; codeLenInByte = 0
; NumSgprs: 4
; NumVgprs: 0
; NumAgprs: 0
; TotalNumVgprs: 0
; ScratchSize: 0
; MemoryBound: 0
; FloatMode: 240
; IeeeMode: 1
; LDSByteSize: 0 bytes/workgroup (compile time only)
; SGPRBlocks: 0
; VGPRBlocks: 0
; NumSGPRsForWavesPerEU: 4
; NumVGPRsForWavesPerEU: 1
; AccumOffset: 4
; Occupancy: 8
; WaveLimiterHint : 0
; COMPUTE_PGM_RSRC2:SCRATCH_EN: 0
; COMPUTE_PGM_RSRC2:USER_SGPR: 6
; COMPUTE_PGM_RSRC2:TRAP_HANDLER: 0
; COMPUTE_PGM_RSRC2:TGID_X_EN: 1
; COMPUTE_PGM_RSRC2:TGID_Y_EN: 0
; COMPUTE_PGM_RSRC2:TGID_Z_EN: 0
; COMPUTE_PGM_RSRC2:TIDIG_COMP_CNT: 0
; COMPUTE_PGM_RSRC3_GFX90A:ACCUM_OFFSET: 0
; COMPUTE_PGM_RSRC3_GFX90A:TG_SPLIT: 0
	.section	.text._ZN7rocprim17ROCPRIM_400000_NS6detail17trampoline_kernelINS0_14default_configENS1_35radix_sort_onesweep_config_selectorIiiEEZNS1_34radix_sort_onesweep_global_offsetsIS3_Lb0EPiS7_jNS0_19identity_decomposerEEE10hipError_tT1_T2_PT3_SC_jT4_jjP12ihipStream_tbEUlT_E0_NS1_11comp_targetILNS1_3genE8ELNS1_11target_archE1030ELNS1_3gpuE2ELNS1_3repE0EEENS1_52radix_sort_onesweep_histogram_config_static_selectorELNS0_4arch9wavefront6targetE1EEEvSA_,"axG",@progbits,_ZN7rocprim17ROCPRIM_400000_NS6detail17trampoline_kernelINS0_14default_configENS1_35radix_sort_onesweep_config_selectorIiiEEZNS1_34radix_sort_onesweep_global_offsetsIS3_Lb0EPiS7_jNS0_19identity_decomposerEEE10hipError_tT1_T2_PT3_SC_jT4_jjP12ihipStream_tbEUlT_E0_NS1_11comp_targetILNS1_3genE8ELNS1_11target_archE1030ELNS1_3gpuE2ELNS1_3repE0EEENS1_52radix_sort_onesweep_histogram_config_static_selectorELNS0_4arch9wavefront6targetE1EEEvSA_,comdat
	.protected	_ZN7rocprim17ROCPRIM_400000_NS6detail17trampoline_kernelINS0_14default_configENS1_35radix_sort_onesweep_config_selectorIiiEEZNS1_34radix_sort_onesweep_global_offsetsIS3_Lb0EPiS7_jNS0_19identity_decomposerEEE10hipError_tT1_T2_PT3_SC_jT4_jjP12ihipStream_tbEUlT_E0_NS1_11comp_targetILNS1_3genE8ELNS1_11target_archE1030ELNS1_3gpuE2ELNS1_3repE0EEENS1_52radix_sort_onesweep_histogram_config_static_selectorELNS0_4arch9wavefront6targetE1EEEvSA_ ; -- Begin function _ZN7rocprim17ROCPRIM_400000_NS6detail17trampoline_kernelINS0_14default_configENS1_35radix_sort_onesweep_config_selectorIiiEEZNS1_34radix_sort_onesweep_global_offsetsIS3_Lb0EPiS7_jNS0_19identity_decomposerEEE10hipError_tT1_T2_PT3_SC_jT4_jjP12ihipStream_tbEUlT_E0_NS1_11comp_targetILNS1_3genE8ELNS1_11target_archE1030ELNS1_3gpuE2ELNS1_3repE0EEENS1_52radix_sort_onesweep_histogram_config_static_selectorELNS0_4arch9wavefront6targetE1EEEvSA_
	.globl	_ZN7rocprim17ROCPRIM_400000_NS6detail17trampoline_kernelINS0_14default_configENS1_35radix_sort_onesweep_config_selectorIiiEEZNS1_34radix_sort_onesweep_global_offsetsIS3_Lb0EPiS7_jNS0_19identity_decomposerEEE10hipError_tT1_T2_PT3_SC_jT4_jjP12ihipStream_tbEUlT_E0_NS1_11comp_targetILNS1_3genE8ELNS1_11target_archE1030ELNS1_3gpuE2ELNS1_3repE0EEENS1_52radix_sort_onesweep_histogram_config_static_selectorELNS0_4arch9wavefront6targetE1EEEvSA_
	.p2align	8
	.type	_ZN7rocprim17ROCPRIM_400000_NS6detail17trampoline_kernelINS0_14default_configENS1_35radix_sort_onesweep_config_selectorIiiEEZNS1_34radix_sort_onesweep_global_offsetsIS3_Lb0EPiS7_jNS0_19identity_decomposerEEE10hipError_tT1_T2_PT3_SC_jT4_jjP12ihipStream_tbEUlT_E0_NS1_11comp_targetILNS1_3genE8ELNS1_11target_archE1030ELNS1_3gpuE2ELNS1_3repE0EEENS1_52radix_sort_onesweep_histogram_config_static_selectorELNS0_4arch9wavefront6targetE1EEEvSA_,@function
_ZN7rocprim17ROCPRIM_400000_NS6detail17trampoline_kernelINS0_14default_configENS1_35radix_sort_onesweep_config_selectorIiiEEZNS1_34radix_sort_onesweep_global_offsetsIS3_Lb0EPiS7_jNS0_19identity_decomposerEEE10hipError_tT1_T2_PT3_SC_jT4_jjP12ihipStream_tbEUlT_E0_NS1_11comp_targetILNS1_3genE8ELNS1_11target_archE1030ELNS1_3gpuE2ELNS1_3repE0EEENS1_52radix_sort_onesweep_histogram_config_static_selectorELNS0_4arch9wavefront6targetE1EEEvSA_: ; @_ZN7rocprim17ROCPRIM_400000_NS6detail17trampoline_kernelINS0_14default_configENS1_35radix_sort_onesweep_config_selectorIiiEEZNS1_34radix_sort_onesweep_global_offsetsIS3_Lb0EPiS7_jNS0_19identity_decomposerEEE10hipError_tT1_T2_PT3_SC_jT4_jjP12ihipStream_tbEUlT_E0_NS1_11comp_targetILNS1_3genE8ELNS1_11target_archE1030ELNS1_3gpuE2ELNS1_3repE0EEENS1_52radix_sort_onesweep_histogram_config_static_selectorELNS0_4arch9wavefront6targetE1EEEvSA_
; %bb.0:
	.section	.rodata,"a",@progbits
	.p2align	6, 0x0
	.amdhsa_kernel _ZN7rocprim17ROCPRIM_400000_NS6detail17trampoline_kernelINS0_14default_configENS1_35radix_sort_onesweep_config_selectorIiiEEZNS1_34radix_sort_onesweep_global_offsetsIS3_Lb0EPiS7_jNS0_19identity_decomposerEEE10hipError_tT1_T2_PT3_SC_jT4_jjP12ihipStream_tbEUlT_E0_NS1_11comp_targetILNS1_3genE8ELNS1_11target_archE1030ELNS1_3gpuE2ELNS1_3repE0EEENS1_52radix_sort_onesweep_histogram_config_static_selectorELNS0_4arch9wavefront6targetE1EEEvSA_
		.amdhsa_group_segment_fixed_size 0
		.amdhsa_private_segment_fixed_size 0
		.amdhsa_kernarg_size 8
		.amdhsa_user_sgpr_count 6
		.amdhsa_user_sgpr_private_segment_buffer 1
		.amdhsa_user_sgpr_dispatch_ptr 0
		.amdhsa_user_sgpr_queue_ptr 0
		.amdhsa_user_sgpr_kernarg_segment_ptr 1
		.amdhsa_user_sgpr_dispatch_id 0
		.amdhsa_user_sgpr_flat_scratch_init 0
		.amdhsa_user_sgpr_kernarg_preload_length 0
		.amdhsa_user_sgpr_kernarg_preload_offset 0
		.amdhsa_user_sgpr_private_segment_size 0
		.amdhsa_uses_dynamic_stack 0
		.amdhsa_system_sgpr_private_segment_wavefront_offset 0
		.amdhsa_system_sgpr_workgroup_id_x 1
		.amdhsa_system_sgpr_workgroup_id_y 0
		.amdhsa_system_sgpr_workgroup_id_z 0
		.amdhsa_system_sgpr_workgroup_info 0
		.amdhsa_system_vgpr_workitem_id 0
		.amdhsa_next_free_vgpr 1
		.amdhsa_next_free_sgpr 0
		.amdhsa_accum_offset 4
		.amdhsa_reserve_vcc 0
		.amdhsa_reserve_flat_scratch 0
		.amdhsa_float_round_mode_32 0
		.amdhsa_float_round_mode_16_64 0
		.amdhsa_float_denorm_mode_32 3
		.amdhsa_float_denorm_mode_16_64 3
		.amdhsa_dx10_clamp 1
		.amdhsa_ieee_mode 1
		.amdhsa_fp16_overflow 0
		.amdhsa_tg_split 0
		.amdhsa_exception_fp_ieee_invalid_op 0
		.amdhsa_exception_fp_denorm_src 0
		.amdhsa_exception_fp_ieee_div_zero 0
		.amdhsa_exception_fp_ieee_overflow 0
		.amdhsa_exception_fp_ieee_underflow 0
		.amdhsa_exception_fp_ieee_inexact 0
		.amdhsa_exception_int_div_zero 0
	.end_amdhsa_kernel
	.section	.text._ZN7rocprim17ROCPRIM_400000_NS6detail17trampoline_kernelINS0_14default_configENS1_35radix_sort_onesweep_config_selectorIiiEEZNS1_34radix_sort_onesweep_global_offsetsIS3_Lb0EPiS7_jNS0_19identity_decomposerEEE10hipError_tT1_T2_PT3_SC_jT4_jjP12ihipStream_tbEUlT_E0_NS1_11comp_targetILNS1_3genE8ELNS1_11target_archE1030ELNS1_3gpuE2ELNS1_3repE0EEENS1_52radix_sort_onesweep_histogram_config_static_selectorELNS0_4arch9wavefront6targetE1EEEvSA_,"axG",@progbits,_ZN7rocprim17ROCPRIM_400000_NS6detail17trampoline_kernelINS0_14default_configENS1_35radix_sort_onesweep_config_selectorIiiEEZNS1_34radix_sort_onesweep_global_offsetsIS3_Lb0EPiS7_jNS0_19identity_decomposerEEE10hipError_tT1_T2_PT3_SC_jT4_jjP12ihipStream_tbEUlT_E0_NS1_11comp_targetILNS1_3genE8ELNS1_11target_archE1030ELNS1_3gpuE2ELNS1_3repE0EEENS1_52radix_sort_onesweep_histogram_config_static_selectorELNS0_4arch9wavefront6targetE1EEEvSA_,comdat
.Lfunc_end366:
	.size	_ZN7rocprim17ROCPRIM_400000_NS6detail17trampoline_kernelINS0_14default_configENS1_35radix_sort_onesweep_config_selectorIiiEEZNS1_34radix_sort_onesweep_global_offsetsIS3_Lb0EPiS7_jNS0_19identity_decomposerEEE10hipError_tT1_T2_PT3_SC_jT4_jjP12ihipStream_tbEUlT_E0_NS1_11comp_targetILNS1_3genE8ELNS1_11target_archE1030ELNS1_3gpuE2ELNS1_3repE0EEENS1_52radix_sort_onesweep_histogram_config_static_selectorELNS0_4arch9wavefront6targetE1EEEvSA_, .Lfunc_end366-_ZN7rocprim17ROCPRIM_400000_NS6detail17trampoline_kernelINS0_14default_configENS1_35radix_sort_onesweep_config_selectorIiiEEZNS1_34radix_sort_onesweep_global_offsetsIS3_Lb0EPiS7_jNS0_19identity_decomposerEEE10hipError_tT1_T2_PT3_SC_jT4_jjP12ihipStream_tbEUlT_E0_NS1_11comp_targetILNS1_3genE8ELNS1_11target_archE1030ELNS1_3gpuE2ELNS1_3repE0EEENS1_52radix_sort_onesweep_histogram_config_static_selectorELNS0_4arch9wavefront6targetE1EEEvSA_
                                        ; -- End function
	.section	.AMDGPU.csdata,"",@progbits
; Kernel info:
; codeLenInByte = 0
; NumSgprs: 4
; NumVgprs: 0
; NumAgprs: 0
; TotalNumVgprs: 0
; ScratchSize: 0
; MemoryBound: 0
; FloatMode: 240
; IeeeMode: 1
; LDSByteSize: 0 bytes/workgroup (compile time only)
; SGPRBlocks: 0
; VGPRBlocks: 0
; NumSGPRsForWavesPerEU: 4
; NumVGPRsForWavesPerEU: 1
; AccumOffset: 4
; Occupancy: 8
; WaveLimiterHint : 0
; COMPUTE_PGM_RSRC2:SCRATCH_EN: 0
; COMPUTE_PGM_RSRC2:USER_SGPR: 6
; COMPUTE_PGM_RSRC2:TRAP_HANDLER: 0
; COMPUTE_PGM_RSRC2:TGID_X_EN: 1
; COMPUTE_PGM_RSRC2:TGID_Y_EN: 0
; COMPUTE_PGM_RSRC2:TGID_Z_EN: 0
; COMPUTE_PGM_RSRC2:TIDIG_COMP_CNT: 0
; COMPUTE_PGM_RSRC3_GFX90A:ACCUM_OFFSET: 0
; COMPUTE_PGM_RSRC3_GFX90A:TG_SPLIT: 0
	.section	.text._ZN7rocprim17ROCPRIM_400000_NS6detail17trampoline_kernelINS0_14default_configENS1_35radix_sort_onesweep_config_selectorIiiEEZZNS1_29radix_sort_onesweep_iterationIS3_Lb0EPiS7_S7_S7_jNS0_19identity_decomposerENS1_16block_id_wrapperIjLb1EEEEE10hipError_tT1_PNSt15iterator_traitsISC_E10value_typeET2_T3_PNSD_ISI_E10value_typeET4_T5_PSN_SO_PNS1_23onesweep_lookback_stateEbbT6_jjT7_P12ihipStream_tbENKUlT_T0_SC_SH_E_clIS7_S7_S7_S7_EEDaSV_SW_SC_SH_EUlSV_E_NS1_11comp_targetILNS1_3genE0ELNS1_11target_archE4294967295ELNS1_3gpuE0ELNS1_3repE0EEENS1_47radix_sort_onesweep_sort_config_static_selectorELNS0_4arch9wavefront6targetE1EEEvSC_,"axG",@progbits,_ZN7rocprim17ROCPRIM_400000_NS6detail17trampoline_kernelINS0_14default_configENS1_35radix_sort_onesweep_config_selectorIiiEEZZNS1_29radix_sort_onesweep_iterationIS3_Lb0EPiS7_S7_S7_jNS0_19identity_decomposerENS1_16block_id_wrapperIjLb1EEEEE10hipError_tT1_PNSt15iterator_traitsISC_E10value_typeET2_T3_PNSD_ISI_E10value_typeET4_T5_PSN_SO_PNS1_23onesweep_lookback_stateEbbT6_jjT7_P12ihipStream_tbENKUlT_T0_SC_SH_E_clIS7_S7_S7_S7_EEDaSV_SW_SC_SH_EUlSV_E_NS1_11comp_targetILNS1_3genE0ELNS1_11target_archE4294967295ELNS1_3gpuE0ELNS1_3repE0EEENS1_47radix_sort_onesweep_sort_config_static_selectorELNS0_4arch9wavefront6targetE1EEEvSC_,comdat
	.protected	_ZN7rocprim17ROCPRIM_400000_NS6detail17trampoline_kernelINS0_14default_configENS1_35radix_sort_onesweep_config_selectorIiiEEZZNS1_29radix_sort_onesweep_iterationIS3_Lb0EPiS7_S7_S7_jNS0_19identity_decomposerENS1_16block_id_wrapperIjLb1EEEEE10hipError_tT1_PNSt15iterator_traitsISC_E10value_typeET2_T3_PNSD_ISI_E10value_typeET4_T5_PSN_SO_PNS1_23onesweep_lookback_stateEbbT6_jjT7_P12ihipStream_tbENKUlT_T0_SC_SH_E_clIS7_S7_S7_S7_EEDaSV_SW_SC_SH_EUlSV_E_NS1_11comp_targetILNS1_3genE0ELNS1_11target_archE4294967295ELNS1_3gpuE0ELNS1_3repE0EEENS1_47radix_sort_onesweep_sort_config_static_selectorELNS0_4arch9wavefront6targetE1EEEvSC_ ; -- Begin function _ZN7rocprim17ROCPRIM_400000_NS6detail17trampoline_kernelINS0_14default_configENS1_35radix_sort_onesweep_config_selectorIiiEEZZNS1_29radix_sort_onesweep_iterationIS3_Lb0EPiS7_S7_S7_jNS0_19identity_decomposerENS1_16block_id_wrapperIjLb1EEEEE10hipError_tT1_PNSt15iterator_traitsISC_E10value_typeET2_T3_PNSD_ISI_E10value_typeET4_T5_PSN_SO_PNS1_23onesweep_lookback_stateEbbT6_jjT7_P12ihipStream_tbENKUlT_T0_SC_SH_E_clIS7_S7_S7_S7_EEDaSV_SW_SC_SH_EUlSV_E_NS1_11comp_targetILNS1_3genE0ELNS1_11target_archE4294967295ELNS1_3gpuE0ELNS1_3repE0EEENS1_47radix_sort_onesweep_sort_config_static_selectorELNS0_4arch9wavefront6targetE1EEEvSC_
	.globl	_ZN7rocprim17ROCPRIM_400000_NS6detail17trampoline_kernelINS0_14default_configENS1_35radix_sort_onesweep_config_selectorIiiEEZZNS1_29radix_sort_onesweep_iterationIS3_Lb0EPiS7_S7_S7_jNS0_19identity_decomposerENS1_16block_id_wrapperIjLb1EEEEE10hipError_tT1_PNSt15iterator_traitsISC_E10value_typeET2_T3_PNSD_ISI_E10value_typeET4_T5_PSN_SO_PNS1_23onesweep_lookback_stateEbbT6_jjT7_P12ihipStream_tbENKUlT_T0_SC_SH_E_clIS7_S7_S7_S7_EEDaSV_SW_SC_SH_EUlSV_E_NS1_11comp_targetILNS1_3genE0ELNS1_11target_archE4294967295ELNS1_3gpuE0ELNS1_3repE0EEENS1_47radix_sort_onesweep_sort_config_static_selectorELNS0_4arch9wavefront6targetE1EEEvSC_
	.p2align	8
	.type	_ZN7rocprim17ROCPRIM_400000_NS6detail17trampoline_kernelINS0_14default_configENS1_35radix_sort_onesweep_config_selectorIiiEEZZNS1_29radix_sort_onesweep_iterationIS3_Lb0EPiS7_S7_S7_jNS0_19identity_decomposerENS1_16block_id_wrapperIjLb1EEEEE10hipError_tT1_PNSt15iterator_traitsISC_E10value_typeET2_T3_PNSD_ISI_E10value_typeET4_T5_PSN_SO_PNS1_23onesweep_lookback_stateEbbT6_jjT7_P12ihipStream_tbENKUlT_T0_SC_SH_E_clIS7_S7_S7_S7_EEDaSV_SW_SC_SH_EUlSV_E_NS1_11comp_targetILNS1_3genE0ELNS1_11target_archE4294967295ELNS1_3gpuE0ELNS1_3repE0EEENS1_47radix_sort_onesweep_sort_config_static_selectorELNS0_4arch9wavefront6targetE1EEEvSC_,@function
_ZN7rocprim17ROCPRIM_400000_NS6detail17trampoline_kernelINS0_14default_configENS1_35radix_sort_onesweep_config_selectorIiiEEZZNS1_29radix_sort_onesweep_iterationIS3_Lb0EPiS7_S7_S7_jNS0_19identity_decomposerENS1_16block_id_wrapperIjLb1EEEEE10hipError_tT1_PNSt15iterator_traitsISC_E10value_typeET2_T3_PNSD_ISI_E10value_typeET4_T5_PSN_SO_PNS1_23onesweep_lookback_stateEbbT6_jjT7_P12ihipStream_tbENKUlT_T0_SC_SH_E_clIS7_S7_S7_S7_EEDaSV_SW_SC_SH_EUlSV_E_NS1_11comp_targetILNS1_3genE0ELNS1_11target_archE4294967295ELNS1_3gpuE0ELNS1_3repE0EEENS1_47radix_sort_onesweep_sort_config_static_selectorELNS0_4arch9wavefront6targetE1EEEvSC_: ; @_ZN7rocprim17ROCPRIM_400000_NS6detail17trampoline_kernelINS0_14default_configENS1_35radix_sort_onesweep_config_selectorIiiEEZZNS1_29radix_sort_onesweep_iterationIS3_Lb0EPiS7_S7_S7_jNS0_19identity_decomposerENS1_16block_id_wrapperIjLb1EEEEE10hipError_tT1_PNSt15iterator_traitsISC_E10value_typeET2_T3_PNSD_ISI_E10value_typeET4_T5_PSN_SO_PNS1_23onesweep_lookback_stateEbbT6_jjT7_P12ihipStream_tbENKUlT_T0_SC_SH_E_clIS7_S7_S7_S7_EEDaSV_SW_SC_SH_EUlSV_E_NS1_11comp_targetILNS1_3genE0ELNS1_11target_archE4294967295ELNS1_3gpuE0ELNS1_3repE0EEENS1_47radix_sort_onesweep_sort_config_static_selectorELNS0_4arch9wavefront6targetE1EEEvSC_
; %bb.0:
	.section	.rodata,"a",@progbits
	.p2align	6, 0x0
	.amdhsa_kernel _ZN7rocprim17ROCPRIM_400000_NS6detail17trampoline_kernelINS0_14default_configENS1_35radix_sort_onesweep_config_selectorIiiEEZZNS1_29radix_sort_onesweep_iterationIS3_Lb0EPiS7_S7_S7_jNS0_19identity_decomposerENS1_16block_id_wrapperIjLb1EEEEE10hipError_tT1_PNSt15iterator_traitsISC_E10value_typeET2_T3_PNSD_ISI_E10value_typeET4_T5_PSN_SO_PNS1_23onesweep_lookback_stateEbbT6_jjT7_P12ihipStream_tbENKUlT_T0_SC_SH_E_clIS7_S7_S7_S7_EEDaSV_SW_SC_SH_EUlSV_E_NS1_11comp_targetILNS1_3genE0ELNS1_11target_archE4294967295ELNS1_3gpuE0ELNS1_3repE0EEENS1_47radix_sort_onesweep_sort_config_static_selectorELNS0_4arch9wavefront6targetE1EEEvSC_
		.amdhsa_group_segment_fixed_size 0
		.amdhsa_private_segment_fixed_size 0
		.amdhsa_kernarg_size 88
		.amdhsa_user_sgpr_count 6
		.amdhsa_user_sgpr_private_segment_buffer 1
		.amdhsa_user_sgpr_dispatch_ptr 0
		.amdhsa_user_sgpr_queue_ptr 0
		.amdhsa_user_sgpr_kernarg_segment_ptr 1
		.amdhsa_user_sgpr_dispatch_id 0
		.amdhsa_user_sgpr_flat_scratch_init 0
		.amdhsa_user_sgpr_kernarg_preload_length 0
		.amdhsa_user_sgpr_kernarg_preload_offset 0
		.amdhsa_user_sgpr_private_segment_size 0
		.amdhsa_uses_dynamic_stack 0
		.amdhsa_system_sgpr_private_segment_wavefront_offset 0
		.amdhsa_system_sgpr_workgroup_id_x 1
		.amdhsa_system_sgpr_workgroup_id_y 0
		.amdhsa_system_sgpr_workgroup_id_z 0
		.amdhsa_system_sgpr_workgroup_info 0
		.amdhsa_system_vgpr_workitem_id 0
		.amdhsa_next_free_vgpr 1
		.amdhsa_next_free_sgpr 0
		.amdhsa_accum_offset 4
		.amdhsa_reserve_vcc 0
		.amdhsa_reserve_flat_scratch 0
		.amdhsa_float_round_mode_32 0
		.amdhsa_float_round_mode_16_64 0
		.amdhsa_float_denorm_mode_32 3
		.amdhsa_float_denorm_mode_16_64 3
		.amdhsa_dx10_clamp 1
		.amdhsa_ieee_mode 1
		.amdhsa_fp16_overflow 0
		.amdhsa_tg_split 0
		.amdhsa_exception_fp_ieee_invalid_op 0
		.amdhsa_exception_fp_denorm_src 0
		.amdhsa_exception_fp_ieee_div_zero 0
		.amdhsa_exception_fp_ieee_overflow 0
		.amdhsa_exception_fp_ieee_underflow 0
		.amdhsa_exception_fp_ieee_inexact 0
		.amdhsa_exception_int_div_zero 0
	.end_amdhsa_kernel
	.section	.text._ZN7rocprim17ROCPRIM_400000_NS6detail17trampoline_kernelINS0_14default_configENS1_35radix_sort_onesweep_config_selectorIiiEEZZNS1_29radix_sort_onesweep_iterationIS3_Lb0EPiS7_S7_S7_jNS0_19identity_decomposerENS1_16block_id_wrapperIjLb1EEEEE10hipError_tT1_PNSt15iterator_traitsISC_E10value_typeET2_T3_PNSD_ISI_E10value_typeET4_T5_PSN_SO_PNS1_23onesweep_lookback_stateEbbT6_jjT7_P12ihipStream_tbENKUlT_T0_SC_SH_E_clIS7_S7_S7_S7_EEDaSV_SW_SC_SH_EUlSV_E_NS1_11comp_targetILNS1_3genE0ELNS1_11target_archE4294967295ELNS1_3gpuE0ELNS1_3repE0EEENS1_47radix_sort_onesweep_sort_config_static_selectorELNS0_4arch9wavefront6targetE1EEEvSC_,"axG",@progbits,_ZN7rocprim17ROCPRIM_400000_NS6detail17trampoline_kernelINS0_14default_configENS1_35radix_sort_onesweep_config_selectorIiiEEZZNS1_29radix_sort_onesweep_iterationIS3_Lb0EPiS7_S7_S7_jNS0_19identity_decomposerENS1_16block_id_wrapperIjLb1EEEEE10hipError_tT1_PNSt15iterator_traitsISC_E10value_typeET2_T3_PNSD_ISI_E10value_typeET4_T5_PSN_SO_PNS1_23onesweep_lookback_stateEbbT6_jjT7_P12ihipStream_tbENKUlT_T0_SC_SH_E_clIS7_S7_S7_S7_EEDaSV_SW_SC_SH_EUlSV_E_NS1_11comp_targetILNS1_3genE0ELNS1_11target_archE4294967295ELNS1_3gpuE0ELNS1_3repE0EEENS1_47radix_sort_onesweep_sort_config_static_selectorELNS0_4arch9wavefront6targetE1EEEvSC_,comdat
.Lfunc_end367:
	.size	_ZN7rocprim17ROCPRIM_400000_NS6detail17trampoline_kernelINS0_14default_configENS1_35radix_sort_onesweep_config_selectorIiiEEZZNS1_29radix_sort_onesweep_iterationIS3_Lb0EPiS7_S7_S7_jNS0_19identity_decomposerENS1_16block_id_wrapperIjLb1EEEEE10hipError_tT1_PNSt15iterator_traitsISC_E10value_typeET2_T3_PNSD_ISI_E10value_typeET4_T5_PSN_SO_PNS1_23onesweep_lookback_stateEbbT6_jjT7_P12ihipStream_tbENKUlT_T0_SC_SH_E_clIS7_S7_S7_S7_EEDaSV_SW_SC_SH_EUlSV_E_NS1_11comp_targetILNS1_3genE0ELNS1_11target_archE4294967295ELNS1_3gpuE0ELNS1_3repE0EEENS1_47radix_sort_onesweep_sort_config_static_selectorELNS0_4arch9wavefront6targetE1EEEvSC_, .Lfunc_end367-_ZN7rocprim17ROCPRIM_400000_NS6detail17trampoline_kernelINS0_14default_configENS1_35radix_sort_onesweep_config_selectorIiiEEZZNS1_29radix_sort_onesweep_iterationIS3_Lb0EPiS7_S7_S7_jNS0_19identity_decomposerENS1_16block_id_wrapperIjLb1EEEEE10hipError_tT1_PNSt15iterator_traitsISC_E10value_typeET2_T3_PNSD_ISI_E10value_typeET4_T5_PSN_SO_PNS1_23onesweep_lookback_stateEbbT6_jjT7_P12ihipStream_tbENKUlT_T0_SC_SH_E_clIS7_S7_S7_S7_EEDaSV_SW_SC_SH_EUlSV_E_NS1_11comp_targetILNS1_3genE0ELNS1_11target_archE4294967295ELNS1_3gpuE0ELNS1_3repE0EEENS1_47radix_sort_onesweep_sort_config_static_selectorELNS0_4arch9wavefront6targetE1EEEvSC_
                                        ; -- End function
	.section	.AMDGPU.csdata,"",@progbits
; Kernel info:
; codeLenInByte = 0
; NumSgprs: 4
; NumVgprs: 0
; NumAgprs: 0
; TotalNumVgprs: 0
; ScratchSize: 0
; MemoryBound: 0
; FloatMode: 240
; IeeeMode: 1
; LDSByteSize: 0 bytes/workgroup (compile time only)
; SGPRBlocks: 0
; VGPRBlocks: 0
; NumSGPRsForWavesPerEU: 4
; NumVGPRsForWavesPerEU: 1
; AccumOffset: 4
; Occupancy: 8
; WaveLimiterHint : 0
; COMPUTE_PGM_RSRC2:SCRATCH_EN: 0
; COMPUTE_PGM_RSRC2:USER_SGPR: 6
; COMPUTE_PGM_RSRC2:TRAP_HANDLER: 0
; COMPUTE_PGM_RSRC2:TGID_X_EN: 1
; COMPUTE_PGM_RSRC2:TGID_Y_EN: 0
; COMPUTE_PGM_RSRC2:TGID_Z_EN: 0
; COMPUTE_PGM_RSRC2:TIDIG_COMP_CNT: 0
; COMPUTE_PGM_RSRC3_GFX90A:ACCUM_OFFSET: 0
; COMPUTE_PGM_RSRC3_GFX90A:TG_SPLIT: 0
	.section	.text._ZN7rocprim17ROCPRIM_400000_NS6detail17trampoline_kernelINS0_14default_configENS1_35radix_sort_onesweep_config_selectorIiiEEZZNS1_29radix_sort_onesweep_iterationIS3_Lb0EPiS7_S7_S7_jNS0_19identity_decomposerENS1_16block_id_wrapperIjLb1EEEEE10hipError_tT1_PNSt15iterator_traitsISC_E10value_typeET2_T3_PNSD_ISI_E10value_typeET4_T5_PSN_SO_PNS1_23onesweep_lookback_stateEbbT6_jjT7_P12ihipStream_tbENKUlT_T0_SC_SH_E_clIS7_S7_S7_S7_EEDaSV_SW_SC_SH_EUlSV_E_NS1_11comp_targetILNS1_3genE6ELNS1_11target_archE950ELNS1_3gpuE13ELNS1_3repE0EEENS1_47radix_sort_onesweep_sort_config_static_selectorELNS0_4arch9wavefront6targetE1EEEvSC_,"axG",@progbits,_ZN7rocprim17ROCPRIM_400000_NS6detail17trampoline_kernelINS0_14default_configENS1_35radix_sort_onesweep_config_selectorIiiEEZZNS1_29radix_sort_onesweep_iterationIS3_Lb0EPiS7_S7_S7_jNS0_19identity_decomposerENS1_16block_id_wrapperIjLb1EEEEE10hipError_tT1_PNSt15iterator_traitsISC_E10value_typeET2_T3_PNSD_ISI_E10value_typeET4_T5_PSN_SO_PNS1_23onesweep_lookback_stateEbbT6_jjT7_P12ihipStream_tbENKUlT_T0_SC_SH_E_clIS7_S7_S7_S7_EEDaSV_SW_SC_SH_EUlSV_E_NS1_11comp_targetILNS1_3genE6ELNS1_11target_archE950ELNS1_3gpuE13ELNS1_3repE0EEENS1_47radix_sort_onesweep_sort_config_static_selectorELNS0_4arch9wavefront6targetE1EEEvSC_,comdat
	.protected	_ZN7rocprim17ROCPRIM_400000_NS6detail17trampoline_kernelINS0_14default_configENS1_35radix_sort_onesweep_config_selectorIiiEEZZNS1_29radix_sort_onesweep_iterationIS3_Lb0EPiS7_S7_S7_jNS0_19identity_decomposerENS1_16block_id_wrapperIjLb1EEEEE10hipError_tT1_PNSt15iterator_traitsISC_E10value_typeET2_T3_PNSD_ISI_E10value_typeET4_T5_PSN_SO_PNS1_23onesweep_lookback_stateEbbT6_jjT7_P12ihipStream_tbENKUlT_T0_SC_SH_E_clIS7_S7_S7_S7_EEDaSV_SW_SC_SH_EUlSV_E_NS1_11comp_targetILNS1_3genE6ELNS1_11target_archE950ELNS1_3gpuE13ELNS1_3repE0EEENS1_47radix_sort_onesweep_sort_config_static_selectorELNS0_4arch9wavefront6targetE1EEEvSC_ ; -- Begin function _ZN7rocprim17ROCPRIM_400000_NS6detail17trampoline_kernelINS0_14default_configENS1_35radix_sort_onesweep_config_selectorIiiEEZZNS1_29radix_sort_onesweep_iterationIS3_Lb0EPiS7_S7_S7_jNS0_19identity_decomposerENS1_16block_id_wrapperIjLb1EEEEE10hipError_tT1_PNSt15iterator_traitsISC_E10value_typeET2_T3_PNSD_ISI_E10value_typeET4_T5_PSN_SO_PNS1_23onesweep_lookback_stateEbbT6_jjT7_P12ihipStream_tbENKUlT_T0_SC_SH_E_clIS7_S7_S7_S7_EEDaSV_SW_SC_SH_EUlSV_E_NS1_11comp_targetILNS1_3genE6ELNS1_11target_archE950ELNS1_3gpuE13ELNS1_3repE0EEENS1_47radix_sort_onesweep_sort_config_static_selectorELNS0_4arch9wavefront6targetE1EEEvSC_
	.globl	_ZN7rocprim17ROCPRIM_400000_NS6detail17trampoline_kernelINS0_14default_configENS1_35radix_sort_onesweep_config_selectorIiiEEZZNS1_29radix_sort_onesweep_iterationIS3_Lb0EPiS7_S7_S7_jNS0_19identity_decomposerENS1_16block_id_wrapperIjLb1EEEEE10hipError_tT1_PNSt15iterator_traitsISC_E10value_typeET2_T3_PNSD_ISI_E10value_typeET4_T5_PSN_SO_PNS1_23onesweep_lookback_stateEbbT6_jjT7_P12ihipStream_tbENKUlT_T0_SC_SH_E_clIS7_S7_S7_S7_EEDaSV_SW_SC_SH_EUlSV_E_NS1_11comp_targetILNS1_3genE6ELNS1_11target_archE950ELNS1_3gpuE13ELNS1_3repE0EEENS1_47radix_sort_onesweep_sort_config_static_selectorELNS0_4arch9wavefront6targetE1EEEvSC_
	.p2align	8
	.type	_ZN7rocprim17ROCPRIM_400000_NS6detail17trampoline_kernelINS0_14default_configENS1_35radix_sort_onesweep_config_selectorIiiEEZZNS1_29radix_sort_onesweep_iterationIS3_Lb0EPiS7_S7_S7_jNS0_19identity_decomposerENS1_16block_id_wrapperIjLb1EEEEE10hipError_tT1_PNSt15iterator_traitsISC_E10value_typeET2_T3_PNSD_ISI_E10value_typeET4_T5_PSN_SO_PNS1_23onesweep_lookback_stateEbbT6_jjT7_P12ihipStream_tbENKUlT_T0_SC_SH_E_clIS7_S7_S7_S7_EEDaSV_SW_SC_SH_EUlSV_E_NS1_11comp_targetILNS1_3genE6ELNS1_11target_archE950ELNS1_3gpuE13ELNS1_3repE0EEENS1_47radix_sort_onesweep_sort_config_static_selectorELNS0_4arch9wavefront6targetE1EEEvSC_,@function
_ZN7rocprim17ROCPRIM_400000_NS6detail17trampoline_kernelINS0_14default_configENS1_35radix_sort_onesweep_config_selectorIiiEEZZNS1_29radix_sort_onesweep_iterationIS3_Lb0EPiS7_S7_S7_jNS0_19identity_decomposerENS1_16block_id_wrapperIjLb1EEEEE10hipError_tT1_PNSt15iterator_traitsISC_E10value_typeET2_T3_PNSD_ISI_E10value_typeET4_T5_PSN_SO_PNS1_23onesweep_lookback_stateEbbT6_jjT7_P12ihipStream_tbENKUlT_T0_SC_SH_E_clIS7_S7_S7_S7_EEDaSV_SW_SC_SH_EUlSV_E_NS1_11comp_targetILNS1_3genE6ELNS1_11target_archE950ELNS1_3gpuE13ELNS1_3repE0EEENS1_47radix_sort_onesweep_sort_config_static_selectorELNS0_4arch9wavefront6targetE1EEEvSC_: ; @_ZN7rocprim17ROCPRIM_400000_NS6detail17trampoline_kernelINS0_14default_configENS1_35radix_sort_onesweep_config_selectorIiiEEZZNS1_29radix_sort_onesweep_iterationIS3_Lb0EPiS7_S7_S7_jNS0_19identity_decomposerENS1_16block_id_wrapperIjLb1EEEEE10hipError_tT1_PNSt15iterator_traitsISC_E10value_typeET2_T3_PNSD_ISI_E10value_typeET4_T5_PSN_SO_PNS1_23onesweep_lookback_stateEbbT6_jjT7_P12ihipStream_tbENKUlT_T0_SC_SH_E_clIS7_S7_S7_S7_EEDaSV_SW_SC_SH_EUlSV_E_NS1_11comp_targetILNS1_3genE6ELNS1_11target_archE950ELNS1_3gpuE13ELNS1_3repE0EEENS1_47radix_sort_onesweep_sort_config_static_selectorELNS0_4arch9wavefront6targetE1EEEvSC_
; %bb.0:
	.section	.rodata,"a",@progbits
	.p2align	6, 0x0
	.amdhsa_kernel _ZN7rocprim17ROCPRIM_400000_NS6detail17trampoline_kernelINS0_14default_configENS1_35radix_sort_onesweep_config_selectorIiiEEZZNS1_29radix_sort_onesweep_iterationIS3_Lb0EPiS7_S7_S7_jNS0_19identity_decomposerENS1_16block_id_wrapperIjLb1EEEEE10hipError_tT1_PNSt15iterator_traitsISC_E10value_typeET2_T3_PNSD_ISI_E10value_typeET4_T5_PSN_SO_PNS1_23onesweep_lookback_stateEbbT6_jjT7_P12ihipStream_tbENKUlT_T0_SC_SH_E_clIS7_S7_S7_S7_EEDaSV_SW_SC_SH_EUlSV_E_NS1_11comp_targetILNS1_3genE6ELNS1_11target_archE950ELNS1_3gpuE13ELNS1_3repE0EEENS1_47radix_sort_onesweep_sort_config_static_selectorELNS0_4arch9wavefront6targetE1EEEvSC_
		.amdhsa_group_segment_fixed_size 0
		.amdhsa_private_segment_fixed_size 0
		.amdhsa_kernarg_size 88
		.amdhsa_user_sgpr_count 6
		.amdhsa_user_sgpr_private_segment_buffer 1
		.amdhsa_user_sgpr_dispatch_ptr 0
		.amdhsa_user_sgpr_queue_ptr 0
		.amdhsa_user_sgpr_kernarg_segment_ptr 1
		.amdhsa_user_sgpr_dispatch_id 0
		.amdhsa_user_sgpr_flat_scratch_init 0
		.amdhsa_user_sgpr_kernarg_preload_length 0
		.amdhsa_user_sgpr_kernarg_preload_offset 0
		.amdhsa_user_sgpr_private_segment_size 0
		.amdhsa_uses_dynamic_stack 0
		.amdhsa_system_sgpr_private_segment_wavefront_offset 0
		.amdhsa_system_sgpr_workgroup_id_x 1
		.amdhsa_system_sgpr_workgroup_id_y 0
		.amdhsa_system_sgpr_workgroup_id_z 0
		.amdhsa_system_sgpr_workgroup_info 0
		.amdhsa_system_vgpr_workitem_id 0
		.amdhsa_next_free_vgpr 1
		.amdhsa_next_free_sgpr 0
		.amdhsa_accum_offset 4
		.amdhsa_reserve_vcc 0
		.amdhsa_reserve_flat_scratch 0
		.amdhsa_float_round_mode_32 0
		.amdhsa_float_round_mode_16_64 0
		.amdhsa_float_denorm_mode_32 3
		.amdhsa_float_denorm_mode_16_64 3
		.amdhsa_dx10_clamp 1
		.amdhsa_ieee_mode 1
		.amdhsa_fp16_overflow 0
		.amdhsa_tg_split 0
		.amdhsa_exception_fp_ieee_invalid_op 0
		.amdhsa_exception_fp_denorm_src 0
		.amdhsa_exception_fp_ieee_div_zero 0
		.amdhsa_exception_fp_ieee_overflow 0
		.amdhsa_exception_fp_ieee_underflow 0
		.amdhsa_exception_fp_ieee_inexact 0
		.amdhsa_exception_int_div_zero 0
	.end_amdhsa_kernel
	.section	.text._ZN7rocprim17ROCPRIM_400000_NS6detail17trampoline_kernelINS0_14default_configENS1_35radix_sort_onesweep_config_selectorIiiEEZZNS1_29radix_sort_onesweep_iterationIS3_Lb0EPiS7_S7_S7_jNS0_19identity_decomposerENS1_16block_id_wrapperIjLb1EEEEE10hipError_tT1_PNSt15iterator_traitsISC_E10value_typeET2_T3_PNSD_ISI_E10value_typeET4_T5_PSN_SO_PNS1_23onesweep_lookback_stateEbbT6_jjT7_P12ihipStream_tbENKUlT_T0_SC_SH_E_clIS7_S7_S7_S7_EEDaSV_SW_SC_SH_EUlSV_E_NS1_11comp_targetILNS1_3genE6ELNS1_11target_archE950ELNS1_3gpuE13ELNS1_3repE0EEENS1_47radix_sort_onesweep_sort_config_static_selectorELNS0_4arch9wavefront6targetE1EEEvSC_,"axG",@progbits,_ZN7rocprim17ROCPRIM_400000_NS6detail17trampoline_kernelINS0_14default_configENS1_35radix_sort_onesweep_config_selectorIiiEEZZNS1_29radix_sort_onesweep_iterationIS3_Lb0EPiS7_S7_S7_jNS0_19identity_decomposerENS1_16block_id_wrapperIjLb1EEEEE10hipError_tT1_PNSt15iterator_traitsISC_E10value_typeET2_T3_PNSD_ISI_E10value_typeET4_T5_PSN_SO_PNS1_23onesweep_lookback_stateEbbT6_jjT7_P12ihipStream_tbENKUlT_T0_SC_SH_E_clIS7_S7_S7_S7_EEDaSV_SW_SC_SH_EUlSV_E_NS1_11comp_targetILNS1_3genE6ELNS1_11target_archE950ELNS1_3gpuE13ELNS1_3repE0EEENS1_47radix_sort_onesweep_sort_config_static_selectorELNS0_4arch9wavefront6targetE1EEEvSC_,comdat
.Lfunc_end368:
	.size	_ZN7rocprim17ROCPRIM_400000_NS6detail17trampoline_kernelINS0_14default_configENS1_35radix_sort_onesweep_config_selectorIiiEEZZNS1_29radix_sort_onesweep_iterationIS3_Lb0EPiS7_S7_S7_jNS0_19identity_decomposerENS1_16block_id_wrapperIjLb1EEEEE10hipError_tT1_PNSt15iterator_traitsISC_E10value_typeET2_T3_PNSD_ISI_E10value_typeET4_T5_PSN_SO_PNS1_23onesweep_lookback_stateEbbT6_jjT7_P12ihipStream_tbENKUlT_T0_SC_SH_E_clIS7_S7_S7_S7_EEDaSV_SW_SC_SH_EUlSV_E_NS1_11comp_targetILNS1_3genE6ELNS1_11target_archE950ELNS1_3gpuE13ELNS1_3repE0EEENS1_47radix_sort_onesweep_sort_config_static_selectorELNS0_4arch9wavefront6targetE1EEEvSC_, .Lfunc_end368-_ZN7rocprim17ROCPRIM_400000_NS6detail17trampoline_kernelINS0_14default_configENS1_35radix_sort_onesweep_config_selectorIiiEEZZNS1_29radix_sort_onesweep_iterationIS3_Lb0EPiS7_S7_S7_jNS0_19identity_decomposerENS1_16block_id_wrapperIjLb1EEEEE10hipError_tT1_PNSt15iterator_traitsISC_E10value_typeET2_T3_PNSD_ISI_E10value_typeET4_T5_PSN_SO_PNS1_23onesweep_lookback_stateEbbT6_jjT7_P12ihipStream_tbENKUlT_T0_SC_SH_E_clIS7_S7_S7_S7_EEDaSV_SW_SC_SH_EUlSV_E_NS1_11comp_targetILNS1_3genE6ELNS1_11target_archE950ELNS1_3gpuE13ELNS1_3repE0EEENS1_47radix_sort_onesweep_sort_config_static_selectorELNS0_4arch9wavefront6targetE1EEEvSC_
                                        ; -- End function
	.section	.AMDGPU.csdata,"",@progbits
; Kernel info:
; codeLenInByte = 0
; NumSgprs: 4
; NumVgprs: 0
; NumAgprs: 0
; TotalNumVgprs: 0
; ScratchSize: 0
; MemoryBound: 0
; FloatMode: 240
; IeeeMode: 1
; LDSByteSize: 0 bytes/workgroup (compile time only)
; SGPRBlocks: 0
; VGPRBlocks: 0
; NumSGPRsForWavesPerEU: 4
; NumVGPRsForWavesPerEU: 1
; AccumOffset: 4
; Occupancy: 8
; WaveLimiterHint : 0
; COMPUTE_PGM_RSRC2:SCRATCH_EN: 0
; COMPUTE_PGM_RSRC2:USER_SGPR: 6
; COMPUTE_PGM_RSRC2:TRAP_HANDLER: 0
; COMPUTE_PGM_RSRC2:TGID_X_EN: 1
; COMPUTE_PGM_RSRC2:TGID_Y_EN: 0
; COMPUTE_PGM_RSRC2:TGID_Z_EN: 0
; COMPUTE_PGM_RSRC2:TIDIG_COMP_CNT: 0
; COMPUTE_PGM_RSRC3_GFX90A:ACCUM_OFFSET: 0
; COMPUTE_PGM_RSRC3_GFX90A:TG_SPLIT: 0
	.section	.text._ZN7rocprim17ROCPRIM_400000_NS6detail17trampoline_kernelINS0_14default_configENS1_35radix_sort_onesweep_config_selectorIiiEEZZNS1_29radix_sort_onesweep_iterationIS3_Lb0EPiS7_S7_S7_jNS0_19identity_decomposerENS1_16block_id_wrapperIjLb1EEEEE10hipError_tT1_PNSt15iterator_traitsISC_E10value_typeET2_T3_PNSD_ISI_E10value_typeET4_T5_PSN_SO_PNS1_23onesweep_lookback_stateEbbT6_jjT7_P12ihipStream_tbENKUlT_T0_SC_SH_E_clIS7_S7_S7_S7_EEDaSV_SW_SC_SH_EUlSV_E_NS1_11comp_targetILNS1_3genE5ELNS1_11target_archE942ELNS1_3gpuE9ELNS1_3repE0EEENS1_47radix_sort_onesweep_sort_config_static_selectorELNS0_4arch9wavefront6targetE1EEEvSC_,"axG",@progbits,_ZN7rocprim17ROCPRIM_400000_NS6detail17trampoline_kernelINS0_14default_configENS1_35radix_sort_onesweep_config_selectorIiiEEZZNS1_29radix_sort_onesweep_iterationIS3_Lb0EPiS7_S7_S7_jNS0_19identity_decomposerENS1_16block_id_wrapperIjLb1EEEEE10hipError_tT1_PNSt15iterator_traitsISC_E10value_typeET2_T3_PNSD_ISI_E10value_typeET4_T5_PSN_SO_PNS1_23onesweep_lookback_stateEbbT6_jjT7_P12ihipStream_tbENKUlT_T0_SC_SH_E_clIS7_S7_S7_S7_EEDaSV_SW_SC_SH_EUlSV_E_NS1_11comp_targetILNS1_3genE5ELNS1_11target_archE942ELNS1_3gpuE9ELNS1_3repE0EEENS1_47radix_sort_onesweep_sort_config_static_selectorELNS0_4arch9wavefront6targetE1EEEvSC_,comdat
	.protected	_ZN7rocprim17ROCPRIM_400000_NS6detail17trampoline_kernelINS0_14default_configENS1_35radix_sort_onesweep_config_selectorIiiEEZZNS1_29radix_sort_onesweep_iterationIS3_Lb0EPiS7_S7_S7_jNS0_19identity_decomposerENS1_16block_id_wrapperIjLb1EEEEE10hipError_tT1_PNSt15iterator_traitsISC_E10value_typeET2_T3_PNSD_ISI_E10value_typeET4_T5_PSN_SO_PNS1_23onesweep_lookback_stateEbbT6_jjT7_P12ihipStream_tbENKUlT_T0_SC_SH_E_clIS7_S7_S7_S7_EEDaSV_SW_SC_SH_EUlSV_E_NS1_11comp_targetILNS1_3genE5ELNS1_11target_archE942ELNS1_3gpuE9ELNS1_3repE0EEENS1_47radix_sort_onesweep_sort_config_static_selectorELNS0_4arch9wavefront6targetE1EEEvSC_ ; -- Begin function _ZN7rocprim17ROCPRIM_400000_NS6detail17trampoline_kernelINS0_14default_configENS1_35radix_sort_onesweep_config_selectorIiiEEZZNS1_29radix_sort_onesweep_iterationIS3_Lb0EPiS7_S7_S7_jNS0_19identity_decomposerENS1_16block_id_wrapperIjLb1EEEEE10hipError_tT1_PNSt15iterator_traitsISC_E10value_typeET2_T3_PNSD_ISI_E10value_typeET4_T5_PSN_SO_PNS1_23onesweep_lookback_stateEbbT6_jjT7_P12ihipStream_tbENKUlT_T0_SC_SH_E_clIS7_S7_S7_S7_EEDaSV_SW_SC_SH_EUlSV_E_NS1_11comp_targetILNS1_3genE5ELNS1_11target_archE942ELNS1_3gpuE9ELNS1_3repE0EEENS1_47radix_sort_onesweep_sort_config_static_selectorELNS0_4arch9wavefront6targetE1EEEvSC_
	.globl	_ZN7rocprim17ROCPRIM_400000_NS6detail17trampoline_kernelINS0_14default_configENS1_35radix_sort_onesweep_config_selectorIiiEEZZNS1_29radix_sort_onesweep_iterationIS3_Lb0EPiS7_S7_S7_jNS0_19identity_decomposerENS1_16block_id_wrapperIjLb1EEEEE10hipError_tT1_PNSt15iterator_traitsISC_E10value_typeET2_T3_PNSD_ISI_E10value_typeET4_T5_PSN_SO_PNS1_23onesweep_lookback_stateEbbT6_jjT7_P12ihipStream_tbENKUlT_T0_SC_SH_E_clIS7_S7_S7_S7_EEDaSV_SW_SC_SH_EUlSV_E_NS1_11comp_targetILNS1_3genE5ELNS1_11target_archE942ELNS1_3gpuE9ELNS1_3repE0EEENS1_47radix_sort_onesweep_sort_config_static_selectorELNS0_4arch9wavefront6targetE1EEEvSC_
	.p2align	8
	.type	_ZN7rocprim17ROCPRIM_400000_NS6detail17trampoline_kernelINS0_14default_configENS1_35radix_sort_onesweep_config_selectorIiiEEZZNS1_29radix_sort_onesweep_iterationIS3_Lb0EPiS7_S7_S7_jNS0_19identity_decomposerENS1_16block_id_wrapperIjLb1EEEEE10hipError_tT1_PNSt15iterator_traitsISC_E10value_typeET2_T3_PNSD_ISI_E10value_typeET4_T5_PSN_SO_PNS1_23onesweep_lookback_stateEbbT6_jjT7_P12ihipStream_tbENKUlT_T0_SC_SH_E_clIS7_S7_S7_S7_EEDaSV_SW_SC_SH_EUlSV_E_NS1_11comp_targetILNS1_3genE5ELNS1_11target_archE942ELNS1_3gpuE9ELNS1_3repE0EEENS1_47radix_sort_onesweep_sort_config_static_selectorELNS0_4arch9wavefront6targetE1EEEvSC_,@function
_ZN7rocprim17ROCPRIM_400000_NS6detail17trampoline_kernelINS0_14default_configENS1_35radix_sort_onesweep_config_selectorIiiEEZZNS1_29radix_sort_onesweep_iterationIS3_Lb0EPiS7_S7_S7_jNS0_19identity_decomposerENS1_16block_id_wrapperIjLb1EEEEE10hipError_tT1_PNSt15iterator_traitsISC_E10value_typeET2_T3_PNSD_ISI_E10value_typeET4_T5_PSN_SO_PNS1_23onesweep_lookback_stateEbbT6_jjT7_P12ihipStream_tbENKUlT_T0_SC_SH_E_clIS7_S7_S7_S7_EEDaSV_SW_SC_SH_EUlSV_E_NS1_11comp_targetILNS1_3genE5ELNS1_11target_archE942ELNS1_3gpuE9ELNS1_3repE0EEENS1_47radix_sort_onesweep_sort_config_static_selectorELNS0_4arch9wavefront6targetE1EEEvSC_: ; @_ZN7rocprim17ROCPRIM_400000_NS6detail17trampoline_kernelINS0_14default_configENS1_35radix_sort_onesweep_config_selectorIiiEEZZNS1_29radix_sort_onesweep_iterationIS3_Lb0EPiS7_S7_S7_jNS0_19identity_decomposerENS1_16block_id_wrapperIjLb1EEEEE10hipError_tT1_PNSt15iterator_traitsISC_E10value_typeET2_T3_PNSD_ISI_E10value_typeET4_T5_PSN_SO_PNS1_23onesweep_lookback_stateEbbT6_jjT7_P12ihipStream_tbENKUlT_T0_SC_SH_E_clIS7_S7_S7_S7_EEDaSV_SW_SC_SH_EUlSV_E_NS1_11comp_targetILNS1_3genE5ELNS1_11target_archE942ELNS1_3gpuE9ELNS1_3repE0EEENS1_47radix_sort_onesweep_sort_config_static_selectorELNS0_4arch9wavefront6targetE1EEEvSC_
; %bb.0:
	.section	.rodata,"a",@progbits
	.p2align	6, 0x0
	.amdhsa_kernel _ZN7rocprim17ROCPRIM_400000_NS6detail17trampoline_kernelINS0_14default_configENS1_35radix_sort_onesweep_config_selectorIiiEEZZNS1_29radix_sort_onesweep_iterationIS3_Lb0EPiS7_S7_S7_jNS0_19identity_decomposerENS1_16block_id_wrapperIjLb1EEEEE10hipError_tT1_PNSt15iterator_traitsISC_E10value_typeET2_T3_PNSD_ISI_E10value_typeET4_T5_PSN_SO_PNS1_23onesweep_lookback_stateEbbT6_jjT7_P12ihipStream_tbENKUlT_T0_SC_SH_E_clIS7_S7_S7_S7_EEDaSV_SW_SC_SH_EUlSV_E_NS1_11comp_targetILNS1_3genE5ELNS1_11target_archE942ELNS1_3gpuE9ELNS1_3repE0EEENS1_47radix_sort_onesweep_sort_config_static_selectorELNS0_4arch9wavefront6targetE1EEEvSC_
		.amdhsa_group_segment_fixed_size 0
		.amdhsa_private_segment_fixed_size 0
		.amdhsa_kernarg_size 88
		.amdhsa_user_sgpr_count 6
		.amdhsa_user_sgpr_private_segment_buffer 1
		.amdhsa_user_sgpr_dispatch_ptr 0
		.amdhsa_user_sgpr_queue_ptr 0
		.amdhsa_user_sgpr_kernarg_segment_ptr 1
		.amdhsa_user_sgpr_dispatch_id 0
		.amdhsa_user_sgpr_flat_scratch_init 0
		.amdhsa_user_sgpr_kernarg_preload_length 0
		.amdhsa_user_sgpr_kernarg_preload_offset 0
		.amdhsa_user_sgpr_private_segment_size 0
		.amdhsa_uses_dynamic_stack 0
		.amdhsa_system_sgpr_private_segment_wavefront_offset 0
		.amdhsa_system_sgpr_workgroup_id_x 1
		.amdhsa_system_sgpr_workgroup_id_y 0
		.amdhsa_system_sgpr_workgroup_id_z 0
		.amdhsa_system_sgpr_workgroup_info 0
		.amdhsa_system_vgpr_workitem_id 0
		.amdhsa_next_free_vgpr 1
		.amdhsa_next_free_sgpr 0
		.amdhsa_accum_offset 4
		.amdhsa_reserve_vcc 0
		.amdhsa_reserve_flat_scratch 0
		.amdhsa_float_round_mode_32 0
		.amdhsa_float_round_mode_16_64 0
		.amdhsa_float_denorm_mode_32 3
		.amdhsa_float_denorm_mode_16_64 3
		.amdhsa_dx10_clamp 1
		.amdhsa_ieee_mode 1
		.amdhsa_fp16_overflow 0
		.amdhsa_tg_split 0
		.amdhsa_exception_fp_ieee_invalid_op 0
		.amdhsa_exception_fp_denorm_src 0
		.amdhsa_exception_fp_ieee_div_zero 0
		.amdhsa_exception_fp_ieee_overflow 0
		.amdhsa_exception_fp_ieee_underflow 0
		.amdhsa_exception_fp_ieee_inexact 0
		.amdhsa_exception_int_div_zero 0
	.end_amdhsa_kernel
	.section	.text._ZN7rocprim17ROCPRIM_400000_NS6detail17trampoline_kernelINS0_14default_configENS1_35radix_sort_onesweep_config_selectorIiiEEZZNS1_29radix_sort_onesweep_iterationIS3_Lb0EPiS7_S7_S7_jNS0_19identity_decomposerENS1_16block_id_wrapperIjLb1EEEEE10hipError_tT1_PNSt15iterator_traitsISC_E10value_typeET2_T3_PNSD_ISI_E10value_typeET4_T5_PSN_SO_PNS1_23onesweep_lookback_stateEbbT6_jjT7_P12ihipStream_tbENKUlT_T0_SC_SH_E_clIS7_S7_S7_S7_EEDaSV_SW_SC_SH_EUlSV_E_NS1_11comp_targetILNS1_3genE5ELNS1_11target_archE942ELNS1_3gpuE9ELNS1_3repE0EEENS1_47radix_sort_onesweep_sort_config_static_selectorELNS0_4arch9wavefront6targetE1EEEvSC_,"axG",@progbits,_ZN7rocprim17ROCPRIM_400000_NS6detail17trampoline_kernelINS0_14default_configENS1_35radix_sort_onesweep_config_selectorIiiEEZZNS1_29radix_sort_onesweep_iterationIS3_Lb0EPiS7_S7_S7_jNS0_19identity_decomposerENS1_16block_id_wrapperIjLb1EEEEE10hipError_tT1_PNSt15iterator_traitsISC_E10value_typeET2_T3_PNSD_ISI_E10value_typeET4_T5_PSN_SO_PNS1_23onesweep_lookback_stateEbbT6_jjT7_P12ihipStream_tbENKUlT_T0_SC_SH_E_clIS7_S7_S7_S7_EEDaSV_SW_SC_SH_EUlSV_E_NS1_11comp_targetILNS1_3genE5ELNS1_11target_archE942ELNS1_3gpuE9ELNS1_3repE0EEENS1_47radix_sort_onesweep_sort_config_static_selectorELNS0_4arch9wavefront6targetE1EEEvSC_,comdat
.Lfunc_end369:
	.size	_ZN7rocprim17ROCPRIM_400000_NS6detail17trampoline_kernelINS0_14default_configENS1_35radix_sort_onesweep_config_selectorIiiEEZZNS1_29radix_sort_onesweep_iterationIS3_Lb0EPiS7_S7_S7_jNS0_19identity_decomposerENS1_16block_id_wrapperIjLb1EEEEE10hipError_tT1_PNSt15iterator_traitsISC_E10value_typeET2_T3_PNSD_ISI_E10value_typeET4_T5_PSN_SO_PNS1_23onesweep_lookback_stateEbbT6_jjT7_P12ihipStream_tbENKUlT_T0_SC_SH_E_clIS7_S7_S7_S7_EEDaSV_SW_SC_SH_EUlSV_E_NS1_11comp_targetILNS1_3genE5ELNS1_11target_archE942ELNS1_3gpuE9ELNS1_3repE0EEENS1_47radix_sort_onesweep_sort_config_static_selectorELNS0_4arch9wavefront6targetE1EEEvSC_, .Lfunc_end369-_ZN7rocprim17ROCPRIM_400000_NS6detail17trampoline_kernelINS0_14default_configENS1_35radix_sort_onesweep_config_selectorIiiEEZZNS1_29radix_sort_onesweep_iterationIS3_Lb0EPiS7_S7_S7_jNS0_19identity_decomposerENS1_16block_id_wrapperIjLb1EEEEE10hipError_tT1_PNSt15iterator_traitsISC_E10value_typeET2_T3_PNSD_ISI_E10value_typeET4_T5_PSN_SO_PNS1_23onesweep_lookback_stateEbbT6_jjT7_P12ihipStream_tbENKUlT_T0_SC_SH_E_clIS7_S7_S7_S7_EEDaSV_SW_SC_SH_EUlSV_E_NS1_11comp_targetILNS1_3genE5ELNS1_11target_archE942ELNS1_3gpuE9ELNS1_3repE0EEENS1_47radix_sort_onesweep_sort_config_static_selectorELNS0_4arch9wavefront6targetE1EEEvSC_
                                        ; -- End function
	.section	.AMDGPU.csdata,"",@progbits
; Kernel info:
; codeLenInByte = 0
; NumSgprs: 4
; NumVgprs: 0
; NumAgprs: 0
; TotalNumVgprs: 0
; ScratchSize: 0
; MemoryBound: 0
; FloatMode: 240
; IeeeMode: 1
; LDSByteSize: 0 bytes/workgroup (compile time only)
; SGPRBlocks: 0
; VGPRBlocks: 0
; NumSGPRsForWavesPerEU: 4
; NumVGPRsForWavesPerEU: 1
; AccumOffset: 4
; Occupancy: 8
; WaveLimiterHint : 0
; COMPUTE_PGM_RSRC2:SCRATCH_EN: 0
; COMPUTE_PGM_RSRC2:USER_SGPR: 6
; COMPUTE_PGM_RSRC2:TRAP_HANDLER: 0
; COMPUTE_PGM_RSRC2:TGID_X_EN: 1
; COMPUTE_PGM_RSRC2:TGID_Y_EN: 0
; COMPUTE_PGM_RSRC2:TGID_Z_EN: 0
; COMPUTE_PGM_RSRC2:TIDIG_COMP_CNT: 0
; COMPUTE_PGM_RSRC3_GFX90A:ACCUM_OFFSET: 0
; COMPUTE_PGM_RSRC3_GFX90A:TG_SPLIT: 0
	.section	.text._ZN7rocprim17ROCPRIM_400000_NS6detail17trampoline_kernelINS0_14default_configENS1_35radix_sort_onesweep_config_selectorIiiEEZZNS1_29radix_sort_onesweep_iterationIS3_Lb0EPiS7_S7_S7_jNS0_19identity_decomposerENS1_16block_id_wrapperIjLb1EEEEE10hipError_tT1_PNSt15iterator_traitsISC_E10value_typeET2_T3_PNSD_ISI_E10value_typeET4_T5_PSN_SO_PNS1_23onesweep_lookback_stateEbbT6_jjT7_P12ihipStream_tbENKUlT_T0_SC_SH_E_clIS7_S7_S7_S7_EEDaSV_SW_SC_SH_EUlSV_E_NS1_11comp_targetILNS1_3genE2ELNS1_11target_archE906ELNS1_3gpuE6ELNS1_3repE0EEENS1_47radix_sort_onesweep_sort_config_static_selectorELNS0_4arch9wavefront6targetE1EEEvSC_,"axG",@progbits,_ZN7rocprim17ROCPRIM_400000_NS6detail17trampoline_kernelINS0_14default_configENS1_35radix_sort_onesweep_config_selectorIiiEEZZNS1_29radix_sort_onesweep_iterationIS3_Lb0EPiS7_S7_S7_jNS0_19identity_decomposerENS1_16block_id_wrapperIjLb1EEEEE10hipError_tT1_PNSt15iterator_traitsISC_E10value_typeET2_T3_PNSD_ISI_E10value_typeET4_T5_PSN_SO_PNS1_23onesweep_lookback_stateEbbT6_jjT7_P12ihipStream_tbENKUlT_T0_SC_SH_E_clIS7_S7_S7_S7_EEDaSV_SW_SC_SH_EUlSV_E_NS1_11comp_targetILNS1_3genE2ELNS1_11target_archE906ELNS1_3gpuE6ELNS1_3repE0EEENS1_47radix_sort_onesweep_sort_config_static_selectorELNS0_4arch9wavefront6targetE1EEEvSC_,comdat
	.protected	_ZN7rocprim17ROCPRIM_400000_NS6detail17trampoline_kernelINS0_14default_configENS1_35radix_sort_onesweep_config_selectorIiiEEZZNS1_29radix_sort_onesweep_iterationIS3_Lb0EPiS7_S7_S7_jNS0_19identity_decomposerENS1_16block_id_wrapperIjLb1EEEEE10hipError_tT1_PNSt15iterator_traitsISC_E10value_typeET2_T3_PNSD_ISI_E10value_typeET4_T5_PSN_SO_PNS1_23onesweep_lookback_stateEbbT6_jjT7_P12ihipStream_tbENKUlT_T0_SC_SH_E_clIS7_S7_S7_S7_EEDaSV_SW_SC_SH_EUlSV_E_NS1_11comp_targetILNS1_3genE2ELNS1_11target_archE906ELNS1_3gpuE6ELNS1_3repE0EEENS1_47radix_sort_onesweep_sort_config_static_selectorELNS0_4arch9wavefront6targetE1EEEvSC_ ; -- Begin function _ZN7rocprim17ROCPRIM_400000_NS6detail17trampoline_kernelINS0_14default_configENS1_35radix_sort_onesweep_config_selectorIiiEEZZNS1_29radix_sort_onesweep_iterationIS3_Lb0EPiS7_S7_S7_jNS0_19identity_decomposerENS1_16block_id_wrapperIjLb1EEEEE10hipError_tT1_PNSt15iterator_traitsISC_E10value_typeET2_T3_PNSD_ISI_E10value_typeET4_T5_PSN_SO_PNS1_23onesweep_lookback_stateEbbT6_jjT7_P12ihipStream_tbENKUlT_T0_SC_SH_E_clIS7_S7_S7_S7_EEDaSV_SW_SC_SH_EUlSV_E_NS1_11comp_targetILNS1_3genE2ELNS1_11target_archE906ELNS1_3gpuE6ELNS1_3repE0EEENS1_47radix_sort_onesweep_sort_config_static_selectorELNS0_4arch9wavefront6targetE1EEEvSC_
	.globl	_ZN7rocprim17ROCPRIM_400000_NS6detail17trampoline_kernelINS0_14default_configENS1_35radix_sort_onesweep_config_selectorIiiEEZZNS1_29radix_sort_onesweep_iterationIS3_Lb0EPiS7_S7_S7_jNS0_19identity_decomposerENS1_16block_id_wrapperIjLb1EEEEE10hipError_tT1_PNSt15iterator_traitsISC_E10value_typeET2_T3_PNSD_ISI_E10value_typeET4_T5_PSN_SO_PNS1_23onesweep_lookback_stateEbbT6_jjT7_P12ihipStream_tbENKUlT_T0_SC_SH_E_clIS7_S7_S7_S7_EEDaSV_SW_SC_SH_EUlSV_E_NS1_11comp_targetILNS1_3genE2ELNS1_11target_archE906ELNS1_3gpuE6ELNS1_3repE0EEENS1_47radix_sort_onesweep_sort_config_static_selectorELNS0_4arch9wavefront6targetE1EEEvSC_
	.p2align	8
	.type	_ZN7rocprim17ROCPRIM_400000_NS6detail17trampoline_kernelINS0_14default_configENS1_35radix_sort_onesweep_config_selectorIiiEEZZNS1_29radix_sort_onesweep_iterationIS3_Lb0EPiS7_S7_S7_jNS0_19identity_decomposerENS1_16block_id_wrapperIjLb1EEEEE10hipError_tT1_PNSt15iterator_traitsISC_E10value_typeET2_T3_PNSD_ISI_E10value_typeET4_T5_PSN_SO_PNS1_23onesweep_lookback_stateEbbT6_jjT7_P12ihipStream_tbENKUlT_T0_SC_SH_E_clIS7_S7_S7_S7_EEDaSV_SW_SC_SH_EUlSV_E_NS1_11comp_targetILNS1_3genE2ELNS1_11target_archE906ELNS1_3gpuE6ELNS1_3repE0EEENS1_47radix_sort_onesweep_sort_config_static_selectorELNS0_4arch9wavefront6targetE1EEEvSC_,@function
_ZN7rocprim17ROCPRIM_400000_NS6detail17trampoline_kernelINS0_14default_configENS1_35radix_sort_onesweep_config_selectorIiiEEZZNS1_29radix_sort_onesweep_iterationIS3_Lb0EPiS7_S7_S7_jNS0_19identity_decomposerENS1_16block_id_wrapperIjLb1EEEEE10hipError_tT1_PNSt15iterator_traitsISC_E10value_typeET2_T3_PNSD_ISI_E10value_typeET4_T5_PSN_SO_PNS1_23onesweep_lookback_stateEbbT6_jjT7_P12ihipStream_tbENKUlT_T0_SC_SH_E_clIS7_S7_S7_S7_EEDaSV_SW_SC_SH_EUlSV_E_NS1_11comp_targetILNS1_3genE2ELNS1_11target_archE906ELNS1_3gpuE6ELNS1_3repE0EEENS1_47radix_sort_onesweep_sort_config_static_selectorELNS0_4arch9wavefront6targetE1EEEvSC_: ; @_ZN7rocprim17ROCPRIM_400000_NS6detail17trampoline_kernelINS0_14default_configENS1_35radix_sort_onesweep_config_selectorIiiEEZZNS1_29radix_sort_onesweep_iterationIS3_Lb0EPiS7_S7_S7_jNS0_19identity_decomposerENS1_16block_id_wrapperIjLb1EEEEE10hipError_tT1_PNSt15iterator_traitsISC_E10value_typeET2_T3_PNSD_ISI_E10value_typeET4_T5_PSN_SO_PNS1_23onesweep_lookback_stateEbbT6_jjT7_P12ihipStream_tbENKUlT_T0_SC_SH_E_clIS7_S7_S7_S7_EEDaSV_SW_SC_SH_EUlSV_E_NS1_11comp_targetILNS1_3genE2ELNS1_11target_archE906ELNS1_3gpuE6ELNS1_3repE0EEENS1_47radix_sort_onesweep_sort_config_static_selectorELNS0_4arch9wavefront6targetE1EEEvSC_
; %bb.0:
	.section	.rodata,"a",@progbits
	.p2align	6, 0x0
	.amdhsa_kernel _ZN7rocprim17ROCPRIM_400000_NS6detail17trampoline_kernelINS0_14default_configENS1_35radix_sort_onesweep_config_selectorIiiEEZZNS1_29radix_sort_onesweep_iterationIS3_Lb0EPiS7_S7_S7_jNS0_19identity_decomposerENS1_16block_id_wrapperIjLb1EEEEE10hipError_tT1_PNSt15iterator_traitsISC_E10value_typeET2_T3_PNSD_ISI_E10value_typeET4_T5_PSN_SO_PNS1_23onesweep_lookback_stateEbbT6_jjT7_P12ihipStream_tbENKUlT_T0_SC_SH_E_clIS7_S7_S7_S7_EEDaSV_SW_SC_SH_EUlSV_E_NS1_11comp_targetILNS1_3genE2ELNS1_11target_archE906ELNS1_3gpuE6ELNS1_3repE0EEENS1_47radix_sort_onesweep_sort_config_static_selectorELNS0_4arch9wavefront6targetE1EEEvSC_
		.amdhsa_group_segment_fixed_size 0
		.amdhsa_private_segment_fixed_size 0
		.amdhsa_kernarg_size 88
		.amdhsa_user_sgpr_count 6
		.amdhsa_user_sgpr_private_segment_buffer 1
		.amdhsa_user_sgpr_dispatch_ptr 0
		.amdhsa_user_sgpr_queue_ptr 0
		.amdhsa_user_sgpr_kernarg_segment_ptr 1
		.amdhsa_user_sgpr_dispatch_id 0
		.amdhsa_user_sgpr_flat_scratch_init 0
		.amdhsa_user_sgpr_kernarg_preload_length 0
		.amdhsa_user_sgpr_kernarg_preload_offset 0
		.amdhsa_user_sgpr_private_segment_size 0
		.amdhsa_uses_dynamic_stack 0
		.amdhsa_system_sgpr_private_segment_wavefront_offset 0
		.amdhsa_system_sgpr_workgroup_id_x 1
		.amdhsa_system_sgpr_workgroup_id_y 0
		.amdhsa_system_sgpr_workgroup_id_z 0
		.amdhsa_system_sgpr_workgroup_info 0
		.amdhsa_system_vgpr_workitem_id 0
		.amdhsa_next_free_vgpr 1
		.amdhsa_next_free_sgpr 0
		.amdhsa_accum_offset 4
		.amdhsa_reserve_vcc 0
		.amdhsa_reserve_flat_scratch 0
		.amdhsa_float_round_mode_32 0
		.amdhsa_float_round_mode_16_64 0
		.amdhsa_float_denorm_mode_32 3
		.amdhsa_float_denorm_mode_16_64 3
		.amdhsa_dx10_clamp 1
		.amdhsa_ieee_mode 1
		.amdhsa_fp16_overflow 0
		.amdhsa_tg_split 0
		.amdhsa_exception_fp_ieee_invalid_op 0
		.amdhsa_exception_fp_denorm_src 0
		.amdhsa_exception_fp_ieee_div_zero 0
		.amdhsa_exception_fp_ieee_overflow 0
		.amdhsa_exception_fp_ieee_underflow 0
		.amdhsa_exception_fp_ieee_inexact 0
		.amdhsa_exception_int_div_zero 0
	.end_amdhsa_kernel
	.section	.text._ZN7rocprim17ROCPRIM_400000_NS6detail17trampoline_kernelINS0_14default_configENS1_35radix_sort_onesweep_config_selectorIiiEEZZNS1_29radix_sort_onesweep_iterationIS3_Lb0EPiS7_S7_S7_jNS0_19identity_decomposerENS1_16block_id_wrapperIjLb1EEEEE10hipError_tT1_PNSt15iterator_traitsISC_E10value_typeET2_T3_PNSD_ISI_E10value_typeET4_T5_PSN_SO_PNS1_23onesweep_lookback_stateEbbT6_jjT7_P12ihipStream_tbENKUlT_T0_SC_SH_E_clIS7_S7_S7_S7_EEDaSV_SW_SC_SH_EUlSV_E_NS1_11comp_targetILNS1_3genE2ELNS1_11target_archE906ELNS1_3gpuE6ELNS1_3repE0EEENS1_47radix_sort_onesweep_sort_config_static_selectorELNS0_4arch9wavefront6targetE1EEEvSC_,"axG",@progbits,_ZN7rocprim17ROCPRIM_400000_NS6detail17trampoline_kernelINS0_14default_configENS1_35radix_sort_onesweep_config_selectorIiiEEZZNS1_29radix_sort_onesweep_iterationIS3_Lb0EPiS7_S7_S7_jNS0_19identity_decomposerENS1_16block_id_wrapperIjLb1EEEEE10hipError_tT1_PNSt15iterator_traitsISC_E10value_typeET2_T3_PNSD_ISI_E10value_typeET4_T5_PSN_SO_PNS1_23onesweep_lookback_stateEbbT6_jjT7_P12ihipStream_tbENKUlT_T0_SC_SH_E_clIS7_S7_S7_S7_EEDaSV_SW_SC_SH_EUlSV_E_NS1_11comp_targetILNS1_3genE2ELNS1_11target_archE906ELNS1_3gpuE6ELNS1_3repE0EEENS1_47radix_sort_onesweep_sort_config_static_selectorELNS0_4arch9wavefront6targetE1EEEvSC_,comdat
.Lfunc_end370:
	.size	_ZN7rocprim17ROCPRIM_400000_NS6detail17trampoline_kernelINS0_14default_configENS1_35radix_sort_onesweep_config_selectorIiiEEZZNS1_29radix_sort_onesweep_iterationIS3_Lb0EPiS7_S7_S7_jNS0_19identity_decomposerENS1_16block_id_wrapperIjLb1EEEEE10hipError_tT1_PNSt15iterator_traitsISC_E10value_typeET2_T3_PNSD_ISI_E10value_typeET4_T5_PSN_SO_PNS1_23onesweep_lookback_stateEbbT6_jjT7_P12ihipStream_tbENKUlT_T0_SC_SH_E_clIS7_S7_S7_S7_EEDaSV_SW_SC_SH_EUlSV_E_NS1_11comp_targetILNS1_3genE2ELNS1_11target_archE906ELNS1_3gpuE6ELNS1_3repE0EEENS1_47radix_sort_onesweep_sort_config_static_selectorELNS0_4arch9wavefront6targetE1EEEvSC_, .Lfunc_end370-_ZN7rocprim17ROCPRIM_400000_NS6detail17trampoline_kernelINS0_14default_configENS1_35radix_sort_onesweep_config_selectorIiiEEZZNS1_29radix_sort_onesweep_iterationIS3_Lb0EPiS7_S7_S7_jNS0_19identity_decomposerENS1_16block_id_wrapperIjLb1EEEEE10hipError_tT1_PNSt15iterator_traitsISC_E10value_typeET2_T3_PNSD_ISI_E10value_typeET4_T5_PSN_SO_PNS1_23onesweep_lookback_stateEbbT6_jjT7_P12ihipStream_tbENKUlT_T0_SC_SH_E_clIS7_S7_S7_S7_EEDaSV_SW_SC_SH_EUlSV_E_NS1_11comp_targetILNS1_3genE2ELNS1_11target_archE906ELNS1_3gpuE6ELNS1_3repE0EEENS1_47radix_sort_onesweep_sort_config_static_selectorELNS0_4arch9wavefront6targetE1EEEvSC_
                                        ; -- End function
	.section	.AMDGPU.csdata,"",@progbits
; Kernel info:
; codeLenInByte = 0
; NumSgprs: 4
; NumVgprs: 0
; NumAgprs: 0
; TotalNumVgprs: 0
; ScratchSize: 0
; MemoryBound: 0
; FloatMode: 240
; IeeeMode: 1
; LDSByteSize: 0 bytes/workgroup (compile time only)
; SGPRBlocks: 0
; VGPRBlocks: 0
; NumSGPRsForWavesPerEU: 4
; NumVGPRsForWavesPerEU: 1
; AccumOffset: 4
; Occupancy: 8
; WaveLimiterHint : 0
; COMPUTE_PGM_RSRC2:SCRATCH_EN: 0
; COMPUTE_PGM_RSRC2:USER_SGPR: 6
; COMPUTE_PGM_RSRC2:TRAP_HANDLER: 0
; COMPUTE_PGM_RSRC2:TGID_X_EN: 1
; COMPUTE_PGM_RSRC2:TGID_Y_EN: 0
; COMPUTE_PGM_RSRC2:TGID_Z_EN: 0
; COMPUTE_PGM_RSRC2:TIDIG_COMP_CNT: 0
; COMPUTE_PGM_RSRC3_GFX90A:ACCUM_OFFSET: 0
; COMPUTE_PGM_RSRC3_GFX90A:TG_SPLIT: 0
	.section	.text._ZN7rocprim17ROCPRIM_400000_NS6detail17trampoline_kernelINS0_14default_configENS1_35radix_sort_onesweep_config_selectorIiiEEZZNS1_29radix_sort_onesweep_iterationIS3_Lb0EPiS7_S7_S7_jNS0_19identity_decomposerENS1_16block_id_wrapperIjLb1EEEEE10hipError_tT1_PNSt15iterator_traitsISC_E10value_typeET2_T3_PNSD_ISI_E10value_typeET4_T5_PSN_SO_PNS1_23onesweep_lookback_stateEbbT6_jjT7_P12ihipStream_tbENKUlT_T0_SC_SH_E_clIS7_S7_S7_S7_EEDaSV_SW_SC_SH_EUlSV_E_NS1_11comp_targetILNS1_3genE4ELNS1_11target_archE910ELNS1_3gpuE8ELNS1_3repE0EEENS1_47radix_sort_onesweep_sort_config_static_selectorELNS0_4arch9wavefront6targetE1EEEvSC_,"axG",@progbits,_ZN7rocprim17ROCPRIM_400000_NS6detail17trampoline_kernelINS0_14default_configENS1_35radix_sort_onesweep_config_selectorIiiEEZZNS1_29radix_sort_onesweep_iterationIS3_Lb0EPiS7_S7_S7_jNS0_19identity_decomposerENS1_16block_id_wrapperIjLb1EEEEE10hipError_tT1_PNSt15iterator_traitsISC_E10value_typeET2_T3_PNSD_ISI_E10value_typeET4_T5_PSN_SO_PNS1_23onesweep_lookback_stateEbbT6_jjT7_P12ihipStream_tbENKUlT_T0_SC_SH_E_clIS7_S7_S7_S7_EEDaSV_SW_SC_SH_EUlSV_E_NS1_11comp_targetILNS1_3genE4ELNS1_11target_archE910ELNS1_3gpuE8ELNS1_3repE0EEENS1_47radix_sort_onesweep_sort_config_static_selectorELNS0_4arch9wavefront6targetE1EEEvSC_,comdat
	.protected	_ZN7rocprim17ROCPRIM_400000_NS6detail17trampoline_kernelINS0_14default_configENS1_35radix_sort_onesweep_config_selectorIiiEEZZNS1_29radix_sort_onesweep_iterationIS3_Lb0EPiS7_S7_S7_jNS0_19identity_decomposerENS1_16block_id_wrapperIjLb1EEEEE10hipError_tT1_PNSt15iterator_traitsISC_E10value_typeET2_T3_PNSD_ISI_E10value_typeET4_T5_PSN_SO_PNS1_23onesweep_lookback_stateEbbT6_jjT7_P12ihipStream_tbENKUlT_T0_SC_SH_E_clIS7_S7_S7_S7_EEDaSV_SW_SC_SH_EUlSV_E_NS1_11comp_targetILNS1_3genE4ELNS1_11target_archE910ELNS1_3gpuE8ELNS1_3repE0EEENS1_47radix_sort_onesweep_sort_config_static_selectorELNS0_4arch9wavefront6targetE1EEEvSC_ ; -- Begin function _ZN7rocprim17ROCPRIM_400000_NS6detail17trampoline_kernelINS0_14default_configENS1_35radix_sort_onesweep_config_selectorIiiEEZZNS1_29radix_sort_onesweep_iterationIS3_Lb0EPiS7_S7_S7_jNS0_19identity_decomposerENS1_16block_id_wrapperIjLb1EEEEE10hipError_tT1_PNSt15iterator_traitsISC_E10value_typeET2_T3_PNSD_ISI_E10value_typeET4_T5_PSN_SO_PNS1_23onesweep_lookback_stateEbbT6_jjT7_P12ihipStream_tbENKUlT_T0_SC_SH_E_clIS7_S7_S7_S7_EEDaSV_SW_SC_SH_EUlSV_E_NS1_11comp_targetILNS1_3genE4ELNS1_11target_archE910ELNS1_3gpuE8ELNS1_3repE0EEENS1_47radix_sort_onesweep_sort_config_static_selectorELNS0_4arch9wavefront6targetE1EEEvSC_
	.globl	_ZN7rocprim17ROCPRIM_400000_NS6detail17trampoline_kernelINS0_14default_configENS1_35radix_sort_onesweep_config_selectorIiiEEZZNS1_29radix_sort_onesweep_iterationIS3_Lb0EPiS7_S7_S7_jNS0_19identity_decomposerENS1_16block_id_wrapperIjLb1EEEEE10hipError_tT1_PNSt15iterator_traitsISC_E10value_typeET2_T3_PNSD_ISI_E10value_typeET4_T5_PSN_SO_PNS1_23onesweep_lookback_stateEbbT6_jjT7_P12ihipStream_tbENKUlT_T0_SC_SH_E_clIS7_S7_S7_S7_EEDaSV_SW_SC_SH_EUlSV_E_NS1_11comp_targetILNS1_3genE4ELNS1_11target_archE910ELNS1_3gpuE8ELNS1_3repE0EEENS1_47radix_sort_onesweep_sort_config_static_selectorELNS0_4arch9wavefront6targetE1EEEvSC_
	.p2align	8
	.type	_ZN7rocprim17ROCPRIM_400000_NS6detail17trampoline_kernelINS0_14default_configENS1_35radix_sort_onesweep_config_selectorIiiEEZZNS1_29radix_sort_onesweep_iterationIS3_Lb0EPiS7_S7_S7_jNS0_19identity_decomposerENS1_16block_id_wrapperIjLb1EEEEE10hipError_tT1_PNSt15iterator_traitsISC_E10value_typeET2_T3_PNSD_ISI_E10value_typeET4_T5_PSN_SO_PNS1_23onesweep_lookback_stateEbbT6_jjT7_P12ihipStream_tbENKUlT_T0_SC_SH_E_clIS7_S7_S7_S7_EEDaSV_SW_SC_SH_EUlSV_E_NS1_11comp_targetILNS1_3genE4ELNS1_11target_archE910ELNS1_3gpuE8ELNS1_3repE0EEENS1_47radix_sort_onesweep_sort_config_static_selectorELNS0_4arch9wavefront6targetE1EEEvSC_,@function
_ZN7rocprim17ROCPRIM_400000_NS6detail17trampoline_kernelINS0_14default_configENS1_35radix_sort_onesweep_config_selectorIiiEEZZNS1_29radix_sort_onesweep_iterationIS3_Lb0EPiS7_S7_S7_jNS0_19identity_decomposerENS1_16block_id_wrapperIjLb1EEEEE10hipError_tT1_PNSt15iterator_traitsISC_E10value_typeET2_T3_PNSD_ISI_E10value_typeET4_T5_PSN_SO_PNS1_23onesweep_lookback_stateEbbT6_jjT7_P12ihipStream_tbENKUlT_T0_SC_SH_E_clIS7_S7_S7_S7_EEDaSV_SW_SC_SH_EUlSV_E_NS1_11comp_targetILNS1_3genE4ELNS1_11target_archE910ELNS1_3gpuE8ELNS1_3repE0EEENS1_47radix_sort_onesweep_sort_config_static_selectorELNS0_4arch9wavefront6targetE1EEEvSC_: ; @_ZN7rocprim17ROCPRIM_400000_NS6detail17trampoline_kernelINS0_14default_configENS1_35radix_sort_onesweep_config_selectorIiiEEZZNS1_29radix_sort_onesweep_iterationIS3_Lb0EPiS7_S7_S7_jNS0_19identity_decomposerENS1_16block_id_wrapperIjLb1EEEEE10hipError_tT1_PNSt15iterator_traitsISC_E10value_typeET2_T3_PNSD_ISI_E10value_typeET4_T5_PSN_SO_PNS1_23onesweep_lookback_stateEbbT6_jjT7_P12ihipStream_tbENKUlT_T0_SC_SH_E_clIS7_S7_S7_S7_EEDaSV_SW_SC_SH_EUlSV_E_NS1_11comp_targetILNS1_3genE4ELNS1_11target_archE910ELNS1_3gpuE8ELNS1_3repE0EEENS1_47radix_sort_onesweep_sort_config_static_selectorELNS0_4arch9wavefront6targetE1EEEvSC_
; %bb.0:
	s_load_dwordx4 s[52:55], s[4:5], 0x28
	s_load_dwordx2 s[42:43], s[4:5], 0x38
	s_load_dwordx4 s[56:59], s[4:5], 0x44
	v_and_b32_e32 v18, 0x3ff, v0
	v_cmp_eq_u32_e64 s[0:1], 0, v18
	s_and_saveexec_b64 s[2:3], s[0:1]
	s_cbranch_execz .LBB371_4
; %bb.1:
	s_mov_b64 s[10:11], exec
	v_mbcnt_lo_u32_b32 v1, s10, 0
	v_mbcnt_hi_u32_b32 v1, s11, v1
	v_cmp_eq_u32_e32 vcc, 0, v1
                                        ; implicit-def: $vgpr2
	s_and_saveexec_b64 s[8:9], vcc
	s_cbranch_execz .LBB371_3
; %bb.2:
	s_load_dwordx2 s[12:13], s[4:5], 0x50
	s_bcnt1_i32_b64 s7, s[10:11]
	v_mov_b32_e32 v2, 0
	v_mov_b32_e32 v3, s7
	s_waitcnt lgkmcnt(0)
	global_atomic_add v2, v2, v3, s[12:13] glc
.LBB371_3:
	s_or_b64 exec, exec, s[8:9]
	s_waitcnt vmcnt(0)
	v_readfirstlane_b32 s7, v2
	v_add_u32_e32 v1, s7, v1
	v_mov_b32_e32 v2, 0
	ds_write_b32 v2, v1 offset:10272
.LBB371_4:
	s_or_b64 exec, exec, s[2:3]
	v_mov_b32_e32 v1, 0
	s_load_dwordx8 s[44:51], s[4:5], 0x0
	s_load_dword s2, s[4:5], 0x20
	s_waitcnt lgkmcnt(0)
	s_barrier
	ds_read_b32 v1, v1 offset:10272
	v_mbcnt_lo_u32_b32 v19, -1, 0
	s_waitcnt lgkmcnt(0)
	s_barrier
	v_cmp_le_u32_e32 vcc, s58, v1
	v_readfirstlane_b32 s33, v1
	v_lshlrev_b32_e32 v1, 4, v18
	s_cbranch_vccz .LBB371_99
; %bb.5:
	s_lshl_b32 s3, s58, 13
	s_sub_i32 s7, s2, s3
	s_lshl_b32 s2, s33, 13
	s_mov_b32 s3, 0
	s_lshl_b64 s[58:59], s[2:3], 2
	v_mbcnt_hi_u32_b32 v6, -1, v19
	s_add_u32 s2, s44, s58
	v_and_b32_e32 v4, 63, v6
	s_addc_u32 s3, s45, s59
	v_lshlrev_b32_e32 v22, 2, v4
	v_and_b32_e32 v5, 0x3c00, v1
	v_mov_b32_e32 v2, s3
	v_add_co_u32_e32 v3, vcc, s2, v22
	v_addc_co_u32_e32 v7, vcc, 0, v2, vcc
	v_lshlrev_b32_e32 v23, 2, v5
	v_add_co_u32_e32 v2, vcc, v3, v23
	v_addc_co_u32_e32 v3, vcc, 0, v7, vcc
	v_or_b32_e32 v5, v4, v5
	v_cmp_gt_u32_e32 vcc, s7, v5
	v_bfrev_b32_e32 v9, -2
	v_bfrev_b32_e32 v4, -2
	s_and_saveexec_b64 s[2:3], vcc
	s_cbranch_execz .LBB371_7
; %bb.6:
	global_load_dword v4, v[2:3], off
.LBB371_7:
	s_or_b64 exec, exec, s[2:3]
	v_or_b32_e32 v7, 64, v5
	v_cmp_gt_u32_e64 s[2:3], s7, v7
	s_and_saveexec_b64 s[8:9], s[2:3]
	s_cbranch_execz .LBB371_9
; %bb.8:
	global_load_dword v9, v[2:3], off offset:256
.LBB371_9:
	s_or_b64 exec, exec, s[8:9]
	v_or_b32_e32 v7, 0x80, v5
	v_cmp_gt_u32_e64 s[38:39], s7, v7
	v_bfrev_b32_e32 v16, -2
	v_bfrev_b32_e32 v11, -2
	s_and_saveexec_b64 s[8:9], s[38:39]
	s_cbranch_execz .LBB371_11
; %bb.10:
	global_load_dword v11, v[2:3], off offset:512
.LBB371_11:
	s_or_b64 exec, exec, s[8:9]
	v_or_b32_e32 v7, 0xc0, v5
	v_cmp_gt_u32_e64 s[8:9], s7, v7
	s_and_saveexec_b64 s[10:11], s[8:9]
	s_cbranch_execz .LBB371_13
; %bb.12:
	global_load_dword v16, v[2:3], off offset:768
.LBB371_13:
	s_or_b64 exec, exec, s[10:11]
	v_or_b32_e32 v7, 0x100, v5
	v_cmp_gt_u32_e64 s[10:11], s7, v7
	v_bfrev_b32_e32 v29, -2
	v_bfrev_b32_e32 v28, -2
	s_and_saveexec_b64 s[12:13], s[10:11]
	s_cbranch_execz .LBB371_15
; %bb.14:
	global_load_dword v28, v[2:3], off offset:1024
.LBB371_15:
	;; [unrolled: 18-line block ×7, first 2 shown]
	s_or_b64 exec, exec, s[34:35]
	v_or_b32_e32 v5, 0x3c0, v5
	v_cmp_gt_u32_e64 s[34:35], s7, v5
	s_and_saveexec_b64 s[36:37], s[34:35]
	s_cbranch_execz .LBB371_37
; %bb.36:
	global_load_dword v15, v[2:3], off offset:3840
.LBB371_37:
	s_or_b64 exec, exec, s[36:37]
	s_load_dword s36, s[4:5], 0x64
	s_load_dword s68, s[4:5], 0x58
	s_add_u32 s37, s4, 0x58
	s_addc_u32 s40, s5, 0
	v_mov_b32_e32 v2, 0
	s_waitcnt lgkmcnt(0)
	s_lshr_b32 s41, s36, 16
	s_cmp_lt_u32 s6, s68
	s_cselect_b32 s36, 12, 18
	s_add_u32 s36, s37, s36
	s_addc_u32 s37, s40, 0
	global_load_ushort v5, v2, s[36:37]
	s_waitcnt vmcnt(1)
	v_xor_b32_e32 v24, 0x80000000, v4
	s_lshl_b32 s36, -1, s57
	v_lshrrev_b32_e32 v8, s56, v24
	s_not_b32 s69, s36
	v_and_b32_e32 v8, s69, v8
	v_and_b32_e32 v12, 1, v8
	v_bfe_u32 v3, v0, 10, 10
	v_bfe_u32 v4, v0, 20, 10
	v_add_co_u32_e64 v13, s[36:37], -1, v12
	v_mad_u32_u24 v4, v4, s41, v3
	v_lshlrev_b32_e32 v3, 30, v8
	v_addc_co_u32_e64 v14, s[36:37], 0, -1, s[36:37]
	v_cmp_ne_u32_e64 s[36:37], 0, v12
	v_cmp_gt_i64_e64 s[40:41], 0, v[2:3]
	v_not_b32_e32 v12, v3
	v_lshlrev_b32_e32 v3, 29, v8
	v_xor_b32_e32 v14, s37, v14
	v_xor_b32_e32 v13, s36, v13
	v_ashrrev_i32_e32 v12, 31, v12
	v_cmp_gt_i64_e64 s[36:37], 0, v[2:3]
	v_not_b32_e32 v17, v3
	v_lshlrev_b32_e32 v3, 28, v8
	v_and_b32_e32 v14, exec_hi, v14
	v_and_b32_e32 v13, exec_lo, v13
	v_xor_b32_e32 v20, s41, v12
	v_xor_b32_e32 v12, s40, v12
	v_ashrrev_i32_e32 v17, 31, v17
	v_cmp_gt_i64_e64 s[40:41], 0, v[2:3]
	v_not_b32_e32 v25, v3
	v_lshlrev_b32_e32 v3, 27, v8
	v_and_b32_e32 v14, v14, v20
	v_and_b32_e32 v12, v13, v12
	v_xor_b32_e32 v13, s37, v17
	v_xor_b32_e32 v17, s36, v17
	v_ashrrev_i32_e32 v20, 31, v25
	v_cmp_gt_i64_e64 s[36:37], 0, v[2:3]
	v_not_b32_e32 v25, v3
	v_lshlrev_b32_e32 v3, 26, v8
	v_and_b32_e32 v13, v14, v13
	v_and_b32_e32 v12, v12, v17
	v_xor_b32_e32 v14, s41, v20
	v_xor_b32_e32 v17, s40, v20
	v_ashrrev_i32_e32 v20, 31, v25
	v_cmp_gt_i64_e64 s[40:41], 0, v[2:3]
	v_not_b32_e32 v25, v3
	v_lshlrev_b32_e32 v3, 25, v8
	v_and_b32_e32 v13, v13, v14
	v_and_b32_e32 v12, v12, v17
	v_xor_b32_e32 v14, s37, v20
	v_xor_b32_e32 v17, s36, v20
	v_ashrrev_i32_e32 v20, 31, v25
	v_cmp_gt_i64_e64 s[36:37], 0, v[2:3]
	v_not_b32_e32 v25, v3
	v_lshlrev_b32_e32 v3, 24, v8
	v_lshl_add_u32 v10, v8, 3, v8
	v_and_b32_e32 v8, v13, v14
	v_and_b32_e32 v12, v12, v17
	v_xor_b32_e32 v13, s41, v20
	v_xor_b32_e32 v14, s40, v20
	v_ashrrev_i32_e32 v17, 31, v25
	v_cmp_gt_i64_e64 s[40:41], 0, v[2:3]
	v_not_b32_e32 v3, v3
	v_and_b32_e32 v8, v8, v13
	v_and_b32_e32 v12, v12, v14
	v_xor_b32_e32 v13, s37, v17
	v_xor_b32_e32 v14, s36, v17
	v_ashrrev_i32_e32 v3, 31, v3
	v_and_b32_e32 v8, v8, v13
	v_and_b32_e32 v13, v12, v14
	v_mul_u32_u24_e32 v7, 5, v18
	v_lshlrev_b32_e32 v7, 2, v7
	ds_write2_b32 v7, v2, v2 offset0:8 offset1:9
	ds_write2_b32 v7, v2, v2 offset0:10 offset1:11
	ds_write_b32 v7, v2 offset:48
	s_waitcnt lgkmcnt(0)
	s_barrier
	s_waitcnt lgkmcnt(0)
	; wave barrier
	s_waitcnt vmcnt(0)
	v_mad_u64_u32 v[4:5], s[36:37], v4, v5, v[18:19]
	v_lshrrev_b32_e32 v32, 6, v4
	v_xor_b32_e32 v4, s41, v3
	v_xor_b32_e32 v3, s40, v3
	v_and_b32_e32 v5, v8, v4
	v_and_b32_e32 v4, v13, v3
	v_mbcnt_lo_u32_b32 v3, v4, 0
	v_mbcnt_hi_u32_b32 v8, v5, v3
	v_cmp_eq_u32_e64 s[36:37], 0, v8
	v_cmp_ne_u64_e64 s[40:41], 0, v[4:5]
	v_add_lshl_u32 v12, v32, v10, 2
	s_and_b64 s[40:41], s[40:41], s[36:37]
	s_and_saveexec_b64 s[36:37], s[40:41]
	s_cbranch_execz .LBB371_39
; %bb.38:
	v_bcnt_u32_b32 v3, v4, 0
	v_bcnt_u32_b32 v3, v5, v3
	ds_write_b32 v12, v3 offset:32
.LBB371_39:
	s_or_b64 exec, exec, s[36:37]
	v_xor_b32_e32 v25, 0x80000000, v9
	v_lshrrev_b32_e32 v3, s56, v25
	v_and_b32_e32 v4, s69, v3
	v_lshl_add_u32 v3, v4, 3, v4
	v_add_lshl_u32 v13, v32, v3, 2
	v_and_b32_e32 v3, 1, v4
	v_add_co_u32_e64 v5, s[36:37], -1, v3
	v_addc_co_u32_e64 v10, s[36:37], 0, -1, s[36:37]
	v_cmp_ne_u32_e64 s[36:37], 0, v3
	v_xor_b32_e32 v3, s37, v10
	v_and_b32_e32 v10, exec_hi, v3
	v_lshlrev_b32_e32 v3, 30, v4
	v_xor_b32_e32 v5, s36, v5
	v_cmp_gt_i64_e64 s[36:37], 0, v[2:3]
	v_not_b32_e32 v3, v3
	v_ashrrev_i32_e32 v3, 31, v3
	v_and_b32_e32 v5, exec_lo, v5
	v_xor_b32_e32 v14, s37, v3
	v_xor_b32_e32 v3, s36, v3
	v_and_b32_e32 v5, v5, v3
	v_lshlrev_b32_e32 v3, 29, v4
	v_cmp_gt_i64_e64 s[36:37], 0, v[2:3]
	v_not_b32_e32 v3, v3
	v_ashrrev_i32_e32 v3, 31, v3
	v_and_b32_e32 v10, v10, v14
	v_xor_b32_e32 v14, s37, v3
	v_xor_b32_e32 v3, s36, v3
	v_and_b32_e32 v5, v5, v3
	v_lshlrev_b32_e32 v3, 28, v4
	v_cmp_gt_i64_e64 s[36:37], 0, v[2:3]
	v_not_b32_e32 v3, v3
	v_ashrrev_i32_e32 v3, 31, v3
	v_and_b32_e32 v10, v10, v14
	;; [unrolled: 8-line block ×5, first 2 shown]
	v_xor_b32_e32 v14, s37, v3
	v_xor_b32_e32 v3, s36, v3
	v_and_b32_e32 v5, v5, v3
	v_lshlrev_b32_e32 v3, 24, v4
	v_cmp_gt_i64_e64 s[36:37], 0, v[2:3]
	v_not_b32_e32 v2, v3
	v_ashrrev_i32_e32 v2, 31, v2
	v_xor_b32_e32 v3, s37, v2
	v_xor_b32_e32 v2, s36, v2
	; wave barrier
	ds_read_b32 v9, v13 offset:32
	v_and_b32_e32 v10, v10, v14
	v_and_b32_e32 v2, v5, v2
	;; [unrolled: 1-line block ×3, first 2 shown]
	v_mbcnt_lo_u32_b32 v4, v2, 0
	v_mbcnt_hi_u32_b32 v10, v3, v4
	v_cmp_eq_u32_e64 s[36:37], 0, v10
	v_cmp_ne_u64_e64 s[40:41], 0, v[2:3]
	s_and_b64 s[40:41], s[40:41], s[36:37]
	; wave barrier
	s_and_saveexec_b64 s[36:37], s[40:41]
	s_cbranch_execz .LBB371_41
; %bb.40:
	v_bcnt_u32_b32 v2, v2, 0
	v_bcnt_u32_b32 v2, v3, v2
	s_waitcnt lgkmcnt(0)
	v_add_u32_e32 v2, v9, v2
	ds_write_b32 v13, v2 offset:32
.LBB371_41:
	s_or_b64 exec, exec, s[36:37]
	v_xor_b32_e32 v26, 0x80000000, v11
	v_lshrrev_b32_e32 v2, s56, v26
	v_and_b32_e32 v4, s69, v2
	v_and_b32_e32 v3, 1, v4
	v_add_co_u32_e64 v5, s[36:37], -1, v3
	v_addc_co_u32_e64 v14, s[36:37], 0, -1, s[36:37]
	v_cmp_ne_u32_e64 s[36:37], 0, v3
	v_lshl_add_u32 v2, v4, 3, v4
	v_xor_b32_e32 v3, s37, v14
	v_add_lshl_u32 v17, v32, v2, 2
	v_mov_b32_e32 v2, 0
	v_and_b32_e32 v14, exec_hi, v3
	v_lshlrev_b32_e32 v3, 30, v4
	v_xor_b32_e32 v5, s36, v5
	v_cmp_gt_i64_e64 s[36:37], 0, v[2:3]
	v_not_b32_e32 v3, v3
	v_ashrrev_i32_e32 v3, 31, v3
	v_and_b32_e32 v5, exec_lo, v5
	v_xor_b32_e32 v20, s37, v3
	v_xor_b32_e32 v3, s36, v3
	v_and_b32_e32 v5, v5, v3
	v_lshlrev_b32_e32 v3, 29, v4
	v_cmp_gt_i64_e64 s[36:37], 0, v[2:3]
	v_not_b32_e32 v3, v3
	v_ashrrev_i32_e32 v3, 31, v3
	v_and_b32_e32 v14, v14, v20
	v_xor_b32_e32 v20, s37, v3
	v_xor_b32_e32 v3, s36, v3
	v_and_b32_e32 v5, v5, v3
	v_lshlrev_b32_e32 v3, 28, v4
	v_cmp_gt_i64_e64 s[36:37], 0, v[2:3]
	v_not_b32_e32 v3, v3
	v_ashrrev_i32_e32 v3, 31, v3
	v_and_b32_e32 v14, v14, v20
	;; [unrolled: 8-line block ×5, first 2 shown]
	v_xor_b32_e32 v20, s37, v3
	v_xor_b32_e32 v3, s36, v3
	v_and_b32_e32 v14, v14, v20
	v_and_b32_e32 v20, v5, v3
	v_lshlrev_b32_e32 v3, 24, v4
	v_cmp_gt_i64_e64 s[36:37], 0, v[2:3]
	v_not_b32_e32 v3, v3
	v_ashrrev_i32_e32 v3, 31, v3
	v_xor_b32_e32 v4, s37, v3
	v_xor_b32_e32 v3, s36, v3
	; wave barrier
	ds_read_b32 v11, v17 offset:32
	v_and_b32_e32 v5, v14, v4
	v_and_b32_e32 v4, v20, v3
	v_mbcnt_lo_u32_b32 v3, v4, 0
	v_mbcnt_hi_u32_b32 v14, v5, v3
	v_cmp_eq_u32_e64 s[36:37], 0, v14
	v_cmp_ne_u64_e64 s[40:41], 0, v[4:5]
	s_and_b64 s[40:41], s[40:41], s[36:37]
	; wave barrier
	s_and_saveexec_b64 s[36:37], s[40:41]
	s_cbranch_execz .LBB371_43
; %bb.42:
	v_bcnt_u32_b32 v3, v4, 0
	v_bcnt_u32_b32 v3, v5, v3
	s_waitcnt lgkmcnt(0)
	v_add_u32_e32 v3, v11, v3
	ds_write_b32 v17, v3 offset:32
.LBB371_43:
	s_or_b64 exec, exec, s[36:37]
	v_xor_b32_e32 v27, 0x80000000, v16
	v_lshrrev_b32_e32 v3, s56, v27
	v_and_b32_e32 v4, s69, v3
	v_lshl_add_u32 v3, v4, 3, v4
	v_add_lshl_u32 v35, v32, v3, 2
	v_and_b32_e32 v3, 1, v4
	v_add_co_u32_e64 v5, s[36:37], -1, v3
	v_addc_co_u32_e64 v20, s[36:37], 0, -1, s[36:37]
	v_cmp_ne_u32_e64 s[36:37], 0, v3
	v_xor_b32_e32 v3, s37, v20
	v_and_b32_e32 v20, exec_hi, v3
	v_lshlrev_b32_e32 v3, 30, v4
	v_xor_b32_e32 v5, s36, v5
	v_cmp_gt_i64_e64 s[36:37], 0, v[2:3]
	v_not_b32_e32 v3, v3
	v_ashrrev_i32_e32 v3, 31, v3
	v_and_b32_e32 v5, exec_lo, v5
	v_xor_b32_e32 v31, s37, v3
	v_xor_b32_e32 v3, s36, v3
	v_and_b32_e32 v5, v5, v3
	v_lshlrev_b32_e32 v3, 29, v4
	v_cmp_gt_i64_e64 s[36:37], 0, v[2:3]
	v_not_b32_e32 v3, v3
	v_ashrrev_i32_e32 v3, 31, v3
	v_and_b32_e32 v20, v20, v31
	v_xor_b32_e32 v31, s37, v3
	v_xor_b32_e32 v3, s36, v3
	v_and_b32_e32 v5, v5, v3
	v_lshlrev_b32_e32 v3, 28, v4
	v_cmp_gt_i64_e64 s[36:37], 0, v[2:3]
	v_not_b32_e32 v3, v3
	v_ashrrev_i32_e32 v3, 31, v3
	v_and_b32_e32 v20, v20, v31
	;; [unrolled: 8-line block ×5, first 2 shown]
	v_xor_b32_e32 v31, s37, v3
	v_xor_b32_e32 v3, s36, v3
	v_and_b32_e32 v5, v5, v3
	v_lshlrev_b32_e32 v3, 24, v4
	v_cmp_gt_i64_e64 s[36:37], 0, v[2:3]
	v_not_b32_e32 v2, v3
	v_ashrrev_i32_e32 v2, 31, v2
	v_xor_b32_e32 v3, s37, v2
	v_xor_b32_e32 v2, s36, v2
	; wave barrier
	ds_read_b32 v16, v35 offset:32
	v_and_b32_e32 v20, v20, v31
	v_and_b32_e32 v2, v5, v2
	;; [unrolled: 1-line block ×3, first 2 shown]
	v_mbcnt_lo_u32_b32 v4, v2, 0
	v_mbcnt_hi_u32_b32 v20, v3, v4
	v_cmp_eq_u32_e64 s[36:37], 0, v20
	v_cmp_ne_u64_e64 s[40:41], 0, v[2:3]
	s_and_b64 s[40:41], s[40:41], s[36:37]
	; wave barrier
	s_and_saveexec_b64 s[36:37], s[40:41]
	s_cbranch_execz .LBB371_45
; %bb.44:
	v_bcnt_u32_b32 v2, v2, 0
	v_bcnt_u32_b32 v2, v3, v2
	s_waitcnt lgkmcnt(0)
	v_add_u32_e32 v2, v16, v2
	ds_write_b32 v35, v2 offset:32
.LBB371_45:
	s_or_b64 exec, exec, s[36:37]
	v_xor_b32_e32 v28, 0x80000000, v28
	v_lshrrev_b32_e32 v2, s56, v28
	v_and_b32_e32 v4, s69, v2
	v_and_b32_e32 v3, 1, v4
	v_add_co_u32_e64 v5, s[36:37], -1, v3
	v_addc_co_u32_e64 v36, s[36:37], 0, -1, s[36:37]
	v_cmp_ne_u32_e64 s[36:37], 0, v3
	v_lshl_add_u32 v2, v4, 3, v4
	v_xor_b32_e32 v3, s37, v36
	v_add_lshl_u32 v40, v32, v2, 2
	v_mov_b32_e32 v2, 0
	v_and_b32_e32 v36, exec_hi, v3
	v_lshlrev_b32_e32 v3, 30, v4
	v_xor_b32_e32 v5, s36, v5
	v_cmp_gt_i64_e64 s[36:37], 0, v[2:3]
	v_not_b32_e32 v3, v3
	v_ashrrev_i32_e32 v3, 31, v3
	v_and_b32_e32 v5, exec_lo, v5
	v_xor_b32_e32 v37, s37, v3
	v_xor_b32_e32 v3, s36, v3
	v_and_b32_e32 v5, v5, v3
	v_lshlrev_b32_e32 v3, 29, v4
	v_cmp_gt_i64_e64 s[36:37], 0, v[2:3]
	v_not_b32_e32 v3, v3
	v_ashrrev_i32_e32 v3, 31, v3
	v_and_b32_e32 v36, v36, v37
	v_xor_b32_e32 v37, s37, v3
	v_xor_b32_e32 v3, s36, v3
	v_and_b32_e32 v5, v5, v3
	v_lshlrev_b32_e32 v3, 28, v4
	v_cmp_gt_i64_e64 s[36:37], 0, v[2:3]
	v_not_b32_e32 v3, v3
	v_ashrrev_i32_e32 v3, 31, v3
	v_and_b32_e32 v36, v36, v37
	v_xor_b32_e32 v37, s37, v3
	v_xor_b32_e32 v3, s36, v3
	v_and_b32_e32 v5, v5, v3
	v_lshlrev_b32_e32 v3, 27, v4
	v_cmp_gt_i64_e64 s[36:37], 0, v[2:3]
	v_not_b32_e32 v3, v3
	v_ashrrev_i32_e32 v3, 31, v3
	v_and_b32_e32 v36, v36, v37
	v_xor_b32_e32 v37, s37, v3
	v_xor_b32_e32 v3, s36, v3
	v_and_b32_e32 v5, v5, v3
	v_lshlrev_b32_e32 v3, 26, v4
	v_cmp_gt_i64_e64 s[36:37], 0, v[2:3]
	v_not_b32_e32 v3, v3
	v_ashrrev_i32_e32 v3, 31, v3
	v_and_b32_e32 v36, v36, v37
	v_xor_b32_e32 v37, s37, v3
	v_xor_b32_e32 v3, s36, v3
	v_and_b32_e32 v5, v5, v3
	v_lshlrev_b32_e32 v3, 25, v4
	v_cmp_gt_i64_e64 s[36:37], 0, v[2:3]
	v_not_b32_e32 v3, v3
	v_ashrrev_i32_e32 v3, 31, v3
	v_and_b32_e32 v36, v36, v37
	v_xor_b32_e32 v37, s37, v3
	v_xor_b32_e32 v3, s36, v3
	v_and_b32_e32 v36, v36, v37
	v_and_b32_e32 v37, v5, v3
	v_lshlrev_b32_e32 v3, 24, v4
	v_cmp_gt_i64_e64 s[36:37], 0, v[2:3]
	v_not_b32_e32 v3, v3
	v_ashrrev_i32_e32 v3, 31, v3
	v_xor_b32_e32 v4, s37, v3
	v_xor_b32_e32 v3, s36, v3
	; wave barrier
	ds_read_b32 v31, v40 offset:32
	v_and_b32_e32 v5, v36, v4
	v_and_b32_e32 v4, v37, v3
	v_mbcnt_lo_u32_b32 v3, v4, 0
	v_mbcnt_hi_u32_b32 v36, v5, v3
	v_cmp_eq_u32_e64 s[36:37], 0, v36
	v_cmp_ne_u64_e64 s[40:41], 0, v[4:5]
	s_and_b64 s[40:41], s[40:41], s[36:37]
	; wave barrier
	s_and_saveexec_b64 s[36:37], s[40:41]
	s_cbranch_execz .LBB371_47
; %bb.46:
	v_bcnt_u32_b32 v3, v4, 0
	v_bcnt_u32_b32 v3, v5, v3
	s_waitcnt lgkmcnt(0)
	v_add_u32_e32 v3, v31, v3
	ds_write_b32 v40, v3 offset:32
.LBB371_47:
	s_or_b64 exec, exec, s[36:37]
	v_xor_b32_e32 v29, 0x80000000, v29
	v_lshrrev_b32_e32 v3, s56, v29
	v_and_b32_e32 v4, s69, v3
	v_lshl_add_u32 v3, v4, 3, v4
	v_add_lshl_u32 v45, v32, v3, 2
	v_and_b32_e32 v3, 1, v4
	v_add_co_u32_e64 v5, s[36:37], -1, v3
	v_addc_co_u32_e64 v41, s[36:37], 0, -1, s[36:37]
	v_cmp_ne_u32_e64 s[36:37], 0, v3
	v_xor_b32_e32 v3, s37, v41
	v_and_b32_e32 v41, exec_hi, v3
	v_lshlrev_b32_e32 v3, 30, v4
	v_xor_b32_e32 v5, s36, v5
	v_cmp_gt_i64_e64 s[36:37], 0, v[2:3]
	v_not_b32_e32 v3, v3
	v_ashrrev_i32_e32 v3, 31, v3
	v_and_b32_e32 v5, exec_lo, v5
	v_xor_b32_e32 v42, s37, v3
	v_xor_b32_e32 v3, s36, v3
	v_and_b32_e32 v5, v5, v3
	v_lshlrev_b32_e32 v3, 29, v4
	v_cmp_gt_i64_e64 s[36:37], 0, v[2:3]
	v_not_b32_e32 v3, v3
	v_ashrrev_i32_e32 v3, 31, v3
	v_and_b32_e32 v41, v41, v42
	v_xor_b32_e32 v42, s37, v3
	v_xor_b32_e32 v3, s36, v3
	v_and_b32_e32 v5, v5, v3
	v_lshlrev_b32_e32 v3, 28, v4
	v_cmp_gt_i64_e64 s[36:37], 0, v[2:3]
	v_not_b32_e32 v3, v3
	v_ashrrev_i32_e32 v3, 31, v3
	v_and_b32_e32 v41, v41, v42
	;; [unrolled: 8-line block ×5, first 2 shown]
	v_xor_b32_e32 v42, s37, v3
	v_xor_b32_e32 v3, s36, v3
	v_and_b32_e32 v5, v5, v3
	v_lshlrev_b32_e32 v3, 24, v4
	v_cmp_gt_i64_e64 s[36:37], 0, v[2:3]
	v_not_b32_e32 v2, v3
	v_ashrrev_i32_e32 v2, 31, v2
	v_xor_b32_e32 v3, s37, v2
	v_xor_b32_e32 v2, s36, v2
	; wave barrier
	ds_read_b32 v37, v45 offset:32
	v_and_b32_e32 v41, v41, v42
	v_and_b32_e32 v2, v5, v2
	;; [unrolled: 1-line block ×3, first 2 shown]
	v_mbcnt_lo_u32_b32 v4, v2, 0
	v_mbcnt_hi_u32_b32 v41, v3, v4
	v_cmp_eq_u32_e64 s[36:37], 0, v41
	v_cmp_ne_u64_e64 s[40:41], 0, v[2:3]
	s_and_b64 s[40:41], s[40:41], s[36:37]
	; wave barrier
	s_and_saveexec_b64 s[36:37], s[40:41]
	s_cbranch_execz .LBB371_49
; %bb.48:
	v_bcnt_u32_b32 v2, v2, 0
	v_bcnt_u32_b32 v2, v3, v2
	s_waitcnt lgkmcnt(0)
	v_add_u32_e32 v2, v37, v2
	ds_write_b32 v45, v2 offset:32
.LBB371_49:
	s_or_b64 exec, exec, s[36:37]
	v_xor_b32_e32 v30, 0x80000000, v30
	v_lshrrev_b32_e32 v2, s56, v30
	v_and_b32_e32 v4, s69, v2
	v_and_b32_e32 v3, 1, v4
	v_add_co_u32_e64 v5, s[36:37], -1, v3
	v_addc_co_u32_e64 v46, s[36:37], 0, -1, s[36:37]
	v_cmp_ne_u32_e64 s[36:37], 0, v3
	v_lshl_add_u32 v2, v4, 3, v4
	v_xor_b32_e32 v3, s37, v46
	v_add_lshl_u32 v49, v32, v2, 2
	v_mov_b32_e32 v2, 0
	v_and_b32_e32 v46, exec_hi, v3
	v_lshlrev_b32_e32 v3, 30, v4
	v_xor_b32_e32 v5, s36, v5
	v_cmp_gt_i64_e64 s[36:37], 0, v[2:3]
	v_not_b32_e32 v3, v3
	v_ashrrev_i32_e32 v3, 31, v3
	v_and_b32_e32 v5, exec_lo, v5
	v_xor_b32_e32 v47, s37, v3
	v_xor_b32_e32 v3, s36, v3
	v_and_b32_e32 v5, v5, v3
	v_lshlrev_b32_e32 v3, 29, v4
	v_cmp_gt_i64_e64 s[36:37], 0, v[2:3]
	v_not_b32_e32 v3, v3
	v_ashrrev_i32_e32 v3, 31, v3
	v_and_b32_e32 v46, v46, v47
	v_xor_b32_e32 v47, s37, v3
	v_xor_b32_e32 v3, s36, v3
	v_and_b32_e32 v5, v5, v3
	v_lshlrev_b32_e32 v3, 28, v4
	v_cmp_gt_i64_e64 s[36:37], 0, v[2:3]
	v_not_b32_e32 v3, v3
	v_ashrrev_i32_e32 v3, 31, v3
	v_and_b32_e32 v46, v46, v47
	v_xor_b32_e32 v47, s37, v3
	v_xor_b32_e32 v3, s36, v3
	v_and_b32_e32 v5, v5, v3
	v_lshlrev_b32_e32 v3, 27, v4
	v_cmp_gt_i64_e64 s[36:37], 0, v[2:3]
	v_not_b32_e32 v3, v3
	v_ashrrev_i32_e32 v3, 31, v3
	v_and_b32_e32 v46, v46, v47
	v_xor_b32_e32 v47, s37, v3
	v_xor_b32_e32 v3, s36, v3
	v_and_b32_e32 v5, v5, v3
	v_lshlrev_b32_e32 v3, 26, v4
	v_cmp_gt_i64_e64 s[36:37], 0, v[2:3]
	v_not_b32_e32 v3, v3
	v_ashrrev_i32_e32 v3, 31, v3
	v_and_b32_e32 v46, v46, v47
	v_xor_b32_e32 v47, s37, v3
	v_xor_b32_e32 v3, s36, v3
	v_and_b32_e32 v5, v5, v3
	v_lshlrev_b32_e32 v3, 25, v4
	v_cmp_gt_i64_e64 s[36:37], 0, v[2:3]
	v_not_b32_e32 v3, v3
	v_ashrrev_i32_e32 v3, 31, v3
	v_and_b32_e32 v46, v46, v47
	v_xor_b32_e32 v47, s37, v3
	v_xor_b32_e32 v3, s36, v3
	v_and_b32_e32 v46, v46, v47
	v_and_b32_e32 v47, v5, v3
	v_lshlrev_b32_e32 v3, 24, v4
	v_cmp_gt_i64_e64 s[36:37], 0, v[2:3]
	v_not_b32_e32 v3, v3
	v_ashrrev_i32_e32 v3, 31, v3
	v_xor_b32_e32 v4, s37, v3
	v_xor_b32_e32 v3, s36, v3
	; wave barrier
	ds_read_b32 v42, v49 offset:32
	v_and_b32_e32 v5, v46, v4
	v_and_b32_e32 v4, v47, v3
	v_mbcnt_lo_u32_b32 v3, v4, 0
	v_mbcnt_hi_u32_b32 v46, v5, v3
	v_cmp_eq_u32_e64 s[36:37], 0, v46
	v_cmp_ne_u64_e64 s[40:41], 0, v[4:5]
	s_and_b64 s[40:41], s[40:41], s[36:37]
	; wave barrier
	s_and_saveexec_b64 s[36:37], s[40:41]
	s_cbranch_execz .LBB371_51
; %bb.50:
	v_bcnt_u32_b32 v3, v4, 0
	v_bcnt_u32_b32 v3, v5, v3
	s_waitcnt lgkmcnt(0)
	v_add_u32_e32 v3, v42, v3
	ds_write_b32 v49, v3 offset:32
.LBB371_51:
	s_or_b64 exec, exec, s[36:37]
	v_xor_b32_e32 v34, 0x80000000, v34
	v_lshrrev_b32_e32 v3, s56, v34
	v_and_b32_e32 v4, s69, v3
	v_lshl_add_u32 v3, v4, 3, v4
	v_add_lshl_u32 v52, v32, v3, 2
	v_and_b32_e32 v3, 1, v4
	v_add_co_u32_e64 v5, s[36:37], -1, v3
	v_addc_co_u32_e64 v50, s[36:37], 0, -1, s[36:37]
	v_cmp_ne_u32_e64 s[36:37], 0, v3
	v_xor_b32_e32 v3, s37, v50
	v_and_b32_e32 v50, exec_hi, v3
	v_lshlrev_b32_e32 v3, 30, v4
	v_xor_b32_e32 v5, s36, v5
	v_cmp_gt_i64_e64 s[36:37], 0, v[2:3]
	v_not_b32_e32 v3, v3
	v_ashrrev_i32_e32 v3, 31, v3
	v_and_b32_e32 v5, exec_lo, v5
	v_xor_b32_e32 v51, s37, v3
	v_xor_b32_e32 v3, s36, v3
	v_and_b32_e32 v5, v5, v3
	v_lshlrev_b32_e32 v3, 29, v4
	v_cmp_gt_i64_e64 s[36:37], 0, v[2:3]
	v_not_b32_e32 v3, v3
	v_ashrrev_i32_e32 v3, 31, v3
	v_and_b32_e32 v50, v50, v51
	v_xor_b32_e32 v51, s37, v3
	v_xor_b32_e32 v3, s36, v3
	v_and_b32_e32 v5, v5, v3
	v_lshlrev_b32_e32 v3, 28, v4
	v_cmp_gt_i64_e64 s[36:37], 0, v[2:3]
	v_not_b32_e32 v3, v3
	v_ashrrev_i32_e32 v3, 31, v3
	v_and_b32_e32 v50, v50, v51
	;; [unrolled: 8-line block ×5, first 2 shown]
	v_xor_b32_e32 v51, s37, v3
	v_xor_b32_e32 v3, s36, v3
	v_and_b32_e32 v5, v5, v3
	v_lshlrev_b32_e32 v3, 24, v4
	v_cmp_gt_i64_e64 s[36:37], 0, v[2:3]
	v_not_b32_e32 v2, v3
	v_ashrrev_i32_e32 v2, 31, v2
	v_xor_b32_e32 v3, s37, v2
	v_xor_b32_e32 v2, s36, v2
	; wave barrier
	ds_read_b32 v47, v52 offset:32
	v_and_b32_e32 v50, v50, v51
	v_and_b32_e32 v2, v5, v2
	;; [unrolled: 1-line block ×3, first 2 shown]
	v_mbcnt_lo_u32_b32 v4, v2, 0
	v_mbcnt_hi_u32_b32 v50, v3, v4
	v_cmp_eq_u32_e64 s[36:37], 0, v50
	v_cmp_ne_u64_e64 s[40:41], 0, v[2:3]
	s_and_b64 s[40:41], s[40:41], s[36:37]
	; wave barrier
	s_and_saveexec_b64 s[36:37], s[40:41]
	s_cbranch_execz .LBB371_53
; %bb.52:
	v_bcnt_u32_b32 v2, v2, 0
	v_bcnt_u32_b32 v2, v3, v2
	s_waitcnt lgkmcnt(0)
	v_add_u32_e32 v2, v47, v2
	ds_write_b32 v52, v2 offset:32
.LBB371_53:
	s_or_b64 exec, exec, s[36:37]
	v_xor_b32_e32 v39, 0x80000000, v39
	v_lshrrev_b32_e32 v2, s56, v39
	v_and_b32_e32 v4, s69, v2
	v_and_b32_e32 v3, 1, v4
	v_add_co_u32_e64 v5, s[36:37], -1, v3
	v_addc_co_u32_e64 v53, s[36:37], 0, -1, s[36:37]
	v_cmp_ne_u32_e64 s[36:37], 0, v3
	v_lshl_add_u32 v2, v4, 3, v4
	v_xor_b32_e32 v3, s37, v53
	v_add_lshl_u32 v55, v32, v2, 2
	v_mov_b32_e32 v2, 0
	v_and_b32_e32 v53, exec_hi, v3
	v_lshlrev_b32_e32 v3, 30, v4
	v_xor_b32_e32 v5, s36, v5
	v_cmp_gt_i64_e64 s[36:37], 0, v[2:3]
	v_not_b32_e32 v3, v3
	v_ashrrev_i32_e32 v3, 31, v3
	v_and_b32_e32 v5, exec_lo, v5
	v_xor_b32_e32 v54, s37, v3
	v_xor_b32_e32 v3, s36, v3
	v_and_b32_e32 v5, v5, v3
	v_lshlrev_b32_e32 v3, 29, v4
	v_cmp_gt_i64_e64 s[36:37], 0, v[2:3]
	v_not_b32_e32 v3, v3
	v_ashrrev_i32_e32 v3, 31, v3
	v_and_b32_e32 v53, v53, v54
	v_xor_b32_e32 v54, s37, v3
	v_xor_b32_e32 v3, s36, v3
	v_and_b32_e32 v5, v5, v3
	v_lshlrev_b32_e32 v3, 28, v4
	v_cmp_gt_i64_e64 s[36:37], 0, v[2:3]
	v_not_b32_e32 v3, v3
	v_ashrrev_i32_e32 v3, 31, v3
	v_and_b32_e32 v53, v53, v54
	;; [unrolled: 8-line block ×5, first 2 shown]
	v_xor_b32_e32 v54, s37, v3
	v_xor_b32_e32 v3, s36, v3
	v_and_b32_e32 v53, v53, v54
	v_and_b32_e32 v54, v5, v3
	v_lshlrev_b32_e32 v3, 24, v4
	v_cmp_gt_i64_e64 s[36:37], 0, v[2:3]
	v_not_b32_e32 v3, v3
	v_ashrrev_i32_e32 v3, 31, v3
	v_xor_b32_e32 v4, s37, v3
	v_xor_b32_e32 v3, s36, v3
	; wave barrier
	ds_read_b32 v51, v55 offset:32
	v_and_b32_e32 v5, v53, v4
	v_and_b32_e32 v4, v54, v3
	v_mbcnt_lo_u32_b32 v3, v4, 0
	v_mbcnt_hi_u32_b32 v53, v5, v3
	v_cmp_eq_u32_e64 s[36:37], 0, v53
	v_cmp_ne_u64_e64 s[40:41], 0, v[4:5]
	s_and_b64 s[40:41], s[40:41], s[36:37]
	; wave barrier
	s_and_saveexec_b64 s[36:37], s[40:41]
	s_cbranch_execz .LBB371_55
; %bb.54:
	v_bcnt_u32_b32 v3, v4, 0
	v_bcnt_u32_b32 v3, v5, v3
	s_waitcnt lgkmcnt(0)
	v_add_u32_e32 v3, v51, v3
	ds_write_b32 v55, v3 offset:32
.LBB371_55:
	s_or_b64 exec, exec, s[36:37]
	v_xor_b32_e32 v44, 0x80000000, v44
	v_lshrrev_b32_e32 v3, s56, v44
	v_and_b32_e32 v4, s69, v3
	v_lshl_add_u32 v3, v4, 3, v4
	v_add_lshl_u32 v58, v32, v3, 2
	v_and_b32_e32 v3, 1, v4
	v_add_co_u32_e64 v5, s[36:37], -1, v3
	v_addc_co_u32_e64 v56, s[36:37], 0, -1, s[36:37]
	v_cmp_ne_u32_e64 s[36:37], 0, v3
	v_xor_b32_e32 v3, s37, v56
	v_and_b32_e32 v56, exec_hi, v3
	v_lshlrev_b32_e32 v3, 30, v4
	v_xor_b32_e32 v5, s36, v5
	v_cmp_gt_i64_e64 s[36:37], 0, v[2:3]
	v_not_b32_e32 v3, v3
	v_ashrrev_i32_e32 v3, 31, v3
	v_and_b32_e32 v5, exec_lo, v5
	v_xor_b32_e32 v57, s37, v3
	v_xor_b32_e32 v3, s36, v3
	v_and_b32_e32 v5, v5, v3
	v_lshlrev_b32_e32 v3, 29, v4
	v_cmp_gt_i64_e64 s[36:37], 0, v[2:3]
	v_not_b32_e32 v3, v3
	v_ashrrev_i32_e32 v3, 31, v3
	v_and_b32_e32 v56, v56, v57
	v_xor_b32_e32 v57, s37, v3
	v_xor_b32_e32 v3, s36, v3
	v_and_b32_e32 v5, v5, v3
	v_lshlrev_b32_e32 v3, 28, v4
	v_cmp_gt_i64_e64 s[36:37], 0, v[2:3]
	v_not_b32_e32 v3, v3
	v_ashrrev_i32_e32 v3, 31, v3
	v_and_b32_e32 v56, v56, v57
	;; [unrolled: 8-line block ×5, first 2 shown]
	v_xor_b32_e32 v57, s37, v3
	v_xor_b32_e32 v3, s36, v3
	v_and_b32_e32 v5, v5, v3
	v_lshlrev_b32_e32 v3, 24, v4
	v_cmp_gt_i64_e64 s[36:37], 0, v[2:3]
	v_not_b32_e32 v2, v3
	v_ashrrev_i32_e32 v2, 31, v2
	v_xor_b32_e32 v3, s37, v2
	v_xor_b32_e32 v2, s36, v2
	; wave barrier
	ds_read_b32 v54, v58 offset:32
	v_and_b32_e32 v56, v56, v57
	v_and_b32_e32 v2, v5, v2
	;; [unrolled: 1-line block ×3, first 2 shown]
	v_mbcnt_lo_u32_b32 v4, v2, 0
	v_mbcnt_hi_u32_b32 v56, v3, v4
	v_cmp_eq_u32_e64 s[36:37], 0, v56
	v_cmp_ne_u64_e64 s[40:41], 0, v[2:3]
	s_and_b64 s[40:41], s[40:41], s[36:37]
	; wave barrier
	s_and_saveexec_b64 s[36:37], s[40:41]
	s_cbranch_execz .LBB371_57
; %bb.56:
	v_bcnt_u32_b32 v2, v2, 0
	v_bcnt_u32_b32 v2, v3, v2
	s_waitcnt lgkmcnt(0)
	v_add_u32_e32 v2, v54, v2
	ds_write_b32 v58, v2 offset:32
.LBB371_57:
	s_or_b64 exec, exec, s[36:37]
	v_xor_b32_e32 v48, 0x80000000, v48
	v_lshrrev_b32_e32 v2, s56, v48
	v_and_b32_e32 v4, s69, v2
	v_and_b32_e32 v3, 1, v4
	v_add_co_u32_e64 v5, s[36:37], -1, v3
	v_addc_co_u32_e64 v59, s[36:37], 0, -1, s[36:37]
	v_cmp_ne_u32_e64 s[36:37], 0, v3
	v_lshl_add_u32 v2, v4, 3, v4
	v_xor_b32_e32 v3, s37, v59
	v_add_lshl_u32 v61, v32, v2, 2
	v_mov_b32_e32 v2, 0
	v_and_b32_e32 v59, exec_hi, v3
	v_lshlrev_b32_e32 v3, 30, v4
	v_xor_b32_e32 v5, s36, v5
	v_cmp_gt_i64_e64 s[36:37], 0, v[2:3]
	v_not_b32_e32 v3, v3
	v_ashrrev_i32_e32 v3, 31, v3
	v_and_b32_e32 v5, exec_lo, v5
	v_xor_b32_e32 v60, s37, v3
	v_xor_b32_e32 v3, s36, v3
	v_and_b32_e32 v5, v5, v3
	v_lshlrev_b32_e32 v3, 29, v4
	v_cmp_gt_i64_e64 s[36:37], 0, v[2:3]
	v_not_b32_e32 v3, v3
	v_ashrrev_i32_e32 v3, 31, v3
	v_and_b32_e32 v59, v59, v60
	v_xor_b32_e32 v60, s37, v3
	v_xor_b32_e32 v3, s36, v3
	v_and_b32_e32 v5, v5, v3
	v_lshlrev_b32_e32 v3, 28, v4
	v_cmp_gt_i64_e64 s[36:37], 0, v[2:3]
	v_not_b32_e32 v3, v3
	v_ashrrev_i32_e32 v3, 31, v3
	v_and_b32_e32 v59, v59, v60
	;; [unrolled: 8-line block ×5, first 2 shown]
	v_xor_b32_e32 v60, s37, v3
	v_xor_b32_e32 v3, s36, v3
	v_and_b32_e32 v59, v59, v60
	v_and_b32_e32 v60, v5, v3
	v_lshlrev_b32_e32 v3, 24, v4
	v_cmp_gt_i64_e64 s[36:37], 0, v[2:3]
	v_not_b32_e32 v3, v3
	v_ashrrev_i32_e32 v3, 31, v3
	v_xor_b32_e32 v4, s37, v3
	v_xor_b32_e32 v3, s36, v3
	; wave barrier
	ds_read_b32 v57, v61 offset:32
	v_and_b32_e32 v5, v59, v4
	v_and_b32_e32 v4, v60, v3
	v_mbcnt_lo_u32_b32 v3, v4, 0
	v_mbcnt_hi_u32_b32 v59, v5, v3
	v_cmp_eq_u32_e64 s[36:37], 0, v59
	v_cmp_ne_u64_e64 s[40:41], 0, v[4:5]
	s_and_b64 s[40:41], s[40:41], s[36:37]
	; wave barrier
	s_and_saveexec_b64 s[36:37], s[40:41]
	s_cbranch_execz .LBB371_59
; %bb.58:
	v_bcnt_u32_b32 v3, v4, 0
	v_bcnt_u32_b32 v3, v5, v3
	s_waitcnt lgkmcnt(0)
	v_add_u32_e32 v3, v57, v3
	ds_write_b32 v61, v3 offset:32
.LBB371_59:
	s_or_b64 exec, exec, s[36:37]
	v_xor_b32_e32 v43, 0x80000000, v43
	v_lshrrev_b32_e32 v3, s56, v43
	v_and_b32_e32 v4, s69, v3
	v_lshl_add_u32 v3, v4, 3, v4
	v_add_lshl_u32 v65, v32, v3, 2
	v_and_b32_e32 v3, 1, v4
	v_add_co_u32_e64 v5, s[36:37], -1, v3
	v_addc_co_u32_e64 v62, s[36:37], 0, -1, s[36:37]
	v_cmp_ne_u32_e64 s[36:37], 0, v3
	v_xor_b32_e32 v3, s37, v62
	v_and_b32_e32 v62, exec_hi, v3
	v_lshlrev_b32_e32 v3, 30, v4
	v_xor_b32_e32 v5, s36, v5
	v_cmp_gt_i64_e64 s[36:37], 0, v[2:3]
	v_not_b32_e32 v3, v3
	v_ashrrev_i32_e32 v3, 31, v3
	v_and_b32_e32 v5, exec_lo, v5
	v_xor_b32_e32 v63, s37, v3
	v_xor_b32_e32 v3, s36, v3
	v_and_b32_e32 v5, v5, v3
	v_lshlrev_b32_e32 v3, 29, v4
	v_cmp_gt_i64_e64 s[36:37], 0, v[2:3]
	v_not_b32_e32 v3, v3
	v_ashrrev_i32_e32 v3, 31, v3
	v_and_b32_e32 v62, v62, v63
	v_xor_b32_e32 v63, s37, v3
	v_xor_b32_e32 v3, s36, v3
	v_and_b32_e32 v5, v5, v3
	v_lshlrev_b32_e32 v3, 28, v4
	v_cmp_gt_i64_e64 s[36:37], 0, v[2:3]
	v_not_b32_e32 v3, v3
	v_ashrrev_i32_e32 v3, 31, v3
	v_and_b32_e32 v62, v62, v63
	;; [unrolled: 8-line block ×5, first 2 shown]
	v_xor_b32_e32 v63, s37, v3
	v_xor_b32_e32 v3, s36, v3
	v_and_b32_e32 v5, v5, v3
	v_lshlrev_b32_e32 v3, 24, v4
	v_cmp_gt_i64_e64 s[36:37], 0, v[2:3]
	v_not_b32_e32 v2, v3
	v_ashrrev_i32_e32 v2, 31, v2
	v_xor_b32_e32 v3, s37, v2
	v_xor_b32_e32 v2, s36, v2
	; wave barrier
	ds_read_b32 v60, v65 offset:32
	v_and_b32_e32 v62, v62, v63
	v_and_b32_e32 v2, v5, v2
	;; [unrolled: 1-line block ×3, first 2 shown]
	v_mbcnt_lo_u32_b32 v4, v2, 0
	v_mbcnt_hi_u32_b32 v63, v3, v4
	v_cmp_eq_u32_e64 s[36:37], 0, v63
	v_cmp_ne_u64_e64 s[40:41], 0, v[2:3]
	s_and_b64 s[40:41], s[40:41], s[36:37]
	; wave barrier
	s_and_saveexec_b64 s[36:37], s[40:41]
	s_cbranch_execz .LBB371_61
; %bb.60:
	v_bcnt_u32_b32 v2, v2, 0
	v_bcnt_u32_b32 v2, v3, v2
	s_waitcnt lgkmcnt(0)
	v_add_u32_e32 v2, v60, v2
	ds_write_b32 v65, v2 offset:32
.LBB371_61:
	s_or_b64 exec, exec, s[36:37]
	v_xor_b32_e32 v38, 0x80000000, v38
	v_lshrrev_b32_e32 v2, s56, v38
	v_and_b32_e32 v4, s69, v2
	v_and_b32_e32 v3, 1, v4
	v_add_co_u32_e64 v5, s[36:37], -1, v3
	v_addc_co_u32_e64 v62, s[36:37], 0, -1, s[36:37]
	v_cmp_ne_u32_e64 s[36:37], 0, v3
	v_lshl_add_u32 v2, v4, 3, v4
	v_xor_b32_e32 v3, s37, v62
	v_add_lshl_u32 v69, v32, v2, 2
	v_mov_b32_e32 v2, 0
	v_and_b32_e32 v62, exec_hi, v3
	v_lshlrev_b32_e32 v3, 30, v4
	v_xor_b32_e32 v5, s36, v5
	v_cmp_gt_i64_e64 s[36:37], 0, v[2:3]
	v_not_b32_e32 v3, v3
	v_ashrrev_i32_e32 v3, 31, v3
	v_and_b32_e32 v5, exec_lo, v5
	v_xor_b32_e32 v66, s37, v3
	v_xor_b32_e32 v3, s36, v3
	v_and_b32_e32 v5, v5, v3
	v_lshlrev_b32_e32 v3, 29, v4
	v_cmp_gt_i64_e64 s[36:37], 0, v[2:3]
	v_not_b32_e32 v3, v3
	v_ashrrev_i32_e32 v3, 31, v3
	v_and_b32_e32 v62, v62, v66
	v_xor_b32_e32 v66, s37, v3
	v_xor_b32_e32 v3, s36, v3
	v_and_b32_e32 v5, v5, v3
	v_lshlrev_b32_e32 v3, 28, v4
	v_cmp_gt_i64_e64 s[36:37], 0, v[2:3]
	v_not_b32_e32 v3, v3
	v_ashrrev_i32_e32 v3, 31, v3
	v_and_b32_e32 v62, v62, v66
	;; [unrolled: 8-line block ×5, first 2 shown]
	v_xor_b32_e32 v66, s37, v3
	v_xor_b32_e32 v3, s36, v3
	v_and_b32_e32 v62, v62, v66
	v_and_b32_e32 v66, v5, v3
	v_lshlrev_b32_e32 v3, 24, v4
	v_cmp_gt_i64_e64 s[36:37], 0, v[2:3]
	v_not_b32_e32 v3, v3
	v_ashrrev_i32_e32 v3, 31, v3
	v_xor_b32_e32 v4, s37, v3
	v_xor_b32_e32 v3, s36, v3
	; wave barrier
	ds_read_b32 v64, v69 offset:32
	v_and_b32_e32 v5, v62, v4
	v_and_b32_e32 v4, v66, v3
	v_mbcnt_lo_u32_b32 v3, v4, 0
	v_mbcnt_hi_u32_b32 v67, v5, v3
	v_cmp_eq_u32_e64 s[36:37], 0, v67
	v_cmp_ne_u64_e64 s[40:41], 0, v[4:5]
	s_and_b64 s[40:41], s[40:41], s[36:37]
	; wave barrier
	s_and_saveexec_b64 s[36:37], s[40:41]
	s_cbranch_execz .LBB371_63
; %bb.62:
	v_bcnt_u32_b32 v3, v4, 0
	v_bcnt_u32_b32 v3, v5, v3
	s_waitcnt lgkmcnt(0)
	v_add_u32_e32 v3, v64, v3
	ds_write_b32 v69, v3 offset:32
.LBB371_63:
	s_or_b64 exec, exec, s[36:37]
	v_xor_b32_e32 v33, 0x80000000, v33
	v_lshrrev_b32_e32 v3, s56, v33
	v_and_b32_e32 v4, s69, v3
	v_lshl_add_u32 v3, v4, 3, v4
	v_add_lshl_u32 v71, v32, v3, 2
	v_and_b32_e32 v3, 1, v4
	v_add_co_u32_e64 v5, s[36:37], -1, v3
	v_addc_co_u32_e64 v62, s[36:37], 0, -1, s[36:37]
	v_cmp_ne_u32_e64 s[36:37], 0, v3
	v_xor_b32_e32 v3, s37, v62
	v_and_b32_e32 v62, exec_hi, v3
	v_lshlrev_b32_e32 v3, 30, v4
	v_xor_b32_e32 v5, s36, v5
	v_cmp_gt_i64_e64 s[36:37], 0, v[2:3]
	v_not_b32_e32 v3, v3
	v_ashrrev_i32_e32 v3, 31, v3
	v_and_b32_e32 v5, exec_lo, v5
	v_xor_b32_e32 v66, s37, v3
	v_xor_b32_e32 v3, s36, v3
	v_and_b32_e32 v5, v5, v3
	v_lshlrev_b32_e32 v3, 29, v4
	v_cmp_gt_i64_e64 s[36:37], 0, v[2:3]
	v_not_b32_e32 v3, v3
	v_ashrrev_i32_e32 v3, 31, v3
	v_and_b32_e32 v62, v62, v66
	v_xor_b32_e32 v66, s37, v3
	v_xor_b32_e32 v3, s36, v3
	v_and_b32_e32 v5, v5, v3
	v_lshlrev_b32_e32 v3, 28, v4
	v_cmp_gt_i64_e64 s[36:37], 0, v[2:3]
	v_not_b32_e32 v3, v3
	v_ashrrev_i32_e32 v3, 31, v3
	v_and_b32_e32 v62, v62, v66
	;; [unrolled: 8-line block ×5, first 2 shown]
	v_xor_b32_e32 v66, s37, v3
	v_xor_b32_e32 v3, s36, v3
	v_and_b32_e32 v5, v5, v3
	v_lshlrev_b32_e32 v3, 24, v4
	v_cmp_gt_i64_e64 s[36:37], 0, v[2:3]
	v_not_b32_e32 v2, v3
	v_ashrrev_i32_e32 v2, 31, v2
	v_xor_b32_e32 v3, s37, v2
	v_xor_b32_e32 v2, s36, v2
	; wave barrier
	ds_read_b32 v68, v71 offset:32
	v_and_b32_e32 v62, v62, v66
	v_and_b32_e32 v2, v5, v2
	;; [unrolled: 1-line block ×3, first 2 shown]
	v_mbcnt_lo_u32_b32 v4, v2, 0
	v_mbcnt_hi_u32_b32 v70, v3, v4
	v_cmp_eq_u32_e64 s[36:37], 0, v70
	v_cmp_ne_u64_e64 s[40:41], 0, v[2:3]
	s_and_b64 s[40:41], s[40:41], s[36:37]
	; wave barrier
	s_and_saveexec_b64 s[36:37], s[40:41]
	s_cbranch_execz .LBB371_65
; %bb.64:
	v_bcnt_u32_b32 v2, v2, 0
	v_bcnt_u32_b32 v2, v3, v2
	s_waitcnt lgkmcnt(0)
	v_add_u32_e32 v2, v68, v2
	ds_write_b32 v71, v2 offset:32
.LBB371_65:
	s_or_b64 exec, exec, s[36:37]
	v_xor_b32_e32 v62, 0x80000000, v21
	v_lshrrev_b32_e32 v2, s56, v62
	v_and_b32_e32 v4, s69, v2
	v_and_b32_e32 v3, 1, v4
	v_add_co_u32_e64 v5, s[36:37], -1, v3
	v_addc_co_u32_e64 v66, s[36:37], 0, -1, s[36:37]
	v_cmp_ne_u32_e64 s[36:37], 0, v3
	v_lshl_add_u32 v2, v4, 3, v4
	v_xor_b32_e32 v3, s37, v66
	v_add_lshl_u32 v73, v32, v2, 2
	v_mov_b32_e32 v2, 0
	v_and_b32_e32 v66, exec_hi, v3
	v_lshlrev_b32_e32 v3, 30, v4
	v_xor_b32_e32 v5, s36, v5
	v_cmp_gt_i64_e64 s[36:37], 0, v[2:3]
	v_not_b32_e32 v3, v3
	v_ashrrev_i32_e32 v3, 31, v3
	v_and_b32_e32 v5, exec_lo, v5
	v_xor_b32_e32 v72, s37, v3
	v_xor_b32_e32 v3, s36, v3
	v_and_b32_e32 v5, v5, v3
	v_lshlrev_b32_e32 v3, 29, v4
	v_cmp_gt_i64_e64 s[36:37], 0, v[2:3]
	v_not_b32_e32 v3, v3
	v_ashrrev_i32_e32 v3, 31, v3
	v_and_b32_e32 v66, v66, v72
	v_xor_b32_e32 v72, s37, v3
	v_xor_b32_e32 v3, s36, v3
	v_and_b32_e32 v5, v5, v3
	v_lshlrev_b32_e32 v3, 28, v4
	v_cmp_gt_i64_e64 s[36:37], 0, v[2:3]
	v_not_b32_e32 v3, v3
	v_ashrrev_i32_e32 v3, 31, v3
	v_and_b32_e32 v66, v66, v72
	v_xor_b32_e32 v72, s37, v3
	v_xor_b32_e32 v3, s36, v3
	v_and_b32_e32 v5, v5, v3
	v_lshlrev_b32_e32 v3, 27, v4
	v_cmp_gt_i64_e64 s[36:37], 0, v[2:3]
	v_not_b32_e32 v3, v3
	v_ashrrev_i32_e32 v3, 31, v3
	v_and_b32_e32 v66, v66, v72
	v_xor_b32_e32 v72, s37, v3
	v_xor_b32_e32 v3, s36, v3
	v_and_b32_e32 v5, v5, v3
	v_lshlrev_b32_e32 v3, 26, v4
	v_cmp_gt_i64_e64 s[36:37], 0, v[2:3]
	v_not_b32_e32 v3, v3
	v_ashrrev_i32_e32 v3, 31, v3
	v_and_b32_e32 v66, v66, v72
	v_xor_b32_e32 v72, s37, v3
	v_xor_b32_e32 v3, s36, v3
	v_and_b32_e32 v5, v5, v3
	v_lshlrev_b32_e32 v3, 25, v4
	v_cmp_gt_i64_e64 s[36:37], 0, v[2:3]
	v_not_b32_e32 v3, v3
	v_ashrrev_i32_e32 v3, 31, v3
	v_and_b32_e32 v66, v66, v72
	v_xor_b32_e32 v72, s37, v3
	v_xor_b32_e32 v3, s36, v3
	v_and_b32_e32 v66, v66, v72
	v_and_b32_e32 v72, v5, v3
	v_lshlrev_b32_e32 v3, 24, v4
	v_cmp_gt_i64_e64 s[36:37], 0, v[2:3]
	v_not_b32_e32 v3, v3
	v_ashrrev_i32_e32 v3, 31, v3
	v_xor_b32_e32 v4, s37, v3
	v_xor_b32_e32 v3, s36, v3
	; wave barrier
	ds_read_b32 v21, v73 offset:32
	v_and_b32_e32 v5, v66, v4
	v_and_b32_e32 v4, v72, v3
	v_mbcnt_lo_u32_b32 v3, v4, 0
	v_mbcnt_hi_u32_b32 v72, v5, v3
	v_cmp_eq_u32_e64 s[36:37], 0, v72
	v_cmp_ne_u64_e64 s[40:41], 0, v[4:5]
	s_and_b64 s[40:41], s[40:41], s[36:37]
	; wave barrier
	s_and_saveexec_b64 s[36:37], s[40:41]
	s_cbranch_execz .LBB371_67
; %bb.66:
	v_bcnt_u32_b32 v3, v4, 0
	v_bcnt_u32_b32 v3, v5, v3
	s_waitcnt lgkmcnt(0)
	v_add_u32_e32 v3, v21, v3
	ds_write_b32 v73, v3 offset:32
.LBB371_67:
	s_or_b64 exec, exec, s[36:37]
	v_xor_b32_e32 v66, 0x80000000, v15
	v_lshrrev_b32_e32 v3, s56, v66
	v_and_b32_e32 v4, s69, v3
	v_lshl_add_u32 v3, v4, 3, v4
	v_add_lshl_u32 v32, v32, v3, 2
	v_and_b32_e32 v3, 1, v4
	v_add_co_u32_e64 v5, s[36:37], -1, v3
	v_addc_co_u32_e64 v74, s[36:37], 0, -1, s[36:37]
	v_cmp_ne_u32_e64 s[36:37], 0, v3
	v_xor_b32_e32 v3, s37, v74
	v_and_b32_e32 v74, exec_hi, v3
	v_lshlrev_b32_e32 v3, 30, v4
	v_xor_b32_e32 v5, s36, v5
	v_cmp_gt_i64_e64 s[36:37], 0, v[2:3]
	v_not_b32_e32 v3, v3
	v_ashrrev_i32_e32 v3, 31, v3
	v_and_b32_e32 v5, exec_lo, v5
	v_xor_b32_e32 v76, s37, v3
	v_xor_b32_e32 v3, s36, v3
	v_and_b32_e32 v5, v5, v3
	v_lshlrev_b32_e32 v3, 29, v4
	v_cmp_gt_i64_e64 s[36:37], 0, v[2:3]
	v_not_b32_e32 v3, v3
	v_ashrrev_i32_e32 v3, 31, v3
	v_and_b32_e32 v74, v74, v76
	v_xor_b32_e32 v76, s37, v3
	v_xor_b32_e32 v3, s36, v3
	v_and_b32_e32 v5, v5, v3
	v_lshlrev_b32_e32 v3, 28, v4
	v_cmp_gt_i64_e64 s[36:37], 0, v[2:3]
	v_not_b32_e32 v3, v3
	v_ashrrev_i32_e32 v3, 31, v3
	v_and_b32_e32 v74, v74, v76
	;; [unrolled: 8-line block ×5, first 2 shown]
	v_xor_b32_e32 v76, s37, v3
	v_xor_b32_e32 v3, s36, v3
	v_and_b32_e32 v5, v5, v3
	v_lshlrev_b32_e32 v3, 24, v4
	v_cmp_gt_i64_e64 s[36:37], 0, v[2:3]
	v_not_b32_e32 v2, v3
	v_ashrrev_i32_e32 v2, 31, v2
	v_xor_b32_e32 v3, s37, v2
	v_xor_b32_e32 v2, s36, v2
	; wave barrier
	ds_read_b32 v15, v32 offset:32
	v_and_b32_e32 v74, v74, v76
	v_and_b32_e32 v2, v5, v2
	;; [unrolled: 1-line block ×3, first 2 shown]
	v_mbcnt_lo_u32_b32 v4, v2, 0
	v_mbcnt_hi_u32_b32 v74, v3, v4
	v_cmp_eq_u32_e64 s[36:37], 0, v74
	v_cmp_ne_u64_e64 s[40:41], 0, v[2:3]
	v_add_u32_e32 v75, 32, v7
	s_and_b64 s[40:41], s[40:41], s[36:37]
	; wave barrier
	s_and_saveexec_b64 s[36:37], s[40:41]
	s_cbranch_execz .LBB371_69
; %bb.68:
	v_bcnt_u32_b32 v2, v2, 0
	v_bcnt_u32_b32 v2, v3, v2
	s_waitcnt lgkmcnt(0)
	v_add_u32_e32 v2, v15, v2
	ds_write_b32 v32, v2 offset:32
.LBB371_69:
	s_or_b64 exec, exec, s[36:37]
	; wave barrier
	s_waitcnt lgkmcnt(0)
	s_barrier
	ds_read2_b32 v[4:5], v7 offset0:8 offset1:9
	ds_read2_b32 v[2:3], v75 offset0:2 offset1:3
	ds_read_b32 v76, v75 offset:16
	s_waitcnt lgkmcnt(1)
	v_add3_u32 v77, v5, v4, v2
	s_waitcnt lgkmcnt(0)
	v_add3_u32 v76, v77, v3, v76
	v_and_b32_e32 v77, 15, v6
	v_cmp_ne_u32_e64 s[36:37], 0, v77
	v_mov_b32_dpp v78, v76 row_shr:1 row_mask:0xf bank_mask:0xf
	v_cndmask_b32_e64 v78, 0, v78, s[36:37]
	v_add_u32_e32 v76, v78, v76
	v_cmp_lt_u32_e64 s[36:37], 1, v77
	s_nop 0
	v_mov_b32_dpp v78, v76 row_shr:2 row_mask:0xf bank_mask:0xf
	v_cndmask_b32_e64 v78, 0, v78, s[36:37]
	v_add_u32_e32 v76, v76, v78
	v_cmp_lt_u32_e64 s[36:37], 3, v77
	s_nop 0
	;; [unrolled: 5-line block ×3, first 2 shown]
	v_mov_b32_dpp v78, v76 row_shr:8 row_mask:0xf bank_mask:0xf
	v_cndmask_b32_e64 v77, 0, v78, s[36:37]
	v_add_u32_e32 v76, v76, v77
	v_bfe_i32 v78, v6, 4, 1
	v_cmp_lt_u32_e64 s[36:37], 31, v6
	v_mov_b32_dpp v77, v76 row_bcast:15 row_mask:0xf bank_mask:0xf
	v_and_b32_e32 v77, v78, v77
	v_add_u32_e32 v76, v76, v77
	v_and_b32_e32 v78, 0x3c0, v18
	v_min_u32_e32 v78, 0x1c0, v78
	v_mov_b32_dpp v77, v76 row_bcast:31 row_mask:0xf bank_mask:0xf
	v_cndmask_b32_e64 v77, 0, v77, s[36:37]
	v_or_b32_e32 v78, 63, v78
	v_add_u32_e32 v76, v76, v77
	v_lshrrev_b32_e32 v77, 6, v18
	v_cmp_eq_u32_e64 s[36:37], v78, v18
	s_and_saveexec_b64 s[40:41], s[36:37]
	s_cbranch_execz .LBB371_71
; %bb.70:
	v_lshlrev_b32_e32 v78, 2, v77
	ds_write_b32 v78, v76
.LBB371_71:
	s_or_b64 exec, exec, s[40:41]
	v_cmp_gt_u32_e64 s[36:37], 8, v18
	s_waitcnt lgkmcnt(0)
	s_barrier
	s_and_saveexec_b64 s[40:41], s[36:37]
	s_cbranch_execz .LBB371_73
; %bb.72:
	v_lshlrev_b32_e32 v78, 2, v18
	ds_read_b32 v79, v78
	v_and_b32_e32 v80, 7, v6
	v_cmp_ne_u32_e64 s[36:37], 0, v80
	s_waitcnt lgkmcnt(0)
	v_mov_b32_dpp v81, v79 row_shr:1 row_mask:0xf bank_mask:0xf
	v_cndmask_b32_e64 v81, 0, v81, s[36:37]
	v_add_u32_e32 v79, v81, v79
	v_cmp_lt_u32_e64 s[36:37], 1, v80
	s_nop 0
	v_mov_b32_dpp v81, v79 row_shr:2 row_mask:0xf bank_mask:0xf
	v_cndmask_b32_e64 v81, 0, v81, s[36:37]
	v_add_u32_e32 v79, v79, v81
	v_cmp_lt_u32_e64 s[36:37], 3, v80
	s_nop 0
	v_mov_b32_dpp v81, v79 row_shr:4 row_mask:0xf bank_mask:0xf
	v_cndmask_b32_e64 v80, 0, v81, s[36:37]
	v_add_u32_e32 v79, v79, v80
	ds_write_b32 v78, v79
.LBB371_73:
	s_or_b64 exec, exec, s[40:41]
	v_cmp_lt_u32_e64 s[36:37], 63, v18
	v_mov_b32_e32 v78, 0
	s_waitcnt lgkmcnt(0)
	s_barrier
	s_and_saveexec_b64 s[40:41], s[36:37]
	s_cbranch_execz .LBB371_75
; %bb.74:
	v_lshl_add_u32 v77, v77, 2, -4
	ds_read_b32 v78, v77
.LBB371_75:
	s_or_b64 exec, exec, s[40:41]
	v_add_u32_e32 v77, -1, v6
	v_and_b32_e32 v79, 64, v6
	v_cmp_lt_i32_e64 s[36:37], v77, v79
	v_cndmask_b32_e64 v77, v77, v6, s[36:37]
	s_waitcnt lgkmcnt(0)
	v_add_u32_e32 v76, v78, v76
	v_lshlrev_b32_e32 v77, 2, v77
	ds_bpermute_b32 v76, v77, v76
	v_cmp_eq_u32_e64 s[36:37], 0, v6
	s_waitcnt lgkmcnt(0)
	v_cndmask_b32_e64 v6, v76, v78, s[36:37]
	v_cndmask_b32_e64 v6, v6, 0, s[0:1]
	v_add_u32_e32 v4, v6, v4
	v_add_u32_e32 v5, v4, v5
	;; [unrolled: 1-line block ×4, first 2 shown]
	ds_write2_b32 v7, v6, v4 offset0:8 offset1:9
	ds_write2_b32 v75, v5, v2 offset0:2 offset1:3
	ds_write_b32 v75, v3 offset:16
	s_waitcnt lgkmcnt(0)
	s_barrier
	ds_read_b32 v81, v12 offset:32
	ds_read_b32 v12, v13 offset:32
	;; [unrolled: 1-line block ×16, first 2 shown]
	s_movk_i32 s36, 0x100
	v_cmp_gt_u32_e64 s[36:37], s36, v18
                                        ; implicit-def: $vgpr32
                                        ; implicit-def: $vgpr35
	s_and_saveexec_b64 s[60:61], s[36:37]
	s_cbranch_execz .LBB371_79
; %bb.76:
	v_mul_u32_u24_e32 v2, 9, v18
	v_lshlrev_b32_e32 v3, 2, v2
	ds_read_b32 v32, v3 offset:32
	s_movk_i32 s40, 0xff
	v_cmp_ne_u32_e64 s[40:41], s40, v18
	v_mov_b32_e32 v2, 0x2000
	s_and_saveexec_b64 s[62:63], s[40:41]
	s_cbranch_execz .LBB371_78
; %bb.77:
	ds_read_b32 v2, v3 offset:68
.LBB371_78:
	s_or_b64 exec, exec, s[62:63]
	s_waitcnt lgkmcnt(0)
	v_sub_u32_e32 v35, v2, v32
.LBB371_79:
	s_or_b64 exec, exec, s[60:61]
	s_waitcnt lgkmcnt(0)
	s_barrier
	s_and_saveexec_b64 s[60:61], s[36:37]
	s_cbranch_execz .LBB371_89
; %bb.80:
	v_lshl_or_b32 v2, s33, 8, v18
	v_mov_b32_e32 v3, 0
	v_lshlrev_b64 v[4:5], 2, v[2:3]
	v_mov_b32_e32 v40, s43
	v_add_co_u32_e64 v4, s[40:41], s42, v4
	v_addc_co_u32_e64 v5, s[40:41], v40, v5, s[40:41]
	v_or_b32_e32 v2, 2.0, v35
	s_mov_b64 s[62:63], 0
	s_brev_b32 s70, 1
	s_mov_b32 s71, s33
	v_mov_b32_e32 v45, 0
	global_store_dword v[4:5], v2, off
                                        ; implicit-def: $sgpr40_sgpr41
	s_branch .LBB371_82
.LBB371_81:                             ;   in Loop: Header=BB371_82 Depth=1
	s_or_b64 exec, exec, s[64:65]
	v_and_b32_e32 v6, 0x3fffffff, v49
	v_add_u32_e32 v45, v6, v45
	v_cmp_eq_u32_e64 s[40:41], s70, v2
	s_and_b64 s[64:65], exec, s[40:41]
	s_or_b64 s[62:63], s[64:65], s[62:63]
	s_andn2_b64 exec, exec, s[62:63]
	s_cbranch_execz .LBB371_88
.LBB371_82:                             ; =>This Loop Header: Depth=1
                                        ;     Child Loop BB371_85 Depth 2
	s_or_b64 s[40:41], s[40:41], exec
	s_cmp_eq_u32 s71, 0
	s_cbranch_scc1 .LBB371_87
; %bb.83:                               ;   in Loop: Header=BB371_82 Depth=1
	s_add_i32 s71, s71, -1
	v_lshl_or_b32 v2, s71, 8, v18
	v_lshlrev_b64 v[6:7], 2, v[2:3]
	v_add_co_u32_e64 v6, s[40:41], s42, v6
	v_addc_co_u32_e64 v7, s[40:41], v40, v7, s[40:41]
	global_load_dword v49, v[6:7], off glc
	s_waitcnt vmcnt(0)
	v_and_b32_e32 v2, -2.0, v49
	v_cmp_eq_u32_e64 s[40:41], 0, v2
	s_and_saveexec_b64 s[64:65], s[40:41]
	s_cbranch_execz .LBB371_81
; %bb.84:                               ;   in Loop: Header=BB371_82 Depth=1
	s_mov_b64 s[66:67], 0
.LBB371_85:                             ;   Parent Loop BB371_82 Depth=1
                                        ; =>  This Inner Loop Header: Depth=2
	global_load_dword v49, v[6:7], off glc
	s_waitcnt vmcnt(0)
	v_and_b32_e32 v2, -2.0, v49
	v_cmp_ne_u32_e64 s[40:41], 0, v2
	s_or_b64 s[66:67], s[40:41], s[66:67]
	s_andn2_b64 exec, exec, s[66:67]
	s_cbranch_execnz .LBB371_85
; %bb.86:                               ;   in Loop: Header=BB371_82 Depth=1
	s_or_b64 exec, exec, s[66:67]
	s_branch .LBB371_81
.LBB371_87:                             ;   in Loop: Header=BB371_82 Depth=1
                                        ; implicit-def: $sgpr71
	s_and_b64 s[64:65], exec, s[40:41]
	s_or_b64 s[62:63], s[64:65], s[62:63]
	s_andn2_b64 exec, exec, s[62:63]
	s_cbranch_execnz .LBB371_82
.LBB371_88:
	s_or_b64 exec, exec, s[62:63]
	v_add_u32_e32 v2, v45, v35
	v_or_b32_e32 v2, 0x80000000, v2
	global_store_dword v[4:5], v2, off
	v_lshlrev_b32_e32 v2, 2, v18
	global_load_dword v3, v2, s[52:53]
	v_sub_u32_e32 v4, v45, v32
	s_waitcnt vmcnt(0)
	v_add_u32_e32 v3, v4, v3
	ds_write_b32 v2, v3
.LBB371_89:
	s_or_b64 exec, exec, s[60:61]
	v_lshlrev_b32_e32 v45, 2, v18
	v_add_u32_e32 v40, v81, v8
	s_movk_i32 s62, 0x400
	v_add_u32_e32 v49, 0x400, v45
	v_add3_u32 v52, v74, v52, v15
	v_add3_u32 v55, v72, v55, v21
	;; [unrolled: 1-line block ×15, first 2 shown]
	s_mov_b32 s63, 0
	v_mov_b32_e32 v21, 0
	s_movk_i32 s64, 0x200
	s_movk_i32 s65, 0x600
	v_mov_b32_e32 v50, v18
	s_mov_b32 s66, 0
                                        ; implicit-def: $vgpr2_vgpr3_vgpr4_vgpr5_vgpr6_vgpr7_vgpr8_vgpr9_vgpr10_vgpr11_vgpr12_vgpr13_vgpr14_vgpr15_vgpr16_vgpr17
	s_branch .LBB371_91
.LBB371_90:                             ;   in Loop: Header=BB371_91 Depth=1
	s_or_b64 exec, exec, s[60:61]
	s_addk_i32 s66, 0xf800
	s_add_i32 s63, s63, 4
	s_cmpk_eq_i32 s66, 0xe000
	v_add_u32_e32 v50, 0x800, v50
	s_barrier
	s_cbranch_scc1 .LBB371_100
.LBB371_91:                             ; =>This Inner Loop Header: Depth=1
	v_add_u32_e32 v20, s66, v40
	v_min_u32_e32 v20, 0x800, v20
	v_lshlrev_b32_e32 v20, 2, v20
	ds_write_b32 v20, v24 offset:1024
	v_add_u32_e32 v20, s66, v46
	v_min_u32_e32 v20, 0x800, v20
	v_lshlrev_b32_e32 v20, 2, v20
	ds_write_b32 v20, v25 offset:1024
	;; [unrolled: 4-line block ×15, first 2 shown]
	v_add_u32_e32 v20, s66, v52
	v_min_u32_e32 v20, 0x800, v20
	v_lshlrev_b32_e32 v20, 2, v20
	v_cmp_gt_u32_e64 s[40:41], s7, v50
	ds_write_b32 v20, v66 offset:1024
	s_waitcnt lgkmcnt(0)
	s_barrier
	s_and_saveexec_b64 s[60:61], s[40:41]
	s_cbranch_execz .LBB371_93
; %bb.92:                               ;   in Loop: Header=BB371_91 Depth=1
	ds_read_b32 v20, v45 offset:1024
	v_mov_b32_e32 v59, s47
	s_waitcnt lgkmcnt(0)
	v_lshrrev_b32_e32 v53, s56, v20
	v_and_b32_e32 v53, s69, v53
	v_lshlrev_b32_e32 v56, 2, v53
	ds_read_b32 v56, v56
	v_xor_b32_e32 v63, 0x80000000, v20
	s_waitcnt lgkmcnt(0)
	v_add_u32_e32 v20, v50, v56
	v_lshlrev_b64 v[64:65], 2, v[20:21]
	v_add_co_u32_e64 v64, s[40:41], s46, v64
	v_addc_co_u32_e64 v65, s[40:41], v59, v65, s[40:41]
	global_store_dword v[64:65], v63, off
	s_set_gpr_idx_on s63, gpr_idx(DST)
	v_mov_b32_e32 v2, v53
	s_set_gpr_idx_off
.LBB371_93:                             ;   in Loop: Header=BB371_91 Depth=1
	s_or_b64 exec, exec, s[60:61]
	v_add_u32_e32 v20, 0x200, v50
	v_cmp_gt_u32_e64 s[40:41], s7, v20
	s_and_saveexec_b64 s[60:61], s[40:41]
	s_cbranch_execz .LBB371_95
; %bb.94:                               ;   in Loop: Header=BB371_91 Depth=1
	ds_read_b32 v20, v49 offset:2048
	v_mov_b32_e32 v59, s47
	s_add_i32 s67, s63, 1
	s_waitcnt lgkmcnt(0)
	v_lshrrev_b32_e32 v53, s56, v20
	v_and_b32_e32 v53, s69, v53
	v_lshlrev_b32_e32 v56, 2, v53
	ds_read_b32 v56, v56
	v_xor_b32_e32 v63, 0x80000000, v20
	s_waitcnt lgkmcnt(0)
	v_add3_u32 v20, v50, v56, s64
	v_lshlrev_b64 v[64:65], 2, v[20:21]
	v_add_co_u32_e64 v64, s[40:41], s46, v64
	v_addc_co_u32_e64 v65, s[40:41], v59, v65, s[40:41]
	global_store_dword v[64:65], v63, off
	s_set_gpr_idx_on s67, gpr_idx(DST)
	v_mov_b32_e32 v2, v53
	s_set_gpr_idx_off
.LBB371_95:                             ;   in Loop: Header=BB371_91 Depth=1
	s_or_b64 exec, exec, s[60:61]
	v_add_u32_e32 v20, 0x400, v50
	v_cmp_gt_u32_e64 s[40:41], s7, v20
	s_and_saveexec_b64 s[60:61], s[40:41]
	s_cbranch_execz .LBB371_97
; %bb.96:                               ;   in Loop: Header=BB371_91 Depth=1
	ds_read_b32 v20, v49 offset:4096
	v_mov_b32_e32 v59, s47
	s_add_i32 s67, s63, 2
	s_waitcnt lgkmcnt(0)
	v_lshrrev_b32_e32 v53, s56, v20
	v_and_b32_e32 v53, s69, v53
	v_lshlrev_b32_e32 v56, 2, v53
	ds_read_b32 v56, v56
	v_xor_b32_e32 v63, 0x80000000, v20
	s_waitcnt lgkmcnt(0)
	v_add3_u32 v20, v50, v56, s62
	v_lshlrev_b64 v[64:65], 2, v[20:21]
	v_add_co_u32_e64 v64, s[40:41], s46, v64
	v_addc_co_u32_e64 v65, s[40:41], v59, v65, s[40:41]
	global_store_dword v[64:65], v63, off
	s_set_gpr_idx_on s67, gpr_idx(DST)
	v_mov_b32_e32 v2, v53
	s_set_gpr_idx_off
.LBB371_97:                             ;   in Loop: Header=BB371_91 Depth=1
	s_or_b64 exec, exec, s[60:61]
	v_add_u32_e32 v20, 0x600, v50
	v_cmp_gt_u32_e64 s[40:41], s7, v20
	s_and_saveexec_b64 s[60:61], s[40:41]
	s_cbranch_execz .LBB371_90
; %bb.98:                               ;   in Loop: Header=BB371_91 Depth=1
	ds_read_b32 v20, v49 offset:6144
	v_mov_b32_e32 v59, s47
	s_add_i32 s67, s63, 3
	s_waitcnt lgkmcnt(0)
	v_lshrrev_b32_e32 v53, s56, v20
	v_and_b32_e32 v53, s69, v53
	v_lshlrev_b32_e32 v56, 2, v53
	ds_read_b32 v56, v56
	v_xor_b32_e32 v63, 0x80000000, v20
	s_waitcnt lgkmcnt(0)
	v_add3_u32 v20, v50, v56, s65
	v_lshlrev_b64 v[64:65], 2, v[20:21]
	v_add_co_u32_e64 v64, s[40:41], s46, v64
	v_addc_co_u32_e64 v65, s[40:41], v59, v65, s[40:41]
	global_store_dword v[64:65], v63, off
	s_set_gpr_idx_on s67, gpr_idx(DST)
	v_mov_b32_e32 v2, v53
	s_set_gpr_idx_off
	s_branch .LBB371_90
.LBB371_99:
	s_mov_b64 s[8:9], 0
                                        ; implicit-def: $vgpr2
	s_cbranch_execnz .LBB371_130
	s_branch .LBB371_189
.LBB371_100:
	s_add_u32 s40, s48, s58
	s_addc_u32 s41, s49, s59
	v_mov_b32_e32 v20, s41
	v_add_co_u32_e64 v21, s[40:41], s40, v22
	v_addc_co_u32_e64 v22, s[40:41], 0, v20, s[40:41]
	v_add_co_u32_e64 v20, s[40:41], v21, v23
	v_addc_co_u32_e64 v21, s[40:41], 0, v22, s[40:41]
                                        ; implicit-def: $vgpr22
	s_and_saveexec_b64 s[40:41], vcc
	s_cbranch_execnz .LBB371_192
; %bb.101:
	s_or_b64 exec, exec, s[40:41]
                                        ; implicit-def: $vgpr23
	s_and_saveexec_b64 s[40:41], s[2:3]
	s_cbranch_execnz .LBB371_193
.LBB371_102:
	s_or_b64 exec, exec, s[40:41]
                                        ; implicit-def: $vgpr24
	s_and_saveexec_b64 s[2:3], s[38:39]
	s_cbranch_execnz .LBB371_194
.LBB371_103:
	s_or_b64 exec, exec, s[2:3]
                                        ; implicit-def: $vgpr25
	s_and_saveexec_b64 s[2:3], s[8:9]
	s_cbranch_execnz .LBB371_195
.LBB371_104:
	s_or_b64 exec, exec, s[2:3]
                                        ; implicit-def: $vgpr26
	s_and_saveexec_b64 s[2:3], s[10:11]
	s_cbranch_execnz .LBB371_196
.LBB371_105:
	s_or_b64 exec, exec, s[2:3]
                                        ; implicit-def: $vgpr27
	s_and_saveexec_b64 s[2:3], s[12:13]
	s_cbranch_execnz .LBB371_197
.LBB371_106:
	s_or_b64 exec, exec, s[2:3]
                                        ; implicit-def: $vgpr28
	s_and_saveexec_b64 s[2:3], s[14:15]
	s_cbranch_execnz .LBB371_198
.LBB371_107:
	s_or_b64 exec, exec, s[2:3]
                                        ; implicit-def: $vgpr29
	s_and_saveexec_b64 s[2:3], s[16:17]
	s_cbranch_execnz .LBB371_199
.LBB371_108:
	s_or_b64 exec, exec, s[2:3]
                                        ; implicit-def: $vgpr30
	s_and_saveexec_b64 s[2:3], s[18:19]
	s_cbranch_execnz .LBB371_200
.LBB371_109:
	s_or_b64 exec, exec, s[2:3]
                                        ; implicit-def: $vgpr33
	s_and_saveexec_b64 s[2:3], s[20:21]
	s_cbranch_execnz .LBB371_201
.LBB371_110:
	s_or_b64 exec, exec, s[2:3]
                                        ; implicit-def: $vgpr34
	s_and_saveexec_b64 s[2:3], s[22:23]
	s_cbranch_execnz .LBB371_202
.LBB371_111:
	s_or_b64 exec, exec, s[2:3]
                                        ; implicit-def: $vgpr38
	s_and_saveexec_b64 s[2:3], s[24:25]
	s_cbranch_execnz .LBB371_203
.LBB371_112:
	s_or_b64 exec, exec, s[2:3]
                                        ; implicit-def: $vgpr39
	s_and_saveexec_b64 s[2:3], s[26:27]
	s_cbranch_execnz .LBB371_204
.LBB371_113:
	s_or_b64 exec, exec, s[2:3]
                                        ; implicit-def: $vgpr43
	s_and_saveexec_b64 s[2:3], s[28:29]
	s_cbranch_execnz .LBB371_205
.LBB371_114:
	s_or_b64 exec, exec, s[2:3]
                                        ; implicit-def: $vgpr44
	s_and_saveexec_b64 s[2:3], s[30:31]
	s_cbranch_execnz .LBB371_206
.LBB371_115:
	s_or_b64 exec, exec, s[2:3]
                                        ; implicit-def: $vgpr48
	s_and_saveexec_b64 s[2:3], s[34:35]
	s_cbranch_execz .LBB371_117
.LBB371_116:
	global_load_dword v48, v[20:21], off offset:3840
.LBB371_117:
	s_or_b64 exec, exec, s[2:3]
	s_mov_b32 s8, 0
	v_mov_b32_e32 v21, 0
	s_movk_i32 s9, 0x200
	s_movk_i32 s10, 0x400
	s_movk_i32 s11, 0x600
	s_mov_b32 s12, 0
	v_mov_b32_e32 v50, v18
	s_waitcnt vmcnt(0)
	s_branch .LBB371_119
.LBB371_118:                            ;   in Loop: Header=BB371_119 Depth=1
	s_or_b64 exec, exec, s[2:3]
	s_addk_i32 s12, 0xf800
	s_add_i32 s8, s8, 4
	s_cmpk_eq_i32 s12, 0xe000
	v_add_u32_e32 v50, 0x800, v50
	s_barrier
	s_cbranch_scc1 .LBB371_127
.LBB371_119:                            ; =>This Inner Loop Header: Depth=1
	v_add_u32_e32 v20, s12, v40
	v_min_u32_e32 v20, 0x800, v20
	v_lshlrev_b32_e32 v20, 2, v20
	ds_write_b32 v20, v22 offset:1024
	v_add_u32_e32 v20, s12, v46
	v_min_u32_e32 v20, 0x800, v20
	v_lshlrev_b32_e32 v20, 2, v20
	ds_write_b32 v20, v23 offset:1024
	;; [unrolled: 4-line block ×15, first 2 shown]
	v_add_u32_e32 v20, s12, v52
	v_min_u32_e32 v20, 0x800, v20
	v_lshlrev_b32_e32 v20, 2, v20
	v_cmp_gt_u32_e32 vcc, s7, v50
	ds_write_b32 v20, v48 offset:1024
	s_waitcnt lgkmcnt(0)
	s_barrier
	s_and_saveexec_b64 s[2:3], vcc
	s_cbranch_execz .LBB371_121
; %bb.120:                              ;   in Loop: Header=BB371_119 Depth=1
	ds_read_b32 v53, v45 offset:1024
	s_set_gpr_idx_on s8, gpr_idx(SRC0)
	v_mov_b32_e32 v20, v2
	s_set_gpr_idx_off
	v_lshlrev_b32_e32 v20, 2, v20
	ds_read_b32 v20, v20
	v_mov_b32_e32 v56, s51
	s_waitcnt lgkmcnt(0)
	v_add_u32_e32 v20, v50, v20
	v_lshlrev_b64 v[62:63], 2, v[20:21]
	v_add_co_u32_e32 v62, vcc, s50, v62
	v_addc_co_u32_e32 v63, vcc, v56, v63, vcc
	global_store_dword v[62:63], v53, off
.LBB371_121:                            ;   in Loop: Header=BB371_119 Depth=1
	s_or_b64 exec, exec, s[2:3]
	v_add_u32_e32 v20, 0x200, v50
	v_cmp_gt_u32_e32 vcc, s7, v20
	s_and_saveexec_b64 s[2:3], vcc
	s_cbranch_execz .LBB371_123
; %bb.122:                              ;   in Loop: Header=BB371_119 Depth=1
	s_add_i32 s13, s8, 1
	ds_read_b32 v53, v49 offset:2048
	s_set_gpr_idx_on s13, gpr_idx(SRC0)
	v_mov_b32_e32 v20, v2
	s_set_gpr_idx_off
	v_lshlrev_b32_e32 v20, 2, v20
	ds_read_b32 v20, v20
	v_mov_b32_e32 v56, s51
	s_waitcnt lgkmcnt(0)
	v_add3_u32 v20, v50, v20, s9
	v_lshlrev_b64 v[62:63], 2, v[20:21]
	v_add_co_u32_e32 v62, vcc, s50, v62
	v_addc_co_u32_e32 v63, vcc, v56, v63, vcc
	global_store_dword v[62:63], v53, off
.LBB371_123:                            ;   in Loop: Header=BB371_119 Depth=1
	s_or_b64 exec, exec, s[2:3]
	v_add_u32_e32 v20, 0x400, v50
	v_cmp_gt_u32_e32 vcc, s7, v20
	s_and_saveexec_b64 s[2:3], vcc
	s_cbranch_execz .LBB371_125
; %bb.124:                              ;   in Loop: Header=BB371_119 Depth=1
	s_add_i32 s13, s8, 2
	ds_read_b32 v53, v49 offset:4096
	s_set_gpr_idx_on s13, gpr_idx(SRC0)
	v_mov_b32_e32 v20, v2
	s_set_gpr_idx_off
	v_lshlrev_b32_e32 v20, 2, v20
	ds_read_b32 v20, v20
	v_mov_b32_e32 v56, s51
	s_waitcnt lgkmcnt(0)
	v_add3_u32 v20, v50, v20, s10
	v_lshlrev_b64 v[62:63], 2, v[20:21]
	v_add_co_u32_e32 v62, vcc, s50, v62
	v_addc_co_u32_e32 v63, vcc, v56, v63, vcc
	global_store_dword v[62:63], v53, off
.LBB371_125:                            ;   in Loop: Header=BB371_119 Depth=1
	s_or_b64 exec, exec, s[2:3]
	v_add_u32_e32 v20, 0x600, v50
	v_cmp_gt_u32_e32 vcc, s7, v20
	s_and_saveexec_b64 s[2:3], vcc
	s_cbranch_execz .LBB371_118
; %bb.126:                              ;   in Loop: Header=BB371_119 Depth=1
	s_add_i32 s13, s8, 3
	ds_read_b32 v53, v49 offset:6144
	s_set_gpr_idx_on s13, gpr_idx(SRC0)
	v_mov_b32_e32 v20, v2
	s_set_gpr_idx_off
	v_lshlrev_b32_e32 v20, 2, v20
	ds_read_b32 v20, v20
	v_mov_b32_e32 v56, s51
	s_waitcnt lgkmcnt(0)
	v_add3_u32 v20, v50, v20, s11
	v_lshlrev_b64 v[62:63], 2, v[20:21]
	v_add_co_u32_e32 v62, vcc, s50, v62
	v_addc_co_u32_e32 v63, vcc, v56, v63, vcc
	global_store_dword v[62:63], v53, off
	s_branch .LBB371_118
.LBB371_127:
	s_add_i32 s68, s68, -1
	s_cmp_eq_u32 s68, s33
	s_cselect_b64 s[2:3], -1, 0
	s_and_b64 s[10:11], s[36:37], s[2:3]
	s_mov_b64 s[2:3], 0
	s_mov_b64 s[8:9], 0
                                        ; implicit-def: $vgpr2
	s_and_saveexec_b64 s[12:13], s[10:11]
	s_xor_b64 s[10:11], exec, s[12:13]
; %bb.128:
	s_mov_b64 s[8:9], exec
	v_add_u32_e32 v2, v32, v35
; %bb.129:
	s_or_b64 exec, exec, s[10:11]
	s_and_b64 vcc, exec, s[2:3]
	s_cbranch_vccz .LBB371_189
.LBB371_130:
	s_lshl_b32 s2, s33, 13
	s_mov_b32 s3, 0
	v_mbcnt_hi_u32_b32 v4, -1, v19
	s_lshl_b64 s[10:11], s[2:3], 2
	v_and_b32_e32 v3, 63, v4
	s_add_u32 s2, s44, s10
	v_lshlrev_b32_e32 v19, 2, v3
	v_add_co_u32_e32 v5, vcc, s2, v19
	s_load_dword s14, s[4:5], 0x58
	s_load_dword s2, s[4:5], 0x64
	s_addc_u32 s3, s45, s11
	v_and_b32_e32 v1, 0x3c00, v1
	v_mov_b32_e32 v3, s3
	v_addc_co_u32_e32 v3, vcc, 0, v3, vcc
	v_lshlrev_b32_e32 v20, 2, v1
	s_add_u32 s3, s4, 0x58
	v_add_co_u32_e32 v8, vcc, v5, v20
	s_addc_u32 s4, s5, 0
	s_waitcnt lgkmcnt(0)
	s_lshr_b32 s5, s2, 16
	v_addc_co_u32_e32 v9, vcc, 0, v3, vcc
	s_cmp_lt_u32 s6, s14
	global_load_dword v1, v[8:9], off
	s_cselect_b32 s2, 12, 18
	s_add_u32 s2, s3, s2
	v_mov_b32_e32 v2, 0
	s_addc_u32 s3, s4, 0
	global_load_ushort v3, v2, s[2:3]
	v_mul_u32_u24_e32 v5, 5, v18
	v_lshlrev_b32_e32 v5, 2, v5
	ds_write2_b32 v5, v2, v2 offset0:8 offset1:9
	ds_write2_b32 v5, v2, v2 offset0:10 offset1:11
	ds_write_b32 v5, v2 offset:48
	global_load_dword v7, v[8:9], off offset:256
	global_load_dword v10, v[8:9], off offset:512
	;; [unrolled: 1-line block ×15, first 2 shown]
	s_lshl_b32 s2, -1, s57
	v_bfe_u32 v6, v0, 10, 10
	v_bfe_u32 v0, v0, 20, 10
	s_not_b32 s15, s2
	v_mad_u32_u24 v0, v0, s5, v6
	s_waitcnt lgkmcnt(0)
	s_barrier
	s_waitcnt lgkmcnt(0)
	; wave barrier
	s_waitcnt vmcnt(16)
	v_xor_b32_e32 v21, 0x80000000, v1
	v_lshrrev_b32_e32 v1, s56, v21
	v_and_b32_e32 v6, s15, v1
	v_and_b32_e32 v8, 1, v6
	s_waitcnt vmcnt(15)
	v_mad_u64_u32 v[0:1], s[2:3], v0, v3, v[18:19]
	v_lshrrev_b32_e32 v15, 6, v0
	v_add_co_u32_e32 v0, vcc, -1, v8
	v_lshlrev_b32_e32 v3, 30, v6
	v_addc_co_u32_e64 v11, s[2:3], 0, -1, vcc
	v_lshl_add_u32 v1, v6, 3, v6
	v_cmp_ne_u32_e32 vcc, 0, v8
	v_cmp_gt_i64_e64 s[2:3], 0, v[2:3]
	v_not_b32_e32 v8, v3
	v_lshlrev_b32_e32 v3, 29, v6
	v_add_lshl_u32 v9, v15, v1, 2
	v_xor_b32_e32 v1, vcc_hi, v11
	v_xor_b32_e32 v0, vcc_lo, v0
	v_ashrrev_i32_e32 v8, 31, v8
	v_cmp_gt_i64_e32 vcc, 0, v[2:3]
	v_not_b32_e32 v11, v3
	v_lshlrev_b32_e32 v3, 28, v6
	v_and_b32_e32 v1, exec_hi, v1
	v_and_b32_e32 v0, exec_lo, v0
	v_xor_b32_e32 v12, s3, v8
	v_xor_b32_e32 v8, s2, v8
	v_ashrrev_i32_e32 v11, 31, v11
	v_cmp_gt_i64_e64 s[2:3], 0, v[2:3]
	v_not_b32_e32 v3, v3
	v_and_b32_e32 v1, v1, v12
	v_and_b32_e32 v0, v0, v8
	v_xor_b32_e32 v8, vcc_hi, v11
	v_xor_b32_e32 v11, vcc_lo, v11
	v_ashrrev_i32_e32 v3, 31, v3
	v_and_b32_e32 v1, v1, v8
	v_and_b32_e32 v0, v0, v11
	v_xor_b32_e32 v8, s3, v3
	v_xor_b32_e32 v3, s2, v3
	v_and_b32_e32 v0, v0, v3
	v_lshlrev_b32_e32 v3, 27, v6
	v_cmp_gt_i64_e32 vcc, 0, v[2:3]
	v_not_b32_e32 v3, v3
	v_ashrrev_i32_e32 v3, 31, v3
	v_and_b32_e32 v1, v1, v8
	v_xor_b32_e32 v8, vcc_hi, v3
	v_xor_b32_e32 v3, vcc_lo, v3
	v_and_b32_e32 v0, v0, v3
	v_lshlrev_b32_e32 v3, 26, v6
	v_cmp_gt_i64_e32 vcc, 0, v[2:3]
	v_not_b32_e32 v3, v3
	v_ashrrev_i32_e32 v3, 31, v3
	v_and_b32_e32 v1, v1, v8
	v_xor_b32_e32 v8, vcc_hi, v3
	v_xor_b32_e32 v3, vcc_lo, v3
	;; [unrolled: 8-line block ×3, first 2 shown]
	v_and_b32_e32 v0, v0, v3
	v_lshlrev_b32_e32 v3, 24, v6
	v_cmp_gt_i64_e32 vcc, 0, v[2:3]
	v_not_b32_e32 v3, v3
	v_ashrrev_i32_e32 v3, 31, v3
	v_xor_b32_e32 v6, vcc_hi, v3
	v_xor_b32_e32 v3, vcc_lo, v3
	v_and_b32_e32 v1, v1, v8
	v_and_b32_e32 v0, v0, v3
	;; [unrolled: 1-line block ×3, first 2 shown]
	v_mbcnt_lo_u32_b32 v3, v0, 0
	v_mbcnt_hi_u32_b32 v6, v1, v3
	v_cmp_eq_u32_e32 vcc, 0, v6
	v_cmp_ne_u64_e64 s[2:3], 0, v[0:1]
	s_and_b64 s[4:5], s[2:3], vcc
	s_and_saveexec_b64 s[2:3], s[4:5]
	s_cbranch_execz .LBB371_132
; %bb.131:
	v_bcnt_u32_b32 v0, v0, 0
	v_bcnt_u32_b32 v0, v1, v0
	ds_write_b32 v9, v0 offset:32
.LBB371_132:
	s_or_b64 exec, exec, s[2:3]
	s_waitcnt vmcnt(14)
	v_xor_b32_e32 v22, 0x80000000, v7
	v_lshrrev_b32_e32 v0, s56, v22
	v_and_b32_e32 v0, s15, v0
	v_lshl_add_u32 v1, v0, 3, v0
	v_add_lshl_u32 v11, v15, v1, 2
	v_and_b32_e32 v1, 1, v0
	v_add_co_u32_e32 v3, vcc, -1, v1
	v_addc_co_u32_e64 v8, s[2:3], 0, -1, vcc
	v_cmp_ne_u32_e32 vcc, 0, v1
	v_xor_b32_e32 v3, vcc_lo, v3
	v_xor_b32_e32 v1, vcc_hi, v8
	v_and_b32_e32 v8, exec_lo, v3
	v_lshlrev_b32_e32 v3, 30, v0
	v_cmp_gt_i64_e32 vcc, 0, v[2:3]
	v_not_b32_e32 v3, v3
	v_ashrrev_i32_e32 v3, 31, v3
	v_xor_b32_e32 v12, vcc_hi, v3
	v_xor_b32_e32 v3, vcc_lo, v3
	v_and_b32_e32 v8, v8, v3
	v_lshlrev_b32_e32 v3, 29, v0
	v_cmp_gt_i64_e32 vcc, 0, v[2:3]
	v_not_b32_e32 v3, v3
	v_and_b32_e32 v1, exec_hi, v1
	v_ashrrev_i32_e32 v3, 31, v3
	v_and_b32_e32 v1, v1, v12
	v_xor_b32_e32 v12, vcc_hi, v3
	v_xor_b32_e32 v3, vcc_lo, v3
	v_and_b32_e32 v8, v8, v3
	v_lshlrev_b32_e32 v3, 28, v0
	v_cmp_gt_i64_e32 vcc, 0, v[2:3]
	v_not_b32_e32 v3, v3
	v_ashrrev_i32_e32 v3, 31, v3
	v_and_b32_e32 v1, v1, v12
	v_xor_b32_e32 v12, vcc_hi, v3
	v_xor_b32_e32 v3, vcc_lo, v3
	v_and_b32_e32 v8, v8, v3
	v_lshlrev_b32_e32 v3, 27, v0
	v_cmp_gt_i64_e32 vcc, 0, v[2:3]
	v_not_b32_e32 v3, v3
	;; [unrolled: 8-line block ×4, first 2 shown]
	v_ashrrev_i32_e32 v3, 31, v3
	v_and_b32_e32 v1, v1, v12
	v_xor_b32_e32 v12, vcc_hi, v3
	v_xor_b32_e32 v3, vcc_lo, v3
	v_and_b32_e32 v8, v8, v3
	v_lshlrev_b32_e32 v3, 24, v0
	v_not_b32_e32 v0, v3
	v_cmp_gt_i64_e32 vcc, 0, v[2:3]
	v_ashrrev_i32_e32 v0, 31, v0
	v_xor_b32_e32 v2, vcc_hi, v0
	v_xor_b32_e32 v0, vcc_lo, v0
	; wave barrier
	ds_read_b32 v7, v11 offset:32
	v_and_b32_e32 v1, v1, v12
	v_and_b32_e32 v0, v8, v0
	v_and_b32_e32 v1, v1, v2
	v_mbcnt_lo_u32_b32 v2, v0, 0
	v_mbcnt_hi_u32_b32 v8, v1, v2
	v_cmp_eq_u32_e32 vcc, 0, v8
	v_cmp_ne_u64_e64 s[2:3], 0, v[0:1]
	s_and_b64 s[4:5], s[2:3], vcc
	; wave barrier
	s_and_saveexec_b64 s[2:3], s[4:5]
	s_cbranch_execz .LBB371_134
; %bb.133:
	v_bcnt_u32_b32 v0, v0, 0
	v_bcnt_u32_b32 v0, v1, v0
	s_waitcnt lgkmcnt(0)
	v_add_u32_e32 v0, v7, v0
	ds_write_b32 v11, v0 offset:32
.LBB371_134:
	s_or_b64 exec, exec, s[2:3]
	s_waitcnt vmcnt(13)
	v_xor_b32_e32 v23, 0x80000000, v10
	v_lshrrev_b32_e32 v0, s56, v23
	v_and_b32_e32 v2, s15, v0
	v_and_b32_e32 v1, 1, v2
	v_add_co_u32_e32 v3, vcc, -1, v1
	v_addc_co_u32_e64 v12, s[2:3], 0, -1, vcc
	v_cmp_ne_u32_e32 vcc, 0, v1
	v_lshl_add_u32 v0, v2, 3, v2
	v_xor_b32_e32 v1, vcc_hi, v12
	v_add_lshl_u32 v16, v15, v0, 2
	v_mov_b32_e32 v0, 0
	v_and_b32_e32 v12, exec_hi, v1
	v_lshlrev_b32_e32 v1, 30, v2
	v_xor_b32_e32 v3, vcc_lo, v3
	v_cmp_gt_i64_e32 vcc, 0, v[0:1]
	v_not_b32_e32 v1, v1
	v_ashrrev_i32_e32 v1, 31, v1
	v_and_b32_e32 v3, exec_lo, v3
	v_xor_b32_e32 v17, vcc_hi, v1
	v_xor_b32_e32 v1, vcc_lo, v1
	v_and_b32_e32 v3, v3, v1
	v_lshlrev_b32_e32 v1, 29, v2
	v_cmp_gt_i64_e32 vcc, 0, v[0:1]
	v_not_b32_e32 v1, v1
	v_ashrrev_i32_e32 v1, 31, v1
	v_and_b32_e32 v12, v12, v17
	v_xor_b32_e32 v17, vcc_hi, v1
	v_xor_b32_e32 v1, vcc_lo, v1
	v_and_b32_e32 v3, v3, v1
	v_lshlrev_b32_e32 v1, 28, v2
	v_cmp_gt_i64_e32 vcc, 0, v[0:1]
	v_not_b32_e32 v1, v1
	v_ashrrev_i32_e32 v1, 31, v1
	v_and_b32_e32 v12, v12, v17
	;; [unrolled: 8-line block ×5, first 2 shown]
	v_xor_b32_e32 v17, vcc_hi, v1
	v_xor_b32_e32 v1, vcc_lo, v1
	v_and_b32_e32 v12, v12, v17
	v_and_b32_e32 v17, v3, v1
	v_lshlrev_b32_e32 v1, 24, v2
	v_cmp_gt_i64_e32 vcc, 0, v[0:1]
	v_not_b32_e32 v1, v1
	v_ashrrev_i32_e32 v1, 31, v1
	v_xor_b32_e32 v2, vcc_hi, v1
	v_xor_b32_e32 v1, vcc_lo, v1
	; wave barrier
	ds_read_b32 v10, v16 offset:32
	v_and_b32_e32 v3, v12, v2
	v_and_b32_e32 v2, v17, v1
	v_mbcnt_lo_u32_b32 v1, v2, 0
	v_mbcnt_hi_u32_b32 v12, v3, v1
	v_cmp_eq_u32_e32 vcc, 0, v12
	v_cmp_ne_u64_e64 s[2:3], 0, v[2:3]
	s_and_b64 s[4:5], s[2:3], vcc
	; wave barrier
	s_and_saveexec_b64 s[2:3], s[4:5]
	s_cbranch_execz .LBB371_136
; %bb.135:
	v_bcnt_u32_b32 v1, v2, 0
	v_bcnt_u32_b32 v1, v3, v1
	s_waitcnt lgkmcnt(0)
	v_add_u32_e32 v1, v10, v1
	ds_write_b32 v16, v1 offset:32
.LBB371_136:
	s_or_b64 exec, exec, s[2:3]
	s_waitcnt vmcnt(12)
	v_xor_b32_e32 v24, 0x80000000, v13
	v_lshrrev_b32_e32 v1, s56, v24
	v_and_b32_e32 v2, s15, v1
	v_lshl_add_u32 v1, v2, 3, v2
	v_add_lshl_u32 v31, v15, v1, 2
	v_and_b32_e32 v1, 1, v2
	v_add_co_u32_e32 v3, vcc, -1, v1
	v_addc_co_u32_e64 v17, s[2:3], 0, -1, vcc
	v_cmp_ne_u32_e32 vcc, 0, v1
	v_xor_b32_e32 v1, vcc_hi, v17
	v_and_b32_e32 v17, exec_hi, v1
	v_lshlrev_b32_e32 v1, 30, v2
	v_xor_b32_e32 v3, vcc_lo, v3
	v_cmp_gt_i64_e32 vcc, 0, v[0:1]
	v_not_b32_e32 v1, v1
	v_ashrrev_i32_e32 v1, 31, v1
	v_and_b32_e32 v3, exec_lo, v3
	v_xor_b32_e32 v29, vcc_hi, v1
	v_xor_b32_e32 v1, vcc_lo, v1
	v_and_b32_e32 v3, v3, v1
	v_lshlrev_b32_e32 v1, 29, v2
	v_cmp_gt_i64_e32 vcc, 0, v[0:1]
	v_not_b32_e32 v1, v1
	v_ashrrev_i32_e32 v1, 31, v1
	v_and_b32_e32 v17, v17, v29
	v_xor_b32_e32 v29, vcc_hi, v1
	v_xor_b32_e32 v1, vcc_lo, v1
	v_and_b32_e32 v3, v3, v1
	v_lshlrev_b32_e32 v1, 28, v2
	v_cmp_gt_i64_e32 vcc, 0, v[0:1]
	v_not_b32_e32 v1, v1
	v_ashrrev_i32_e32 v1, 31, v1
	v_and_b32_e32 v17, v17, v29
	;; [unrolled: 8-line block ×5, first 2 shown]
	v_xor_b32_e32 v29, vcc_hi, v1
	v_xor_b32_e32 v1, vcc_lo, v1
	v_and_b32_e32 v3, v3, v1
	v_lshlrev_b32_e32 v1, 24, v2
	v_cmp_gt_i64_e32 vcc, 0, v[0:1]
	v_not_b32_e32 v0, v1
	v_ashrrev_i32_e32 v0, 31, v0
	v_xor_b32_e32 v1, vcc_hi, v0
	v_xor_b32_e32 v0, vcc_lo, v0
	; wave barrier
	ds_read_b32 v13, v31 offset:32
	v_and_b32_e32 v17, v17, v29
	v_and_b32_e32 v0, v3, v0
	;; [unrolled: 1-line block ×3, first 2 shown]
	v_mbcnt_lo_u32_b32 v2, v0, 0
	v_mbcnt_hi_u32_b32 v17, v1, v2
	v_cmp_eq_u32_e32 vcc, 0, v17
	v_cmp_ne_u64_e64 s[2:3], 0, v[0:1]
	s_and_b64 s[4:5], s[2:3], vcc
	; wave barrier
	s_and_saveexec_b64 s[2:3], s[4:5]
	s_cbranch_execz .LBB371_138
; %bb.137:
	v_bcnt_u32_b32 v0, v0, 0
	v_bcnt_u32_b32 v0, v1, v0
	s_waitcnt lgkmcnt(0)
	v_add_u32_e32 v0, v13, v0
	ds_write_b32 v31, v0 offset:32
.LBB371_138:
	s_or_b64 exec, exec, s[2:3]
	s_waitcnt vmcnt(11)
	v_xor_b32_e32 v25, 0x80000000, v25
	v_lshrrev_b32_e32 v0, s56, v25
	v_and_b32_e32 v2, s15, v0
	v_and_b32_e32 v1, 1, v2
	v_add_co_u32_e32 v3, vcc, -1, v1
	v_addc_co_u32_e64 v33, s[2:3], 0, -1, vcc
	v_cmp_ne_u32_e32 vcc, 0, v1
	v_lshl_add_u32 v0, v2, 3, v2
	v_xor_b32_e32 v1, vcc_hi, v33
	v_add_lshl_u32 v36, v15, v0, 2
	v_mov_b32_e32 v0, 0
	v_and_b32_e32 v33, exec_hi, v1
	v_lshlrev_b32_e32 v1, 30, v2
	v_xor_b32_e32 v3, vcc_lo, v3
	v_cmp_gt_i64_e32 vcc, 0, v[0:1]
	v_not_b32_e32 v1, v1
	v_ashrrev_i32_e32 v1, 31, v1
	v_and_b32_e32 v3, exec_lo, v3
	v_xor_b32_e32 v34, vcc_hi, v1
	v_xor_b32_e32 v1, vcc_lo, v1
	v_and_b32_e32 v3, v3, v1
	v_lshlrev_b32_e32 v1, 29, v2
	v_cmp_gt_i64_e32 vcc, 0, v[0:1]
	v_not_b32_e32 v1, v1
	v_ashrrev_i32_e32 v1, 31, v1
	v_and_b32_e32 v33, v33, v34
	v_xor_b32_e32 v34, vcc_hi, v1
	v_xor_b32_e32 v1, vcc_lo, v1
	v_and_b32_e32 v3, v3, v1
	v_lshlrev_b32_e32 v1, 28, v2
	v_cmp_gt_i64_e32 vcc, 0, v[0:1]
	v_not_b32_e32 v1, v1
	v_ashrrev_i32_e32 v1, 31, v1
	v_and_b32_e32 v33, v33, v34
	;; [unrolled: 8-line block ×5, first 2 shown]
	v_xor_b32_e32 v34, vcc_hi, v1
	v_xor_b32_e32 v1, vcc_lo, v1
	v_and_b32_e32 v33, v33, v34
	v_and_b32_e32 v34, v3, v1
	v_lshlrev_b32_e32 v1, 24, v2
	v_cmp_gt_i64_e32 vcc, 0, v[0:1]
	v_not_b32_e32 v1, v1
	v_ashrrev_i32_e32 v1, 31, v1
	v_xor_b32_e32 v2, vcc_hi, v1
	v_xor_b32_e32 v1, vcc_lo, v1
	; wave barrier
	ds_read_b32 v29, v36 offset:32
	v_and_b32_e32 v3, v33, v2
	v_and_b32_e32 v2, v34, v1
	v_mbcnt_lo_u32_b32 v1, v2, 0
	v_mbcnt_hi_u32_b32 v33, v3, v1
	v_cmp_eq_u32_e32 vcc, 0, v33
	v_cmp_ne_u64_e64 s[2:3], 0, v[2:3]
	s_and_b64 s[4:5], s[2:3], vcc
	; wave barrier
	s_and_saveexec_b64 s[2:3], s[4:5]
	s_cbranch_execz .LBB371_140
; %bb.139:
	v_bcnt_u32_b32 v1, v2, 0
	v_bcnt_u32_b32 v1, v3, v1
	s_waitcnt lgkmcnt(0)
	v_add_u32_e32 v1, v29, v1
	ds_write_b32 v36, v1 offset:32
.LBB371_140:
	s_or_b64 exec, exec, s[2:3]
	s_waitcnt vmcnt(10)
	v_xor_b32_e32 v26, 0x80000000, v26
	v_lshrrev_b32_e32 v1, s56, v26
	v_and_b32_e32 v2, s15, v1
	v_lshl_add_u32 v1, v2, 3, v2
	v_add_lshl_u32 v41, v15, v1, 2
	v_and_b32_e32 v1, 1, v2
	v_add_co_u32_e32 v3, vcc, -1, v1
	v_addc_co_u32_e64 v38, s[2:3], 0, -1, vcc
	v_cmp_ne_u32_e32 vcc, 0, v1
	v_xor_b32_e32 v1, vcc_hi, v38
	v_and_b32_e32 v38, exec_hi, v1
	v_lshlrev_b32_e32 v1, 30, v2
	v_xor_b32_e32 v3, vcc_lo, v3
	v_cmp_gt_i64_e32 vcc, 0, v[0:1]
	v_not_b32_e32 v1, v1
	v_ashrrev_i32_e32 v1, 31, v1
	v_and_b32_e32 v3, exec_lo, v3
	v_xor_b32_e32 v39, vcc_hi, v1
	v_xor_b32_e32 v1, vcc_lo, v1
	v_and_b32_e32 v3, v3, v1
	v_lshlrev_b32_e32 v1, 29, v2
	v_cmp_gt_i64_e32 vcc, 0, v[0:1]
	v_not_b32_e32 v1, v1
	v_ashrrev_i32_e32 v1, 31, v1
	v_and_b32_e32 v38, v38, v39
	v_xor_b32_e32 v39, vcc_hi, v1
	v_xor_b32_e32 v1, vcc_lo, v1
	v_and_b32_e32 v3, v3, v1
	v_lshlrev_b32_e32 v1, 28, v2
	v_cmp_gt_i64_e32 vcc, 0, v[0:1]
	v_not_b32_e32 v1, v1
	v_ashrrev_i32_e32 v1, 31, v1
	v_and_b32_e32 v38, v38, v39
	;; [unrolled: 8-line block ×5, first 2 shown]
	v_xor_b32_e32 v39, vcc_hi, v1
	v_xor_b32_e32 v1, vcc_lo, v1
	v_and_b32_e32 v3, v3, v1
	v_lshlrev_b32_e32 v1, 24, v2
	v_cmp_gt_i64_e32 vcc, 0, v[0:1]
	v_not_b32_e32 v0, v1
	v_ashrrev_i32_e32 v0, 31, v0
	v_xor_b32_e32 v1, vcc_hi, v0
	v_xor_b32_e32 v0, vcc_lo, v0
	; wave barrier
	ds_read_b32 v34, v41 offset:32
	v_and_b32_e32 v38, v38, v39
	v_and_b32_e32 v0, v3, v0
	;; [unrolled: 1-line block ×3, first 2 shown]
	v_mbcnt_lo_u32_b32 v2, v0, 0
	v_mbcnt_hi_u32_b32 v38, v1, v2
	v_cmp_eq_u32_e32 vcc, 0, v38
	v_cmp_ne_u64_e64 s[2:3], 0, v[0:1]
	s_and_b64 s[4:5], s[2:3], vcc
	; wave barrier
	s_and_saveexec_b64 s[2:3], s[4:5]
	s_cbranch_execz .LBB371_142
; %bb.141:
	v_bcnt_u32_b32 v0, v0, 0
	v_bcnt_u32_b32 v0, v1, v0
	s_waitcnt lgkmcnt(0)
	v_add_u32_e32 v0, v34, v0
	ds_write_b32 v41, v0 offset:32
.LBB371_142:
	s_or_b64 exec, exec, s[2:3]
	s_waitcnt vmcnt(9)
	v_xor_b32_e32 v27, 0x80000000, v27
	v_lshrrev_b32_e32 v0, s56, v27
	v_and_b32_e32 v2, s15, v0
	v_and_b32_e32 v1, 1, v2
	v_add_co_u32_e32 v3, vcc, -1, v1
	v_addc_co_u32_e64 v43, s[2:3], 0, -1, vcc
	v_cmp_ne_u32_e32 vcc, 0, v1
	v_lshl_add_u32 v0, v2, 3, v2
	v_xor_b32_e32 v1, vcc_hi, v43
	v_add_lshl_u32 v46, v15, v0, 2
	v_mov_b32_e32 v0, 0
	v_and_b32_e32 v43, exec_hi, v1
	v_lshlrev_b32_e32 v1, 30, v2
	v_xor_b32_e32 v3, vcc_lo, v3
	v_cmp_gt_i64_e32 vcc, 0, v[0:1]
	v_not_b32_e32 v1, v1
	v_ashrrev_i32_e32 v1, 31, v1
	v_and_b32_e32 v3, exec_lo, v3
	v_xor_b32_e32 v44, vcc_hi, v1
	v_xor_b32_e32 v1, vcc_lo, v1
	v_and_b32_e32 v3, v3, v1
	v_lshlrev_b32_e32 v1, 29, v2
	v_cmp_gt_i64_e32 vcc, 0, v[0:1]
	v_not_b32_e32 v1, v1
	v_ashrrev_i32_e32 v1, 31, v1
	v_and_b32_e32 v43, v43, v44
	v_xor_b32_e32 v44, vcc_hi, v1
	v_xor_b32_e32 v1, vcc_lo, v1
	v_and_b32_e32 v3, v3, v1
	v_lshlrev_b32_e32 v1, 28, v2
	v_cmp_gt_i64_e32 vcc, 0, v[0:1]
	v_not_b32_e32 v1, v1
	v_ashrrev_i32_e32 v1, 31, v1
	v_and_b32_e32 v43, v43, v44
	;; [unrolled: 8-line block ×5, first 2 shown]
	v_xor_b32_e32 v44, vcc_hi, v1
	v_xor_b32_e32 v1, vcc_lo, v1
	v_and_b32_e32 v43, v43, v44
	v_and_b32_e32 v44, v3, v1
	v_lshlrev_b32_e32 v1, 24, v2
	v_cmp_gt_i64_e32 vcc, 0, v[0:1]
	v_not_b32_e32 v1, v1
	v_ashrrev_i32_e32 v1, 31, v1
	v_xor_b32_e32 v2, vcc_hi, v1
	v_xor_b32_e32 v1, vcc_lo, v1
	; wave barrier
	ds_read_b32 v39, v46 offset:32
	v_and_b32_e32 v3, v43, v2
	v_and_b32_e32 v2, v44, v1
	v_mbcnt_lo_u32_b32 v1, v2, 0
	v_mbcnt_hi_u32_b32 v43, v3, v1
	v_cmp_eq_u32_e32 vcc, 0, v43
	v_cmp_ne_u64_e64 s[2:3], 0, v[2:3]
	s_and_b64 s[4:5], s[2:3], vcc
	; wave barrier
	s_and_saveexec_b64 s[2:3], s[4:5]
	s_cbranch_execz .LBB371_144
; %bb.143:
	v_bcnt_u32_b32 v1, v2, 0
	v_bcnt_u32_b32 v1, v3, v1
	s_waitcnt lgkmcnt(0)
	v_add_u32_e32 v1, v39, v1
	ds_write_b32 v46, v1 offset:32
.LBB371_144:
	s_or_b64 exec, exec, s[2:3]
	s_waitcnt vmcnt(8)
	v_xor_b32_e32 v28, 0x80000000, v28
	v_lshrrev_b32_e32 v1, s56, v28
	v_and_b32_e32 v2, s15, v1
	v_lshl_add_u32 v1, v2, 3, v2
	v_add_lshl_u32 v49, v15, v1, 2
	v_and_b32_e32 v1, 1, v2
	v_add_co_u32_e32 v3, vcc, -1, v1
	v_addc_co_u32_e64 v47, s[2:3], 0, -1, vcc
	v_cmp_ne_u32_e32 vcc, 0, v1
	v_xor_b32_e32 v1, vcc_hi, v47
	v_and_b32_e32 v47, exec_hi, v1
	v_lshlrev_b32_e32 v1, 30, v2
	v_xor_b32_e32 v3, vcc_lo, v3
	v_cmp_gt_i64_e32 vcc, 0, v[0:1]
	v_not_b32_e32 v1, v1
	v_ashrrev_i32_e32 v1, 31, v1
	v_and_b32_e32 v3, exec_lo, v3
	v_xor_b32_e32 v48, vcc_hi, v1
	v_xor_b32_e32 v1, vcc_lo, v1
	v_and_b32_e32 v3, v3, v1
	v_lshlrev_b32_e32 v1, 29, v2
	v_cmp_gt_i64_e32 vcc, 0, v[0:1]
	v_not_b32_e32 v1, v1
	v_ashrrev_i32_e32 v1, 31, v1
	v_and_b32_e32 v47, v47, v48
	v_xor_b32_e32 v48, vcc_hi, v1
	v_xor_b32_e32 v1, vcc_lo, v1
	v_and_b32_e32 v3, v3, v1
	v_lshlrev_b32_e32 v1, 28, v2
	v_cmp_gt_i64_e32 vcc, 0, v[0:1]
	v_not_b32_e32 v1, v1
	v_ashrrev_i32_e32 v1, 31, v1
	v_and_b32_e32 v47, v47, v48
	;; [unrolled: 8-line block ×5, first 2 shown]
	v_xor_b32_e32 v48, vcc_hi, v1
	v_xor_b32_e32 v1, vcc_lo, v1
	v_and_b32_e32 v3, v3, v1
	v_lshlrev_b32_e32 v1, 24, v2
	v_cmp_gt_i64_e32 vcc, 0, v[0:1]
	v_not_b32_e32 v0, v1
	v_ashrrev_i32_e32 v0, 31, v0
	v_xor_b32_e32 v1, vcc_hi, v0
	v_xor_b32_e32 v0, vcc_lo, v0
	; wave barrier
	ds_read_b32 v44, v49 offset:32
	v_and_b32_e32 v47, v47, v48
	v_and_b32_e32 v0, v3, v0
	;; [unrolled: 1-line block ×3, first 2 shown]
	v_mbcnt_lo_u32_b32 v2, v0, 0
	v_mbcnt_hi_u32_b32 v47, v1, v2
	v_cmp_eq_u32_e32 vcc, 0, v47
	v_cmp_ne_u64_e64 s[2:3], 0, v[0:1]
	s_and_b64 s[4:5], s[2:3], vcc
	; wave barrier
	s_and_saveexec_b64 s[2:3], s[4:5]
	s_cbranch_execz .LBB371_146
; %bb.145:
	v_bcnt_u32_b32 v0, v0, 0
	v_bcnt_u32_b32 v0, v1, v0
	s_waitcnt lgkmcnt(0)
	v_add_u32_e32 v0, v44, v0
	ds_write_b32 v49, v0 offset:32
.LBB371_146:
	s_or_b64 exec, exec, s[2:3]
	s_waitcnt vmcnt(7)
	v_xor_b32_e32 v32, 0x80000000, v32
	v_lshrrev_b32_e32 v0, s56, v32
	v_and_b32_e32 v2, s15, v0
	v_and_b32_e32 v1, 1, v2
	v_add_co_u32_e32 v3, vcc, -1, v1
	v_addc_co_u32_e64 v50, s[2:3], 0, -1, vcc
	v_cmp_ne_u32_e32 vcc, 0, v1
	v_lshl_add_u32 v0, v2, 3, v2
	v_xor_b32_e32 v1, vcc_hi, v50
	v_add_lshl_u32 v52, v15, v0, 2
	v_mov_b32_e32 v0, 0
	v_and_b32_e32 v50, exec_hi, v1
	v_lshlrev_b32_e32 v1, 30, v2
	v_xor_b32_e32 v3, vcc_lo, v3
	v_cmp_gt_i64_e32 vcc, 0, v[0:1]
	v_not_b32_e32 v1, v1
	v_ashrrev_i32_e32 v1, 31, v1
	v_and_b32_e32 v3, exec_lo, v3
	v_xor_b32_e32 v51, vcc_hi, v1
	v_xor_b32_e32 v1, vcc_lo, v1
	v_and_b32_e32 v3, v3, v1
	v_lshlrev_b32_e32 v1, 29, v2
	v_cmp_gt_i64_e32 vcc, 0, v[0:1]
	v_not_b32_e32 v1, v1
	v_ashrrev_i32_e32 v1, 31, v1
	v_and_b32_e32 v50, v50, v51
	v_xor_b32_e32 v51, vcc_hi, v1
	v_xor_b32_e32 v1, vcc_lo, v1
	v_and_b32_e32 v3, v3, v1
	v_lshlrev_b32_e32 v1, 28, v2
	v_cmp_gt_i64_e32 vcc, 0, v[0:1]
	v_not_b32_e32 v1, v1
	v_ashrrev_i32_e32 v1, 31, v1
	v_and_b32_e32 v50, v50, v51
	;; [unrolled: 8-line block ×5, first 2 shown]
	v_xor_b32_e32 v51, vcc_hi, v1
	v_xor_b32_e32 v1, vcc_lo, v1
	v_and_b32_e32 v50, v50, v51
	v_and_b32_e32 v51, v3, v1
	v_lshlrev_b32_e32 v1, 24, v2
	v_cmp_gt_i64_e32 vcc, 0, v[0:1]
	v_not_b32_e32 v1, v1
	v_ashrrev_i32_e32 v1, 31, v1
	v_xor_b32_e32 v2, vcc_hi, v1
	v_xor_b32_e32 v1, vcc_lo, v1
	; wave barrier
	ds_read_b32 v48, v52 offset:32
	v_and_b32_e32 v3, v50, v2
	v_and_b32_e32 v2, v51, v1
	v_mbcnt_lo_u32_b32 v1, v2, 0
	v_mbcnt_hi_u32_b32 v50, v3, v1
	v_cmp_eq_u32_e32 vcc, 0, v50
	v_cmp_ne_u64_e64 s[2:3], 0, v[2:3]
	s_and_b64 s[4:5], s[2:3], vcc
	; wave barrier
	s_and_saveexec_b64 s[2:3], s[4:5]
	s_cbranch_execz .LBB371_148
; %bb.147:
	v_bcnt_u32_b32 v1, v2, 0
	v_bcnt_u32_b32 v1, v3, v1
	s_waitcnt lgkmcnt(0)
	v_add_u32_e32 v1, v48, v1
	ds_write_b32 v52, v1 offset:32
.LBB371_148:
	s_or_b64 exec, exec, s[2:3]
	s_waitcnt vmcnt(6)
	v_xor_b32_e32 v37, 0x80000000, v37
	v_lshrrev_b32_e32 v1, s56, v37
	v_and_b32_e32 v2, s15, v1
	v_lshl_add_u32 v1, v2, 3, v2
	v_add_lshl_u32 v55, v15, v1, 2
	v_and_b32_e32 v1, 1, v2
	v_add_co_u32_e32 v3, vcc, -1, v1
	v_addc_co_u32_e64 v53, s[2:3], 0, -1, vcc
	v_cmp_ne_u32_e32 vcc, 0, v1
	v_xor_b32_e32 v1, vcc_hi, v53
	v_and_b32_e32 v53, exec_hi, v1
	v_lshlrev_b32_e32 v1, 30, v2
	v_xor_b32_e32 v3, vcc_lo, v3
	v_cmp_gt_i64_e32 vcc, 0, v[0:1]
	v_not_b32_e32 v1, v1
	v_ashrrev_i32_e32 v1, 31, v1
	v_and_b32_e32 v3, exec_lo, v3
	v_xor_b32_e32 v54, vcc_hi, v1
	v_xor_b32_e32 v1, vcc_lo, v1
	v_and_b32_e32 v3, v3, v1
	v_lshlrev_b32_e32 v1, 29, v2
	v_cmp_gt_i64_e32 vcc, 0, v[0:1]
	v_not_b32_e32 v1, v1
	v_ashrrev_i32_e32 v1, 31, v1
	v_and_b32_e32 v53, v53, v54
	v_xor_b32_e32 v54, vcc_hi, v1
	v_xor_b32_e32 v1, vcc_lo, v1
	v_and_b32_e32 v3, v3, v1
	v_lshlrev_b32_e32 v1, 28, v2
	v_cmp_gt_i64_e32 vcc, 0, v[0:1]
	v_not_b32_e32 v1, v1
	v_ashrrev_i32_e32 v1, 31, v1
	v_and_b32_e32 v53, v53, v54
	;; [unrolled: 8-line block ×5, first 2 shown]
	v_xor_b32_e32 v54, vcc_hi, v1
	v_xor_b32_e32 v1, vcc_lo, v1
	v_and_b32_e32 v3, v3, v1
	v_lshlrev_b32_e32 v1, 24, v2
	v_cmp_gt_i64_e32 vcc, 0, v[0:1]
	v_not_b32_e32 v0, v1
	v_ashrrev_i32_e32 v0, 31, v0
	v_xor_b32_e32 v1, vcc_hi, v0
	v_xor_b32_e32 v0, vcc_lo, v0
	; wave barrier
	ds_read_b32 v51, v55 offset:32
	v_and_b32_e32 v53, v53, v54
	v_and_b32_e32 v0, v3, v0
	;; [unrolled: 1-line block ×3, first 2 shown]
	v_mbcnt_lo_u32_b32 v2, v0, 0
	v_mbcnt_hi_u32_b32 v53, v1, v2
	v_cmp_eq_u32_e32 vcc, 0, v53
	v_cmp_ne_u64_e64 s[2:3], 0, v[0:1]
	s_and_b64 s[4:5], s[2:3], vcc
	; wave barrier
	s_and_saveexec_b64 s[2:3], s[4:5]
	s_cbranch_execz .LBB371_150
; %bb.149:
	v_bcnt_u32_b32 v0, v0, 0
	v_bcnt_u32_b32 v0, v1, v0
	s_waitcnt lgkmcnt(0)
	v_add_u32_e32 v0, v51, v0
	ds_write_b32 v55, v0 offset:32
.LBB371_150:
	s_or_b64 exec, exec, s[2:3]
	s_waitcnt vmcnt(5)
	v_xor_b32_e32 v42, 0x80000000, v42
	v_lshrrev_b32_e32 v0, s56, v42
	v_and_b32_e32 v2, s15, v0
	v_and_b32_e32 v1, 1, v2
	v_add_co_u32_e32 v3, vcc, -1, v1
	v_addc_co_u32_e64 v56, s[2:3], 0, -1, vcc
	v_cmp_ne_u32_e32 vcc, 0, v1
	v_lshl_add_u32 v0, v2, 3, v2
	v_xor_b32_e32 v1, vcc_hi, v56
	v_add_lshl_u32 v58, v15, v0, 2
	v_mov_b32_e32 v0, 0
	v_and_b32_e32 v56, exec_hi, v1
	v_lshlrev_b32_e32 v1, 30, v2
	v_xor_b32_e32 v3, vcc_lo, v3
	v_cmp_gt_i64_e32 vcc, 0, v[0:1]
	v_not_b32_e32 v1, v1
	v_ashrrev_i32_e32 v1, 31, v1
	v_and_b32_e32 v3, exec_lo, v3
	v_xor_b32_e32 v57, vcc_hi, v1
	v_xor_b32_e32 v1, vcc_lo, v1
	v_and_b32_e32 v3, v3, v1
	v_lshlrev_b32_e32 v1, 29, v2
	v_cmp_gt_i64_e32 vcc, 0, v[0:1]
	v_not_b32_e32 v1, v1
	v_ashrrev_i32_e32 v1, 31, v1
	v_and_b32_e32 v56, v56, v57
	v_xor_b32_e32 v57, vcc_hi, v1
	v_xor_b32_e32 v1, vcc_lo, v1
	v_and_b32_e32 v3, v3, v1
	v_lshlrev_b32_e32 v1, 28, v2
	v_cmp_gt_i64_e32 vcc, 0, v[0:1]
	v_not_b32_e32 v1, v1
	v_ashrrev_i32_e32 v1, 31, v1
	v_and_b32_e32 v56, v56, v57
	;; [unrolled: 8-line block ×5, first 2 shown]
	v_xor_b32_e32 v57, vcc_hi, v1
	v_xor_b32_e32 v1, vcc_lo, v1
	v_and_b32_e32 v56, v56, v57
	v_and_b32_e32 v57, v3, v1
	v_lshlrev_b32_e32 v1, 24, v2
	v_cmp_gt_i64_e32 vcc, 0, v[0:1]
	v_not_b32_e32 v1, v1
	v_ashrrev_i32_e32 v1, 31, v1
	v_xor_b32_e32 v2, vcc_hi, v1
	v_xor_b32_e32 v1, vcc_lo, v1
	; wave barrier
	ds_read_b32 v54, v58 offset:32
	v_and_b32_e32 v3, v56, v2
	v_and_b32_e32 v2, v57, v1
	v_mbcnt_lo_u32_b32 v1, v2, 0
	v_mbcnt_hi_u32_b32 v56, v3, v1
	v_cmp_eq_u32_e32 vcc, 0, v56
	v_cmp_ne_u64_e64 s[2:3], 0, v[2:3]
	s_and_b64 s[4:5], s[2:3], vcc
	; wave barrier
	s_and_saveexec_b64 s[2:3], s[4:5]
	s_cbranch_execz .LBB371_152
; %bb.151:
	v_bcnt_u32_b32 v1, v2, 0
	v_bcnt_u32_b32 v1, v3, v1
	s_waitcnt lgkmcnt(0)
	v_add_u32_e32 v1, v54, v1
	ds_write_b32 v58, v1 offset:32
.LBB371_152:
	s_or_b64 exec, exec, s[2:3]
	s_waitcnt vmcnt(4)
	v_xor_b32_e32 v45, 0x80000000, v45
	v_lshrrev_b32_e32 v1, s56, v45
	v_and_b32_e32 v2, s15, v1
	v_lshl_add_u32 v1, v2, 3, v2
	v_add_lshl_u32 v62, v15, v1, 2
	v_and_b32_e32 v1, 1, v2
	v_add_co_u32_e32 v3, vcc, -1, v1
	v_addc_co_u32_e64 v59, s[2:3], 0, -1, vcc
	v_cmp_ne_u32_e32 vcc, 0, v1
	v_xor_b32_e32 v1, vcc_hi, v59
	v_and_b32_e32 v59, exec_hi, v1
	v_lshlrev_b32_e32 v1, 30, v2
	v_xor_b32_e32 v3, vcc_lo, v3
	v_cmp_gt_i64_e32 vcc, 0, v[0:1]
	v_not_b32_e32 v1, v1
	v_ashrrev_i32_e32 v1, 31, v1
	v_and_b32_e32 v3, exec_lo, v3
	v_xor_b32_e32 v60, vcc_hi, v1
	v_xor_b32_e32 v1, vcc_lo, v1
	v_and_b32_e32 v3, v3, v1
	v_lshlrev_b32_e32 v1, 29, v2
	v_cmp_gt_i64_e32 vcc, 0, v[0:1]
	v_not_b32_e32 v1, v1
	v_ashrrev_i32_e32 v1, 31, v1
	v_and_b32_e32 v59, v59, v60
	v_xor_b32_e32 v60, vcc_hi, v1
	v_xor_b32_e32 v1, vcc_lo, v1
	v_and_b32_e32 v3, v3, v1
	v_lshlrev_b32_e32 v1, 28, v2
	v_cmp_gt_i64_e32 vcc, 0, v[0:1]
	v_not_b32_e32 v1, v1
	v_ashrrev_i32_e32 v1, 31, v1
	v_and_b32_e32 v59, v59, v60
	;; [unrolled: 8-line block ×5, first 2 shown]
	v_xor_b32_e32 v60, vcc_hi, v1
	v_xor_b32_e32 v1, vcc_lo, v1
	v_and_b32_e32 v3, v3, v1
	v_lshlrev_b32_e32 v1, 24, v2
	v_cmp_gt_i64_e32 vcc, 0, v[0:1]
	v_not_b32_e32 v0, v1
	v_ashrrev_i32_e32 v0, 31, v0
	v_xor_b32_e32 v1, vcc_hi, v0
	v_xor_b32_e32 v0, vcc_lo, v0
	; wave barrier
	ds_read_b32 v57, v62 offset:32
	v_and_b32_e32 v59, v59, v60
	v_and_b32_e32 v0, v3, v0
	;; [unrolled: 1-line block ×3, first 2 shown]
	v_mbcnt_lo_u32_b32 v2, v0, 0
	v_mbcnt_hi_u32_b32 v60, v1, v2
	v_cmp_eq_u32_e32 vcc, 0, v60
	v_cmp_ne_u64_e64 s[2:3], 0, v[0:1]
	s_and_b64 s[4:5], s[2:3], vcc
	; wave barrier
	s_and_saveexec_b64 s[2:3], s[4:5]
	s_cbranch_execz .LBB371_154
; %bb.153:
	v_bcnt_u32_b32 v0, v0, 0
	v_bcnt_u32_b32 v0, v1, v0
	s_waitcnt lgkmcnt(0)
	v_add_u32_e32 v0, v57, v0
	ds_write_b32 v62, v0 offset:32
.LBB371_154:
	s_or_b64 exec, exec, s[2:3]
	s_waitcnt vmcnt(3)
	v_xor_b32_e32 v40, 0x80000000, v40
	v_lshrrev_b32_e32 v0, s56, v40
	v_and_b32_e32 v2, s15, v0
	v_and_b32_e32 v1, 1, v2
	v_add_co_u32_e32 v3, vcc, -1, v1
	v_addc_co_u32_e64 v59, s[2:3], 0, -1, vcc
	v_cmp_ne_u32_e32 vcc, 0, v1
	v_lshl_add_u32 v0, v2, 3, v2
	v_xor_b32_e32 v1, vcc_hi, v59
	v_add_lshl_u32 v65, v15, v0, 2
	v_mov_b32_e32 v0, 0
	v_and_b32_e32 v59, exec_hi, v1
	v_lshlrev_b32_e32 v1, 30, v2
	v_xor_b32_e32 v3, vcc_lo, v3
	v_cmp_gt_i64_e32 vcc, 0, v[0:1]
	v_not_b32_e32 v1, v1
	v_ashrrev_i32_e32 v1, 31, v1
	v_and_b32_e32 v3, exec_lo, v3
	v_xor_b32_e32 v63, vcc_hi, v1
	v_xor_b32_e32 v1, vcc_lo, v1
	v_and_b32_e32 v3, v3, v1
	v_lshlrev_b32_e32 v1, 29, v2
	v_cmp_gt_i64_e32 vcc, 0, v[0:1]
	v_not_b32_e32 v1, v1
	v_ashrrev_i32_e32 v1, 31, v1
	v_and_b32_e32 v59, v59, v63
	v_xor_b32_e32 v63, vcc_hi, v1
	v_xor_b32_e32 v1, vcc_lo, v1
	v_and_b32_e32 v3, v3, v1
	v_lshlrev_b32_e32 v1, 28, v2
	v_cmp_gt_i64_e32 vcc, 0, v[0:1]
	v_not_b32_e32 v1, v1
	v_ashrrev_i32_e32 v1, 31, v1
	v_and_b32_e32 v59, v59, v63
	;; [unrolled: 8-line block ×5, first 2 shown]
	v_xor_b32_e32 v63, vcc_hi, v1
	v_xor_b32_e32 v1, vcc_lo, v1
	v_and_b32_e32 v59, v59, v63
	v_and_b32_e32 v63, v3, v1
	v_lshlrev_b32_e32 v1, 24, v2
	v_cmp_gt_i64_e32 vcc, 0, v[0:1]
	v_not_b32_e32 v1, v1
	v_ashrrev_i32_e32 v1, 31, v1
	v_xor_b32_e32 v2, vcc_hi, v1
	v_xor_b32_e32 v1, vcc_lo, v1
	; wave barrier
	ds_read_b32 v61, v65 offset:32
	v_and_b32_e32 v3, v59, v2
	v_and_b32_e32 v2, v63, v1
	v_mbcnt_lo_u32_b32 v1, v2, 0
	v_mbcnt_hi_u32_b32 v63, v3, v1
	v_cmp_eq_u32_e32 vcc, 0, v63
	v_cmp_ne_u64_e64 s[2:3], 0, v[2:3]
	s_and_b64 s[4:5], s[2:3], vcc
	; wave barrier
	s_and_saveexec_b64 s[2:3], s[4:5]
	s_cbranch_execz .LBB371_156
; %bb.155:
	v_bcnt_u32_b32 v1, v2, 0
	v_bcnt_u32_b32 v1, v3, v1
	s_waitcnt lgkmcnt(0)
	v_add_u32_e32 v1, v61, v1
	ds_write_b32 v65, v1 offset:32
.LBB371_156:
	s_or_b64 exec, exec, s[2:3]
	s_waitcnt vmcnt(2)
	v_xor_b32_e32 v35, 0x80000000, v35
	v_lshrrev_b32_e32 v1, s56, v35
	v_and_b32_e32 v2, s15, v1
	v_lshl_add_u32 v1, v2, 3, v2
	v_add_lshl_u32 v68, v15, v1, 2
	v_and_b32_e32 v1, 1, v2
	v_add_co_u32_e32 v3, vcc, -1, v1
	v_addc_co_u32_e64 v59, s[2:3], 0, -1, vcc
	v_cmp_ne_u32_e32 vcc, 0, v1
	v_xor_b32_e32 v1, vcc_hi, v59
	v_and_b32_e32 v59, exec_hi, v1
	v_lshlrev_b32_e32 v1, 30, v2
	v_xor_b32_e32 v3, vcc_lo, v3
	v_cmp_gt_i64_e32 vcc, 0, v[0:1]
	v_not_b32_e32 v1, v1
	v_ashrrev_i32_e32 v1, 31, v1
	v_and_b32_e32 v3, exec_lo, v3
	v_xor_b32_e32 v66, vcc_hi, v1
	v_xor_b32_e32 v1, vcc_lo, v1
	v_and_b32_e32 v3, v3, v1
	v_lshlrev_b32_e32 v1, 29, v2
	v_cmp_gt_i64_e32 vcc, 0, v[0:1]
	v_not_b32_e32 v1, v1
	v_ashrrev_i32_e32 v1, 31, v1
	v_and_b32_e32 v59, v59, v66
	v_xor_b32_e32 v66, vcc_hi, v1
	v_xor_b32_e32 v1, vcc_lo, v1
	v_and_b32_e32 v3, v3, v1
	v_lshlrev_b32_e32 v1, 28, v2
	v_cmp_gt_i64_e32 vcc, 0, v[0:1]
	v_not_b32_e32 v1, v1
	v_ashrrev_i32_e32 v1, 31, v1
	v_and_b32_e32 v59, v59, v66
	;; [unrolled: 8-line block ×5, first 2 shown]
	v_xor_b32_e32 v66, vcc_hi, v1
	v_xor_b32_e32 v1, vcc_lo, v1
	v_and_b32_e32 v3, v3, v1
	v_lshlrev_b32_e32 v1, 24, v2
	v_cmp_gt_i64_e32 vcc, 0, v[0:1]
	v_not_b32_e32 v0, v1
	v_ashrrev_i32_e32 v0, 31, v0
	v_xor_b32_e32 v1, vcc_hi, v0
	v_xor_b32_e32 v0, vcc_lo, v0
	; wave barrier
	ds_read_b32 v64, v68 offset:32
	v_and_b32_e32 v59, v59, v66
	v_and_b32_e32 v0, v3, v0
	;; [unrolled: 1-line block ×3, first 2 shown]
	v_mbcnt_lo_u32_b32 v2, v0, 0
	v_mbcnt_hi_u32_b32 v66, v1, v2
	v_cmp_eq_u32_e32 vcc, 0, v66
	v_cmp_ne_u64_e64 s[2:3], 0, v[0:1]
	s_and_b64 s[4:5], s[2:3], vcc
	; wave barrier
	s_and_saveexec_b64 s[2:3], s[4:5]
	s_cbranch_execz .LBB371_158
; %bb.157:
	v_bcnt_u32_b32 v0, v0, 0
	v_bcnt_u32_b32 v0, v1, v0
	s_waitcnt lgkmcnt(0)
	v_add_u32_e32 v0, v64, v0
	ds_write_b32 v68, v0 offset:32
.LBB371_158:
	s_or_b64 exec, exec, s[2:3]
	s_waitcnt vmcnt(1)
	v_xor_b32_e32 v30, 0x80000000, v30
	v_lshrrev_b32_e32 v0, s56, v30
	v_and_b32_e32 v2, s15, v0
	v_and_b32_e32 v1, 1, v2
	v_add_co_u32_e32 v3, vcc, -1, v1
	v_addc_co_u32_e64 v59, s[2:3], 0, -1, vcc
	v_cmp_ne_u32_e32 vcc, 0, v1
	v_lshl_add_u32 v0, v2, 3, v2
	v_xor_b32_e32 v1, vcc_hi, v59
	v_add_lshl_u32 v70, v15, v0, 2
	v_mov_b32_e32 v0, 0
	v_and_b32_e32 v59, exec_hi, v1
	v_lshlrev_b32_e32 v1, 30, v2
	v_xor_b32_e32 v3, vcc_lo, v3
	v_cmp_gt_i64_e32 vcc, 0, v[0:1]
	v_not_b32_e32 v1, v1
	v_ashrrev_i32_e32 v1, 31, v1
	v_and_b32_e32 v3, exec_lo, v3
	v_xor_b32_e32 v69, vcc_hi, v1
	v_xor_b32_e32 v1, vcc_lo, v1
	v_and_b32_e32 v3, v3, v1
	v_lshlrev_b32_e32 v1, 29, v2
	v_cmp_gt_i64_e32 vcc, 0, v[0:1]
	v_not_b32_e32 v1, v1
	v_ashrrev_i32_e32 v1, 31, v1
	v_and_b32_e32 v59, v59, v69
	v_xor_b32_e32 v69, vcc_hi, v1
	v_xor_b32_e32 v1, vcc_lo, v1
	v_and_b32_e32 v3, v3, v1
	v_lshlrev_b32_e32 v1, 28, v2
	v_cmp_gt_i64_e32 vcc, 0, v[0:1]
	v_not_b32_e32 v1, v1
	v_ashrrev_i32_e32 v1, 31, v1
	v_and_b32_e32 v59, v59, v69
	;; [unrolled: 8-line block ×5, first 2 shown]
	v_xor_b32_e32 v69, vcc_hi, v1
	v_xor_b32_e32 v1, vcc_lo, v1
	v_and_b32_e32 v59, v59, v69
	v_and_b32_e32 v69, v3, v1
	v_lshlrev_b32_e32 v1, 24, v2
	v_cmp_gt_i64_e32 vcc, 0, v[0:1]
	v_not_b32_e32 v1, v1
	v_ashrrev_i32_e32 v1, 31, v1
	v_xor_b32_e32 v2, vcc_hi, v1
	v_xor_b32_e32 v1, vcc_lo, v1
	; wave barrier
	ds_read_b32 v67, v70 offset:32
	v_and_b32_e32 v3, v59, v2
	v_and_b32_e32 v2, v69, v1
	v_mbcnt_lo_u32_b32 v1, v2, 0
	v_mbcnt_hi_u32_b32 v69, v3, v1
	v_cmp_eq_u32_e32 vcc, 0, v69
	v_cmp_ne_u64_e64 s[2:3], 0, v[2:3]
	s_and_b64 s[4:5], s[2:3], vcc
	; wave barrier
	s_and_saveexec_b64 s[2:3], s[4:5]
	s_cbranch_execz .LBB371_160
; %bb.159:
	v_bcnt_u32_b32 v1, v2, 0
	v_bcnt_u32_b32 v1, v3, v1
	s_waitcnt lgkmcnt(0)
	v_add_u32_e32 v1, v67, v1
	ds_write_b32 v70, v1 offset:32
.LBB371_160:
	s_or_b64 exec, exec, s[2:3]
	s_waitcnt vmcnt(0)
	v_xor_b32_e32 v59, 0x80000000, v14
	v_lshrrev_b32_e32 v1, s56, v59
	v_and_b32_e32 v2, s15, v1
	v_lshl_add_u32 v1, v2, 3, v2
	v_add_lshl_u32 v71, v15, v1, 2
	v_and_b32_e32 v1, 1, v2
	v_add_co_u32_e32 v3, vcc, -1, v1
	v_addc_co_u32_e64 v15, s[2:3], 0, -1, vcc
	v_cmp_ne_u32_e32 vcc, 0, v1
	v_xor_b32_e32 v1, vcc_hi, v15
	v_and_b32_e32 v15, exec_hi, v1
	v_lshlrev_b32_e32 v1, 30, v2
	v_xor_b32_e32 v3, vcc_lo, v3
	v_cmp_gt_i64_e32 vcc, 0, v[0:1]
	v_not_b32_e32 v1, v1
	v_ashrrev_i32_e32 v1, 31, v1
	v_and_b32_e32 v3, exec_lo, v3
	v_xor_b32_e32 v73, vcc_hi, v1
	v_xor_b32_e32 v1, vcc_lo, v1
	v_and_b32_e32 v3, v3, v1
	v_lshlrev_b32_e32 v1, 29, v2
	v_cmp_gt_i64_e32 vcc, 0, v[0:1]
	v_not_b32_e32 v1, v1
	v_ashrrev_i32_e32 v1, 31, v1
	v_and_b32_e32 v15, v15, v73
	v_xor_b32_e32 v73, vcc_hi, v1
	v_xor_b32_e32 v1, vcc_lo, v1
	v_and_b32_e32 v3, v3, v1
	v_lshlrev_b32_e32 v1, 28, v2
	v_cmp_gt_i64_e32 vcc, 0, v[0:1]
	v_not_b32_e32 v1, v1
	v_ashrrev_i32_e32 v1, 31, v1
	v_and_b32_e32 v15, v15, v73
	;; [unrolled: 8-line block ×5, first 2 shown]
	v_xor_b32_e32 v73, vcc_hi, v1
	v_xor_b32_e32 v1, vcc_lo, v1
	v_and_b32_e32 v3, v3, v1
	v_lshlrev_b32_e32 v1, 24, v2
	v_cmp_gt_i64_e32 vcc, 0, v[0:1]
	v_not_b32_e32 v0, v1
	v_ashrrev_i32_e32 v0, 31, v0
	v_xor_b32_e32 v1, vcc_hi, v0
	v_xor_b32_e32 v0, vcc_lo, v0
	; wave barrier
	ds_read_b32 v14, v71 offset:32
	v_and_b32_e32 v15, v15, v73
	v_and_b32_e32 v0, v3, v0
	;; [unrolled: 1-line block ×3, first 2 shown]
	v_mbcnt_lo_u32_b32 v2, v0, 0
	v_mbcnt_hi_u32_b32 v15, v1, v2
	v_cmp_eq_u32_e32 vcc, 0, v15
	v_cmp_ne_u64_e64 s[2:3], 0, v[0:1]
	v_add_u32_e32 v72, 32, v5
	s_and_b64 s[4:5], s[2:3], vcc
	; wave barrier
	s_and_saveexec_b64 s[2:3], s[4:5]
	s_cbranch_execz .LBB371_162
; %bb.161:
	v_bcnt_u32_b32 v0, v0, 0
	v_bcnt_u32_b32 v0, v1, v0
	s_waitcnt lgkmcnt(0)
	v_add_u32_e32 v0, v14, v0
	ds_write_b32 v71, v0 offset:32
.LBB371_162:
	s_or_b64 exec, exec, s[2:3]
	; wave barrier
	s_waitcnt lgkmcnt(0)
	s_barrier
	ds_read2_b32 v[2:3], v5 offset0:8 offset1:9
	ds_read2_b32 v[0:1], v72 offset0:2 offset1:3
	ds_read_b32 v73, v72 offset:16
	s_waitcnt lgkmcnt(1)
	v_add3_u32 v74, v3, v2, v0
	s_waitcnt lgkmcnt(0)
	v_add3_u32 v73, v74, v1, v73
	v_and_b32_e32 v74, 15, v4
	v_cmp_ne_u32_e32 vcc, 0, v74
	v_mov_b32_dpp v75, v73 row_shr:1 row_mask:0xf bank_mask:0xf
	v_cndmask_b32_e32 v75, 0, v75, vcc
	v_add_u32_e32 v73, v75, v73
	v_cmp_lt_u32_e32 vcc, 1, v74
	s_nop 0
	v_mov_b32_dpp v75, v73 row_shr:2 row_mask:0xf bank_mask:0xf
	v_cndmask_b32_e32 v75, 0, v75, vcc
	v_add_u32_e32 v73, v73, v75
	v_cmp_lt_u32_e32 vcc, 3, v74
	s_nop 0
	;; [unrolled: 5-line block ×3, first 2 shown]
	v_mov_b32_dpp v75, v73 row_shr:8 row_mask:0xf bank_mask:0xf
	v_cndmask_b32_e32 v74, 0, v75, vcc
	v_add_u32_e32 v73, v73, v74
	v_bfe_i32 v75, v4, 4, 1
	v_cmp_lt_u32_e32 vcc, 31, v4
	v_mov_b32_dpp v74, v73 row_bcast:15 row_mask:0xf bank_mask:0xf
	v_and_b32_e32 v74, v75, v74
	v_add_u32_e32 v73, v73, v74
	v_and_b32_e32 v75, 0x3c0, v18
	v_min_u32_e32 v75, 0x1c0, v75
	v_mov_b32_dpp v74, v73 row_bcast:31 row_mask:0xf bank_mask:0xf
	v_cndmask_b32_e32 v74, 0, v74, vcc
	v_or_b32_e32 v75, 63, v75
	v_add_u32_e32 v73, v73, v74
	v_lshrrev_b32_e32 v74, 6, v18
	v_cmp_eq_u32_e32 vcc, v75, v18
	s_and_saveexec_b64 s[2:3], vcc
	s_cbranch_execz .LBB371_164
; %bb.163:
	v_lshlrev_b32_e32 v75, 2, v74
	ds_write_b32 v75, v73
.LBB371_164:
	s_or_b64 exec, exec, s[2:3]
	v_cmp_gt_u32_e32 vcc, 8, v18
	s_waitcnt lgkmcnt(0)
	s_barrier
	s_and_saveexec_b64 s[2:3], vcc
	s_cbranch_execz .LBB371_166
; %bb.165:
	v_lshlrev_b32_e32 v75, 2, v18
	ds_read_b32 v76, v75
	v_and_b32_e32 v77, 7, v4
	v_cmp_ne_u32_e32 vcc, 0, v77
	s_waitcnt lgkmcnt(0)
	v_mov_b32_dpp v78, v76 row_shr:1 row_mask:0xf bank_mask:0xf
	v_cndmask_b32_e32 v78, 0, v78, vcc
	v_add_u32_e32 v76, v78, v76
	v_cmp_lt_u32_e32 vcc, 1, v77
	s_nop 0
	v_mov_b32_dpp v78, v76 row_shr:2 row_mask:0xf bank_mask:0xf
	v_cndmask_b32_e32 v78, 0, v78, vcc
	v_add_u32_e32 v76, v76, v78
	v_cmp_lt_u32_e32 vcc, 3, v77
	s_nop 0
	v_mov_b32_dpp v78, v76 row_shr:4 row_mask:0xf bank_mask:0xf
	v_cndmask_b32_e32 v77, 0, v78, vcc
	v_add_u32_e32 v76, v76, v77
	ds_write_b32 v75, v76
.LBB371_166:
	s_or_b64 exec, exec, s[2:3]
	v_cmp_lt_u32_e32 vcc, 63, v18
	v_mov_b32_e32 v75, 0
	s_waitcnt lgkmcnt(0)
	s_barrier
	s_and_saveexec_b64 s[2:3], vcc
	s_cbranch_execz .LBB371_168
; %bb.167:
	v_lshl_add_u32 v74, v74, 2, -4
	ds_read_b32 v75, v74
.LBB371_168:
	s_or_b64 exec, exec, s[2:3]
	v_add_u32_e32 v74, -1, v4
	v_and_b32_e32 v76, 64, v4
	v_cmp_lt_i32_e32 vcc, v74, v76
	v_cndmask_b32_e32 v74, v74, v4, vcc
	s_waitcnt lgkmcnt(0)
	v_add_u32_e32 v73, v75, v73
	v_lshlrev_b32_e32 v74, 2, v74
	ds_bpermute_b32 v73, v74, v73
	v_cmp_eq_u32_e32 vcc, 0, v4
	s_waitcnt lgkmcnt(0)
	v_cndmask_b32_e32 v4, v73, v75, vcc
	v_cndmask_b32_e64 v4, v4, 0, s[0:1]
	v_add_u32_e32 v2, v4, v2
	v_add_u32_e32 v3, v2, v3
	;; [unrolled: 1-line block ×4, first 2 shown]
	ds_write2_b32 v5, v4, v2 offset0:8 offset1:9
	ds_write2_b32 v72, v3, v0 offset0:2 offset1:3
	ds_write_b32 v72, v1 offset:16
	s_waitcnt lgkmcnt(0)
	s_barrier
	ds_read_b32 v78, v9 offset:32
	ds_read_b32 v9, v11 offset:32
	;; [unrolled: 1-line block ×16, first 2 shown]
	s_movk_i32 s0, 0x100
	v_cmp_gt_u32_e32 vcc, s0, v18
                                        ; implicit-def: $vgpr31
                                        ; implicit-def: $vgpr36
	s_and_saveexec_b64 s[2:3], vcc
	s_cbranch_execz .LBB371_172
; %bb.169:
	v_mul_u32_u24_e32 v0, 9, v18
	v_lshlrev_b32_e32 v1, 2, v0
	ds_read_b32 v31, v1 offset:32
	s_movk_i32 s0, 0xff
	v_cmp_ne_u32_e64 s[0:1], s0, v18
	v_mov_b32_e32 v0, 0x2000
	s_and_saveexec_b64 s[4:5], s[0:1]
	s_cbranch_execz .LBB371_171
; %bb.170:
	ds_read_b32 v0, v1 offset:68
.LBB371_171:
	s_or_b64 exec, exec, s[4:5]
	s_waitcnt lgkmcnt(0)
	v_sub_u32_e32 v36, v0, v31
.LBB371_172:
	s_or_b64 exec, exec, s[2:3]
	s_waitcnt lgkmcnt(0)
	s_barrier
	s_and_saveexec_b64 s[2:3], vcc
	s_cbranch_execz .LBB371_182
; %bb.173:
	v_lshl_or_b32 v0, s33, 8, v18
	v_mov_b32_e32 v1, 0
	v_lshlrev_b64 v[2:3], 2, v[0:1]
	v_mov_b32_e32 v41, s43
	v_add_co_u32_e64 v2, s[0:1], s42, v2
	v_addc_co_u32_e64 v3, s[0:1], v41, v3, s[0:1]
	v_or_b32_e32 v0, 2.0, v36
	s_mov_b64 s[4:5], 0
	s_brev_b32 s16, 1
	s_mov_b32 s17, s33
	v_mov_b32_e32 v46, 0
	global_store_dword v[2:3], v0, off
                                        ; implicit-def: $sgpr0_sgpr1
	s_branch .LBB371_176
.LBB371_174:                            ;   in Loop: Header=BB371_176 Depth=1
	s_or_b64 exec, exec, s[12:13]
.LBB371_175:                            ;   in Loop: Header=BB371_176 Depth=1
	s_or_b64 exec, exec, s[6:7]
	v_and_b32_e32 v4, 0x3fffffff, v49
	v_add_u32_e32 v46, v4, v46
	v_cmp_eq_u32_e64 s[0:1], s16, v0
	s_and_b64 s[6:7], exec, s[0:1]
	s_or_b64 s[4:5], s[6:7], s[4:5]
	s_andn2_b64 exec, exec, s[4:5]
	s_cbranch_execz .LBB371_181
.LBB371_176:                            ; =>This Loop Header: Depth=1
                                        ;     Child Loop BB371_179 Depth 2
	s_or_b64 s[0:1], s[0:1], exec
	s_cmp_eq_u32 s17, 0
	s_cbranch_scc1 .LBB371_180
; %bb.177:                              ;   in Loop: Header=BB371_176 Depth=1
	s_add_i32 s17, s17, -1
	v_lshl_or_b32 v0, s17, 8, v18
	v_lshlrev_b64 v[4:5], 2, v[0:1]
	v_add_co_u32_e64 v4, s[0:1], s42, v4
	v_addc_co_u32_e64 v5, s[0:1], v41, v5, s[0:1]
	global_load_dword v49, v[4:5], off glc
	s_waitcnt vmcnt(0)
	v_and_b32_e32 v0, -2.0, v49
	v_cmp_eq_u32_e64 s[0:1], 0, v0
	s_and_saveexec_b64 s[6:7], s[0:1]
	s_cbranch_execz .LBB371_175
; %bb.178:                              ;   in Loop: Header=BB371_176 Depth=1
	s_mov_b64 s[12:13], 0
.LBB371_179:                            ;   Parent Loop BB371_176 Depth=1
                                        ; =>  This Inner Loop Header: Depth=2
	global_load_dword v49, v[4:5], off glc
	s_waitcnt vmcnt(0)
	v_and_b32_e32 v0, -2.0, v49
	v_cmp_ne_u32_e64 s[0:1], 0, v0
	s_or_b64 s[12:13], s[0:1], s[12:13]
	s_andn2_b64 exec, exec, s[12:13]
	s_cbranch_execnz .LBB371_179
	s_branch .LBB371_174
.LBB371_180:                            ;   in Loop: Header=BB371_176 Depth=1
                                        ; implicit-def: $sgpr17
	s_and_b64 s[6:7], exec, s[0:1]
	s_or_b64 s[4:5], s[6:7], s[4:5]
	s_andn2_b64 exec, exec, s[4:5]
	s_cbranch_execnz .LBB371_176
.LBB371_181:
	s_or_b64 exec, exec, s[4:5]
	v_add_u32_e32 v0, v46, v36
	v_or_b32_e32 v0, 0x80000000, v0
	global_store_dword v[2:3], v0, off
	v_lshlrev_b32_e32 v0, 2, v18
	global_load_dword v1, v0, s[52:53]
	v_sub_u32_e32 v2, v46, v31
	s_waitcnt vmcnt(0)
	v_add_u32_e32 v1, v2, v1
	ds_write_b32 v0, v1
.LBB371_182:
	s_or_b64 exec, exec, s[2:3]
	v_lshlrev_b32_e32 v46, 2, v18
	v_add_u32_e32 v41, v78, v6
	s_movk_i32 s2, 0x400
	v_add_u32_e32 v49, 0x400, v46
	v_add3_u32 v52, v15, v52, v14
	v_add3_u32 v55, v69, v55, v67
	;; [unrolled: 1-line block ×15, first 2 shown]
	s_mov_b32 s3, 0
	s_mov_b32 s4, 3
	s_movk_i32 s5, 0x200
	s_movk_i32 s6, 0x600
	v_mov_b32_e32 v17, 0
	v_mov_b32_e32 v47, s47
	;; [unrolled: 1-line block ×3, first 2 shown]
                                        ; implicit-def: $vgpr0
.LBB371_183:                            ; =>This Inner Loop Header: Depth=1
	v_add_u32_e32 v16, s3, v41
	v_add_u32_e32 v53, s3, v43
	;; [unrolled: 1-line block ×16, first 2 shown]
	v_min_u32_e32 v16, 0x800, v16
	v_min_u32_e32 v53, 0x800, v53
	;; [unrolled: 1-line block ×16, first 2 shown]
	v_lshlrev_b32_e32 v16, 2, v16
	v_lshlrev_b32_e32 v53, 2, v53
	;; [unrolled: 1-line block ×16, first 2 shown]
	ds_write_b32 v16, v21 offset:1024
	ds_write_b32 v53, v22 offset:1024
	;; [unrolled: 1-line block ×16, first 2 shown]
	s_waitcnt lgkmcnt(0)
	s_barrier
	ds_read_b32 v16, v46 offset:1024
	s_add_i32 s7, s4, -3
	s_add_i32 s12, s4, -2
	;; [unrolled: 1-line block ×3, first 2 shown]
	s_addk_i32 s3, 0xf800
	s_waitcnt lgkmcnt(0)
	v_lshrrev_b32_e32 v53, s56, v16
	v_and_b32_e32 v53, s15, v53
	v_xor_b32_e32 v56, 0x80000000, v16
	v_lshlrev_b32_e32 v16, 2, v53
	ds_read_b32 v16, v16
	s_waitcnt lgkmcnt(0)
	v_add_u32_e32 v16, v50, v16
	v_lshlrev_b64 v[62:63], 2, v[16:17]
	v_add_co_u32_e64 v62, s[0:1], s46, v62
	v_addc_co_u32_e64 v63, s[0:1], v47, v63, s[0:1]
	global_store_dword v[62:63], v56, off
	s_set_gpr_idx_on s7, gpr_idx(DST)
	v_mov_b32_e32 v0, v53
	s_set_gpr_idx_off
	ds_read_b32 v16, v49 offset:2048
	s_waitcnt lgkmcnt(0)
	v_lshrrev_b32_e32 v53, s56, v16
	v_and_b32_e32 v53, s15, v53
	v_xor_b32_e32 v56, 0x80000000, v16
	v_lshlrev_b32_e32 v16, 2, v53
	ds_read_b32 v16, v16
	s_waitcnt lgkmcnt(0)
	v_add3_u32 v16, v50, v16, s5
	v_lshlrev_b64 v[62:63], 2, v[16:17]
	v_add_co_u32_e64 v62, s[0:1], s46, v62
	v_addc_co_u32_e64 v63, s[0:1], v47, v63, s[0:1]
	global_store_dword v[62:63], v56, off
	s_set_gpr_idx_on s12, gpr_idx(DST)
	v_mov_b32_e32 v0, v53
	s_set_gpr_idx_off
	ds_read_b32 v16, v49 offset:4096
	s_waitcnt lgkmcnt(0)
	v_lshrrev_b32_e32 v53, s56, v16
	v_and_b32_e32 v53, s15, v53
	v_xor_b32_e32 v56, 0x80000000, v16
	v_lshlrev_b32_e32 v16, 2, v53
	ds_read_b32 v16, v16
	s_waitcnt lgkmcnt(0)
	v_add3_u32 v16, v50, v16, s2
	;; [unrolled: 16-line block ×3, first 2 shown]
	v_lshlrev_b64 v[62:63], 2, v[16:17]
	v_add_co_u32_e64 v62, s[0:1], s46, v62
	v_addc_co_u32_e64 v63, s[0:1], v47, v63, s[0:1]
	global_store_dword v[62:63], v56, off
	s_set_gpr_idx_on s4, gpr_idx(DST)
	v_mov_b32_e32 v0, v53
	s_set_gpr_idx_off
	s_add_i32 s4, s4, 4
	v_add_u32_e32 v50, 0x800, v50
	s_cmpk_lg_i32 s3, 0xe000
	s_barrier
	s_cbranch_scc1 .LBB371_183
; %bb.184:
	s_add_u32 s0, s48, s10
	s_addc_u32 s1, s49, s11
	v_mov_b32_e32 v16, s1
	v_add_co_u32_e64 v17, s[0:1], s0, v19
	v_addc_co_u32_e64 v19, s[0:1], 0, v16, s[0:1]
	v_add_co_u32_e64 v16, s[0:1], v17, v20
	v_addc_co_u32_e64 v17, s[0:1], 0, v19, s[0:1]
	global_load_dword v19, v[16:17], off
	global_load_dword v20, v[16:17], off offset:256
	global_load_dword v21, v[16:17], off offset:512
	;; [unrolled: 1-line block ×15, first 2 shown]
	s_mov_b32 s2, 0
	v_or_b32_e32 v45, 0x400, v18
	s_mov_b32 s3, 3
	s_movk_i32 s4, 0xfc00
	s_movk_i32 s5, 0xfe00
	;; [unrolled: 1-line block ×3, first 2 shown]
	v_mov_b32_e32 v17, 0
	s_waitcnt vmcnt(0)
.LBB371_185:                            ; =>This Inner Loop Header: Depth=1
	v_add_u32_e32 v16, s2, v41
	v_add_u32_e32 v47, s2, v43
	;; [unrolled: 1-line block ×16, first 2 shown]
	v_min_u32_e32 v16, 0x800, v16
	v_min_u32_e32 v47, 0x800, v47
	s_add_i32 s0, s3, -3
	v_min_u32_e32 v50, 0x800, v50
	v_min_u32_e32 v53, 0x800, v53
	;; [unrolled: 1-line block ×14, first 2 shown]
	v_lshlrev_b32_e32 v16, 2, v16
	v_lshlrev_b32_e32 v47, 2, v47
	;; [unrolled: 1-line block ×16, first 2 shown]
	ds_write_b32 v16, v19 offset:1024
	ds_write_b32 v47, v20 offset:1024
	;; [unrolled: 1-line block ×16, first 2 shown]
	s_waitcnt lgkmcnt(0)
	s_barrier
	ds_read_b32 v47, v46 offset:1024
	s_set_gpr_idx_on s0, gpr_idx(SRC0)
	v_mov_b32_e32 v16, v0
	s_set_gpr_idx_off
	v_lshlrev_b32_e32 v16, 2, v16
	ds_read_b32 v16, v16
	ds_read_b32 v50, v49 offset:2048
	v_mov_b32_e32 v71, s51
	s_add_i32 s7, s3, -2
	s_add_i32 s10, s3, -1
	s_waitcnt lgkmcnt(1)
	v_add3_u32 v16, v45, v16, s4
	v_lshlrev_b64 v[62:63], 2, v[16:17]
	v_add_co_u32_e64 v62, s[0:1], s50, v62
	v_addc_co_u32_e64 v63, s[0:1], v71, v63, s[0:1]
	global_store_dword v[62:63], v47, off
	s_set_gpr_idx_on s7, gpr_idx(SRC0)
	v_mov_b32_e32 v16, v0
	s_set_gpr_idx_off
	v_lshlrev_b32_e32 v16, 2, v16
	ds_read_b32 v16, v16
	ds_read_b32 v47, v49 offset:4096
	s_addk_i32 s2, 0xf800
	s_waitcnt lgkmcnt(1)
	v_add3_u32 v16, v45, v16, s5
	v_lshlrev_b64 v[62:63], 2, v[16:17]
	v_add_co_u32_e64 v62, s[0:1], s50, v62
	v_addc_co_u32_e64 v63, s[0:1], v71, v63, s[0:1]
	global_store_dword v[62:63], v50, off
	s_set_gpr_idx_on s10, gpr_idx(SRC0)
	v_mov_b32_e32 v16, v0
	s_set_gpr_idx_off
	v_lshlrev_b32_e32 v16, 2, v16
	ds_read_b32 v16, v16
	ds_read_b32 v50, v49 offset:6144
	s_waitcnt lgkmcnt(1)
	v_add_u32_e32 v16, v45, v16
	v_lshlrev_b64 v[62:63], 2, v[16:17]
	v_add_co_u32_e64 v62, s[0:1], s50, v62
	v_addc_co_u32_e64 v63, s[0:1], v71, v63, s[0:1]
	global_store_dword v[62:63], v47, off
	s_set_gpr_idx_on s3, gpr_idx(SRC0)
	v_mov_b32_e32 v16, v0
	s_set_gpr_idx_off
	v_lshlrev_b32_e32 v16, 2, v16
	ds_read_b32 v16, v16
	s_add_i32 s3, s3, 4
	s_cmpk_lg_i32 s2, 0xe000
	s_waitcnt lgkmcnt(0)
	v_add3_u32 v16, v45, v16, s6
	v_lshlrev_b64 v[62:63], 2, v[16:17]
	v_add_co_u32_e64 v62, s[0:1], s50, v62
	v_add_u32_e32 v45, 0x800, v45
	v_addc_co_u32_e64 v63, s[0:1], v71, v63, s[0:1]
	global_store_dword v[62:63], v50, off
	s_barrier
	s_cbranch_scc1 .LBB371_185
; %bb.186:
	s_add_i32 s14, s14, -1
	s_cmp_eq_u32 s14, s33
	s_cselect_b64 s[0:1], -1, 0
	s_and_b64 s[2:3], vcc, s[0:1]
                                        ; implicit-def: $vgpr2
	s_and_saveexec_b64 s[0:1], s[2:3]
; %bb.187:
	v_add_u32_e32 v2, v31, v36
	s_or_b64 s[8:9], s[8:9], exec
; %bb.188:
	s_or_b64 exec, exec, s[0:1]
.LBB371_189:
	s_and_saveexec_b64 s[0:1], s[8:9]
	s_cbranch_execnz .LBB371_191
; %bb.190:
	s_endpgm
.LBB371_191:
	v_lshlrev_b32_e32 v0, 2, v18
	ds_read_b32 v1, v0
	s_waitcnt lgkmcnt(0)
	v_add_u32_e32 v1, v1, v2
	global_store_dword v0, v1, s[54:55]
	s_endpgm
.LBB371_192:
	global_load_dword v22, v[20:21], off
	s_or_b64 exec, exec, s[40:41]
                                        ; implicit-def: $vgpr23
	s_and_saveexec_b64 s[40:41], s[2:3]
	s_cbranch_execz .LBB371_102
.LBB371_193:
	global_load_dword v23, v[20:21], off offset:256
	s_or_b64 exec, exec, s[40:41]
                                        ; implicit-def: $vgpr24
	s_and_saveexec_b64 s[2:3], s[38:39]
	s_cbranch_execz .LBB371_103
.LBB371_194:
	global_load_dword v24, v[20:21], off offset:512
	s_or_b64 exec, exec, s[2:3]
                                        ; implicit-def: $vgpr25
	s_and_saveexec_b64 s[2:3], s[8:9]
	s_cbranch_execz .LBB371_104
.LBB371_195:
	global_load_dword v25, v[20:21], off offset:768
	s_or_b64 exec, exec, s[2:3]
                                        ; implicit-def: $vgpr26
	s_and_saveexec_b64 s[2:3], s[10:11]
	s_cbranch_execz .LBB371_105
.LBB371_196:
	global_load_dword v26, v[20:21], off offset:1024
	s_or_b64 exec, exec, s[2:3]
                                        ; implicit-def: $vgpr27
	s_and_saveexec_b64 s[2:3], s[12:13]
	s_cbranch_execz .LBB371_106
.LBB371_197:
	global_load_dword v27, v[20:21], off offset:1280
	s_or_b64 exec, exec, s[2:3]
                                        ; implicit-def: $vgpr28
	s_and_saveexec_b64 s[2:3], s[14:15]
	s_cbranch_execz .LBB371_107
.LBB371_198:
	global_load_dword v28, v[20:21], off offset:1536
	s_or_b64 exec, exec, s[2:3]
                                        ; implicit-def: $vgpr29
	s_and_saveexec_b64 s[2:3], s[16:17]
	s_cbranch_execz .LBB371_108
.LBB371_199:
	global_load_dword v29, v[20:21], off offset:1792
	s_or_b64 exec, exec, s[2:3]
                                        ; implicit-def: $vgpr30
	s_and_saveexec_b64 s[2:3], s[18:19]
	s_cbranch_execz .LBB371_109
.LBB371_200:
	global_load_dword v30, v[20:21], off offset:2048
	s_or_b64 exec, exec, s[2:3]
                                        ; implicit-def: $vgpr33
	s_and_saveexec_b64 s[2:3], s[20:21]
	s_cbranch_execz .LBB371_110
.LBB371_201:
	global_load_dword v33, v[20:21], off offset:2304
	s_or_b64 exec, exec, s[2:3]
                                        ; implicit-def: $vgpr34
	s_and_saveexec_b64 s[2:3], s[22:23]
	s_cbranch_execz .LBB371_111
.LBB371_202:
	global_load_dword v34, v[20:21], off offset:2560
	s_or_b64 exec, exec, s[2:3]
                                        ; implicit-def: $vgpr38
	s_and_saveexec_b64 s[2:3], s[24:25]
	s_cbranch_execz .LBB371_112
.LBB371_203:
	global_load_dword v38, v[20:21], off offset:2816
	s_or_b64 exec, exec, s[2:3]
                                        ; implicit-def: $vgpr39
	s_and_saveexec_b64 s[2:3], s[26:27]
	s_cbranch_execz .LBB371_113
.LBB371_204:
	global_load_dword v39, v[20:21], off offset:3072
	s_or_b64 exec, exec, s[2:3]
                                        ; implicit-def: $vgpr43
	s_and_saveexec_b64 s[2:3], s[28:29]
	s_cbranch_execz .LBB371_114
.LBB371_205:
	global_load_dword v43, v[20:21], off offset:3328
	s_or_b64 exec, exec, s[2:3]
                                        ; implicit-def: $vgpr44
	s_and_saveexec_b64 s[2:3], s[30:31]
	s_cbranch_execz .LBB371_115
.LBB371_206:
	global_load_dword v44, v[20:21], off offset:3584
	s_or_b64 exec, exec, s[2:3]
                                        ; implicit-def: $vgpr48
	s_and_saveexec_b64 s[2:3], s[34:35]
	s_cbranch_execnz .LBB371_116
	s_branch .LBB371_117
	.section	.rodata,"a",@progbits
	.p2align	6, 0x0
	.amdhsa_kernel _ZN7rocprim17ROCPRIM_400000_NS6detail17trampoline_kernelINS0_14default_configENS1_35radix_sort_onesweep_config_selectorIiiEEZZNS1_29radix_sort_onesweep_iterationIS3_Lb0EPiS7_S7_S7_jNS0_19identity_decomposerENS1_16block_id_wrapperIjLb1EEEEE10hipError_tT1_PNSt15iterator_traitsISC_E10value_typeET2_T3_PNSD_ISI_E10value_typeET4_T5_PSN_SO_PNS1_23onesweep_lookback_stateEbbT6_jjT7_P12ihipStream_tbENKUlT_T0_SC_SH_E_clIS7_S7_S7_S7_EEDaSV_SW_SC_SH_EUlSV_E_NS1_11comp_targetILNS1_3genE4ELNS1_11target_archE910ELNS1_3gpuE8ELNS1_3repE0EEENS1_47radix_sort_onesweep_sort_config_static_selectorELNS0_4arch9wavefront6targetE1EEEvSC_
		.amdhsa_group_segment_fixed_size 10280
		.amdhsa_private_segment_fixed_size 0
		.amdhsa_kernarg_size 344
		.amdhsa_user_sgpr_count 6
		.amdhsa_user_sgpr_private_segment_buffer 1
		.amdhsa_user_sgpr_dispatch_ptr 0
		.amdhsa_user_sgpr_queue_ptr 0
		.amdhsa_user_sgpr_kernarg_segment_ptr 1
		.amdhsa_user_sgpr_dispatch_id 0
		.amdhsa_user_sgpr_flat_scratch_init 0
		.amdhsa_user_sgpr_kernarg_preload_length 0
		.amdhsa_user_sgpr_kernarg_preload_offset 0
		.amdhsa_user_sgpr_private_segment_size 0
		.amdhsa_uses_dynamic_stack 0
		.amdhsa_system_sgpr_private_segment_wavefront_offset 0
		.amdhsa_system_sgpr_workgroup_id_x 1
		.amdhsa_system_sgpr_workgroup_id_y 0
		.amdhsa_system_sgpr_workgroup_id_z 0
		.amdhsa_system_sgpr_workgroup_info 0
		.amdhsa_system_vgpr_workitem_id 2
		.amdhsa_next_free_vgpr 83
		.amdhsa_next_free_sgpr 72
		.amdhsa_accum_offset 84
		.amdhsa_reserve_vcc 1
		.amdhsa_reserve_flat_scratch 0
		.amdhsa_float_round_mode_32 0
		.amdhsa_float_round_mode_16_64 0
		.amdhsa_float_denorm_mode_32 3
		.amdhsa_float_denorm_mode_16_64 3
		.amdhsa_dx10_clamp 1
		.amdhsa_ieee_mode 1
		.amdhsa_fp16_overflow 0
		.amdhsa_tg_split 0
		.amdhsa_exception_fp_ieee_invalid_op 0
		.amdhsa_exception_fp_denorm_src 0
		.amdhsa_exception_fp_ieee_div_zero 0
		.amdhsa_exception_fp_ieee_overflow 0
		.amdhsa_exception_fp_ieee_underflow 0
		.amdhsa_exception_fp_ieee_inexact 0
		.amdhsa_exception_int_div_zero 0
	.end_amdhsa_kernel
	.section	.text._ZN7rocprim17ROCPRIM_400000_NS6detail17trampoline_kernelINS0_14default_configENS1_35radix_sort_onesweep_config_selectorIiiEEZZNS1_29radix_sort_onesweep_iterationIS3_Lb0EPiS7_S7_S7_jNS0_19identity_decomposerENS1_16block_id_wrapperIjLb1EEEEE10hipError_tT1_PNSt15iterator_traitsISC_E10value_typeET2_T3_PNSD_ISI_E10value_typeET4_T5_PSN_SO_PNS1_23onesweep_lookback_stateEbbT6_jjT7_P12ihipStream_tbENKUlT_T0_SC_SH_E_clIS7_S7_S7_S7_EEDaSV_SW_SC_SH_EUlSV_E_NS1_11comp_targetILNS1_3genE4ELNS1_11target_archE910ELNS1_3gpuE8ELNS1_3repE0EEENS1_47radix_sort_onesweep_sort_config_static_selectorELNS0_4arch9wavefront6targetE1EEEvSC_,"axG",@progbits,_ZN7rocprim17ROCPRIM_400000_NS6detail17trampoline_kernelINS0_14default_configENS1_35radix_sort_onesweep_config_selectorIiiEEZZNS1_29radix_sort_onesweep_iterationIS3_Lb0EPiS7_S7_S7_jNS0_19identity_decomposerENS1_16block_id_wrapperIjLb1EEEEE10hipError_tT1_PNSt15iterator_traitsISC_E10value_typeET2_T3_PNSD_ISI_E10value_typeET4_T5_PSN_SO_PNS1_23onesweep_lookback_stateEbbT6_jjT7_P12ihipStream_tbENKUlT_T0_SC_SH_E_clIS7_S7_S7_S7_EEDaSV_SW_SC_SH_EUlSV_E_NS1_11comp_targetILNS1_3genE4ELNS1_11target_archE910ELNS1_3gpuE8ELNS1_3repE0EEENS1_47radix_sort_onesweep_sort_config_static_selectorELNS0_4arch9wavefront6targetE1EEEvSC_,comdat
.Lfunc_end371:
	.size	_ZN7rocprim17ROCPRIM_400000_NS6detail17trampoline_kernelINS0_14default_configENS1_35radix_sort_onesweep_config_selectorIiiEEZZNS1_29radix_sort_onesweep_iterationIS3_Lb0EPiS7_S7_S7_jNS0_19identity_decomposerENS1_16block_id_wrapperIjLb1EEEEE10hipError_tT1_PNSt15iterator_traitsISC_E10value_typeET2_T3_PNSD_ISI_E10value_typeET4_T5_PSN_SO_PNS1_23onesweep_lookback_stateEbbT6_jjT7_P12ihipStream_tbENKUlT_T0_SC_SH_E_clIS7_S7_S7_S7_EEDaSV_SW_SC_SH_EUlSV_E_NS1_11comp_targetILNS1_3genE4ELNS1_11target_archE910ELNS1_3gpuE8ELNS1_3repE0EEENS1_47radix_sort_onesweep_sort_config_static_selectorELNS0_4arch9wavefront6targetE1EEEvSC_, .Lfunc_end371-_ZN7rocprim17ROCPRIM_400000_NS6detail17trampoline_kernelINS0_14default_configENS1_35radix_sort_onesweep_config_selectorIiiEEZZNS1_29radix_sort_onesweep_iterationIS3_Lb0EPiS7_S7_S7_jNS0_19identity_decomposerENS1_16block_id_wrapperIjLb1EEEEE10hipError_tT1_PNSt15iterator_traitsISC_E10value_typeET2_T3_PNSD_ISI_E10value_typeET4_T5_PSN_SO_PNS1_23onesweep_lookback_stateEbbT6_jjT7_P12ihipStream_tbENKUlT_T0_SC_SH_E_clIS7_S7_S7_S7_EEDaSV_SW_SC_SH_EUlSV_E_NS1_11comp_targetILNS1_3genE4ELNS1_11target_archE910ELNS1_3gpuE8ELNS1_3repE0EEENS1_47radix_sort_onesweep_sort_config_static_selectorELNS0_4arch9wavefront6targetE1EEEvSC_
                                        ; -- End function
	.section	.AMDGPU.csdata,"",@progbits
; Kernel info:
; codeLenInByte = 20980
; NumSgprs: 76
; NumVgprs: 83
; NumAgprs: 0
; TotalNumVgprs: 83
; ScratchSize: 0
; MemoryBound: 0
; FloatMode: 240
; IeeeMode: 1
; LDSByteSize: 10280 bytes/workgroup (compile time only)
; SGPRBlocks: 9
; VGPRBlocks: 10
; NumSGPRsForWavesPerEU: 76
; NumVGPRsForWavesPerEU: 83
; AccumOffset: 84
; Occupancy: 5
; WaveLimiterHint : 1
; COMPUTE_PGM_RSRC2:SCRATCH_EN: 0
; COMPUTE_PGM_RSRC2:USER_SGPR: 6
; COMPUTE_PGM_RSRC2:TRAP_HANDLER: 0
; COMPUTE_PGM_RSRC2:TGID_X_EN: 1
; COMPUTE_PGM_RSRC2:TGID_Y_EN: 0
; COMPUTE_PGM_RSRC2:TGID_Z_EN: 0
; COMPUTE_PGM_RSRC2:TIDIG_COMP_CNT: 2
; COMPUTE_PGM_RSRC3_GFX90A:ACCUM_OFFSET: 20
; COMPUTE_PGM_RSRC3_GFX90A:TG_SPLIT: 0
	.section	.text._ZN7rocprim17ROCPRIM_400000_NS6detail17trampoline_kernelINS0_14default_configENS1_35radix_sort_onesweep_config_selectorIiiEEZZNS1_29radix_sort_onesweep_iterationIS3_Lb0EPiS7_S7_S7_jNS0_19identity_decomposerENS1_16block_id_wrapperIjLb1EEEEE10hipError_tT1_PNSt15iterator_traitsISC_E10value_typeET2_T3_PNSD_ISI_E10value_typeET4_T5_PSN_SO_PNS1_23onesweep_lookback_stateEbbT6_jjT7_P12ihipStream_tbENKUlT_T0_SC_SH_E_clIS7_S7_S7_S7_EEDaSV_SW_SC_SH_EUlSV_E_NS1_11comp_targetILNS1_3genE3ELNS1_11target_archE908ELNS1_3gpuE7ELNS1_3repE0EEENS1_47radix_sort_onesweep_sort_config_static_selectorELNS0_4arch9wavefront6targetE1EEEvSC_,"axG",@progbits,_ZN7rocprim17ROCPRIM_400000_NS6detail17trampoline_kernelINS0_14default_configENS1_35radix_sort_onesweep_config_selectorIiiEEZZNS1_29radix_sort_onesweep_iterationIS3_Lb0EPiS7_S7_S7_jNS0_19identity_decomposerENS1_16block_id_wrapperIjLb1EEEEE10hipError_tT1_PNSt15iterator_traitsISC_E10value_typeET2_T3_PNSD_ISI_E10value_typeET4_T5_PSN_SO_PNS1_23onesweep_lookback_stateEbbT6_jjT7_P12ihipStream_tbENKUlT_T0_SC_SH_E_clIS7_S7_S7_S7_EEDaSV_SW_SC_SH_EUlSV_E_NS1_11comp_targetILNS1_3genE3ELNS1_11target_archE908ELNS1_3gpuE7ELNS1_3repE0EEENS1_47radix_sort_onesweep_sort_config_static_selectorELNS0_4arch9wavefront6targetE1EEEvSC_,comdat
	.protected	_ZN7rocprim17ROCPRIM_400000_NS6detail17trampoline_kernelINS0_14default_configENS1_35radix_sort_onesweep_config_selectorIiiEEZZNS1_29radix_sort_onesweep_iterationIS3_Lb0EPiS7_S7_S7_jNS0_19identity_decomposerENS1_16block_id_wrapperIjLb1EEEEE10hipError_tT1_PNSt15iterator_traitsISC_E10value_typeET2_T3_PNSD_ISI_E10value_typeET4_T5_PSN_SO_PNS1_23onesweep_lookback_stateEbbT6_jjT7_P12ihipStream_tbENKUlT_T0_SC_SH_E_clIS7_S7_S7_S7_EEDaSV_SW_SC_SH_EUlSV_E_NS1_11comp_targetILNS1_3genE3ELNS1_11target_archE908ELNS1_3gpuE7ELNS1_3repE0EEENS1_47radix_sort_onesweep_sort_config_static_selectorELNS0_4arch9wavefront6targetE1EEEvSC_ ; -- Begin function _ZN7rocprim17ROCPRIM_400000_NS6detail17trampoline_kernelINS0_14default_configENS1_35radix_sort_onesweep_config_selectorIiiEEZZNS1_29radix_sort_onesweep_iterationIS3_Lb0EPiS7_S7_S7_jNS0_19identity_decomposerENS1_16block_id_wrapperIjLb1EEEEE10hipError_tT1_PNSt15iterator_traitsISC_E10value_typeET2_T3_PNSD_ISI_E10value_typeET4_T5_PSN_SO_PNS1_23onesweep_lookback_stateEbbT6_jjT7_P12ihipStream_tbENKUlT_T0_SC_SH_E_clIS7_S7_S7_S7_EEDaSV_SW_SC_SH_EUlSV_E_NS1_11comp_targetILNS1_3genE3ELNS1_11target_archE908ELNS1_3gpuE7ELNS1_3repE0EEENS1_47radix_sort_onesweep_sort_config_static_selectorELNS0_4arch9wavefront6targetE1EEEvSC_
	.globl	_ZN7rocprim17ROCPRIM_400000_NS6detail17trampoline_kernelINS0_14default_configENS1_35radix_sort_onesweep_config_selectorIiiEEZZNS1_29radix_sort_onesweep_iterationIS3_Lb0EPiS7_S7_S7_jNS0_19identity_decomposerENS1_16block_id_wrapperIjLb1EEEEE10hipError_tT1_PNSt15iterator_traitsISC_E10value_typeET2_T3_PNSD_ISI_E10value_typeET4_T5_PSN_SO_PNS1_23onesweep_lookback_stateEbbT6_jjT7_P12ihipStream_tbENKUlT_T0_SC_SH_E_clIS7_S7_S7_S7_EEDaSV_SW_SC_SH_EUlSV_E_NS1_11comp_targetILNS1_3genE3ELNS1_11target_archE908ELNS1_3gpuE7ELNS1_3repE0EEENS1_47radix_sort_onesweep_sort_config_static_selectorELNS0_4arch9wavefront6targetE1EEEvSC_
	.p2align	8
	.type	_ZN7rocprim17ROCPRIM_400000_NS6detail17trampoline_kernelINS0_14default_configENS1_35radix_sort_onesweep_config_selectorIiiEEZZNS1_29radix_sort_onesweep_iterationIS3_Lb0EPiS7_S7_S7_jNS0_19identity_decomposerENS1_16block_id_wrapperIjLb1EEEEE10hipError_tT1_PNSt15iterator_traitsISC_E10value_typeET2_T3_PNSD_ISI_E10value_typeET4_T5_PSN_SO_PNS1_23onesweep_lookback_stateEbbT6_jjT7_P12ihipStream_tbENKUlT_T0_SC_SH_E_clIS7_S7_S7_S7_EEDaSV_SW_SC_SH_EUlSV_E_NS1_11comp_targetILNS1_3genE3ELNS1_11target_archE908ELNS1_3gpuE7ELNS1_3repE0EEENS1_47radix_sort_onesweep_sort_config_static_selectorELNS0_4arch9wavefront6targetE1EEEvSC_,@function
_ZN7rocprim17ROCPRIM_400000_NS6detail17trampoline_kernelINS0_14default_configENS1_35radix_sort_onesweep_config_selectorIiiEEZZNS1_29radix_sort_onesweep_iterationIS3_Lb0EPiS7_S7_S7_jNS0_19identity_decomposerENS1_16block_id_wrapperIjLb1EEEEE10hipError_tT1_PNSt15iterator_traitsISC_E10value_typeET2_T3_PNSD_ISI_E10value_typeET4_T5_PSN_SO_PNS1_23onesweep_lookback_stateEbbT6_jjT7_P12ihipStream_tbENKUlT_T0_SC_SH_E_clIS7_S7_S7_S7_EEDaSV_SW_SC_SH_EUlSV_E_NS1_11comp_targetILNS1_3genE3ELNS1_11target_archE908ELNS1_3gpuE7ELNS1_3repE0EEENS1_47radix_sort_onesweep_sort_config_static_selectorELNS0_4arch9wavefront6targetE1EEEvSC_: ; @_ZN7rocprim17ROCPRIM_400000_NS6detail17trampoline_kernelINS0_14default_configENS1_35radix_sort_onesweep_config_selectorIiiEEZZNS1_29radix_sort_onesweep_iterationIS3_Lb0EPiS7_S7_S7_jNS0_19identity_decomposerENS1_16block_id_wrapperIjLb1EEEEE10hipError_tT1_PNSt15iterator_traitsISC_E10value_typeET2_T3_PNSD_ISI_E10value_typeET4_T5_PSN_SO_PNS1_23onesweep_lookback_stateEbbT6_jjT7_P12ihipStream_tbENKUlT_T0_SC_SH_E_clIS7_S7_S7_S7_EEDaSV_SW_SC_SH_EUlSV_E_NS1_11comp_targetILNS1_3genE3ELNS1_11target_archE908ELNS1_3gpuE7ELNS1_3repE0EEENS1_47radix_sort_onesweep_sort_config_static_selectorELNS0_4arch9wavefront6targetE1EEEvSC_
; %bb.0:
	.section	.rodata,"a",@progbits
	.p2align	6, 0x0
	.amdhsa_kernel _ZN7rocprim17ROCPRIM_400000_NS6detail17trampoline_kernelINS0_14default_configENS1_35radix_sort_onesweep_config_selectorIiiEEZZNS1_29radix_sort_onesweep_iterationIS3_Lb0EPiS7_S7_S7_jNS0_19identity_decomposerENS1_16block_id_wrapperIjLb1EEEEE10hipError_tT1_PNSt15iterator_traitsISC_E10value_typeET2_T3_PNSD_ISI_E10value_typeET4_T5_PSN_SO_PNS1_23onesweep_lookback_stateEbbT6_jjT7_P12ihipStream_tbENKUlT_T0_SC_SH_E_clIS7_S7_S7_S7_EEDaSV_SW_SC_SH_EUlSV_E_NS1_11comp_targetILNS1_3genE3ELNS1_11target_archE908ELNS1_3gpuE7ELNS1_3repE0EEENS1_47radix_sort_onesweep_sort_config_static_selectorELNS0_4arch9wavefront6targetE1EEEvSC_
		.amdhsa_group_segment_fixed_size 0
		.amdhsa_private_segment_fixed_size 0
		.amdhsa_kernarg_size 88
		.amdhsa_user_sgpr_count 6
		.amdhsa_user_sgpr_private_segment_buffer 1
		.amdhsa_user_sgpr_dispatch_ptr 0
		.amdhsa_user_sgpr_queue_ptr 0
		.amdhsa_user_sgpr_kernarg_segment_ptr 1
		.amdhsa_user_sgpr_dispatch_id 0
		.amdhsa_user_sgpr_flat_scratch_init 0
		.amdhsa_user_sgpr_kernarg_preload_length 0
		.amdhsa_user_sgpr_kernarg_preload_offset 0
		.amdhsa_user_sgpr_private_segment_size 0
		.amdhsa_uses_dynamic_stack 0
		.amdhsa_system_sgpr_private_segment_wavefront_offset 0
		.amdhsa_system_sgpr_workgroup_id_x 1
		.amdhsa_system_sgpr_workgroup_id_y 0
		.amdhsa_system_sgpr_workgroup_id_z 0
		.amdhsa_system_sgpr_workgroup_info 0
		.amdhsa_system_vgpr_workitem_id 0
		.amdhsa_next_free_vgpr 1
		.amdhsa_next_free_sgpr 0
		.amdhsa_accum_offset 4
		.amdhsa_reserve_vcc 0
		.amdhsa_reserve_flat_scratch 0
		.amdhsa_float_round_mode_32 0
		.amdhsa_float_round_mode_16_64 0
		.amdhsa_float_denorm_mode_32 3
		.amdhsa_float_denorm_mode_16_64 3
		.amdhsa_dx10_clamp 1
		.amdhsa_ieee_mode 1
		.amdhsa_fp16_overflow 0
		.amdhsa_tg_split 0
		.amdhsa_exception_fp_ieee_invalid_op 0
		.amdhsa_exception_fp_denorm_src 0
		.amdhsa_exception_fp_ieee_div_zero 0
		.amdhsa_exception_fp_ieee_overflow 0
		.amdhsa_exception_fp_ieee_underflow 0
		.amdhsa_exception_fp_ieee_inexact 0
		.amdhsa_exception_int_div_zero 0
	.end_amdhsa_kernel
	.section	.text._ZN7rocprim17ROCPRIM_400000_NS6detail17trampoline_kernelINS0_14default_configENS1_35radix_sort_onesweep_config_selectorIiiEEZZNS1_29radix_sort_onesweep_iterationIS3_Lb0EPiS7_S7_S7_jNS0_19identity_decomposerENS1_16block_id_wrapperIjLb1EEEEE10hipError_tT1_PNSt15iterator_traitsISC_E10value_typeET2_T3_PNSD_ISI_E10value_typeET4_T5_PSN_SO_PNS1_23onesweep_lookback_stateEbbT6_jjT7_P12ihipStream_tbENKUlT_T0_SC_SH_E_clIS7_S7_S7_S7_EEDaSV_SW_SC_SH_EUlSV_E_NS1_11comp_targetILNS1_3genE3ELNS1_11target_archE908ELNS1_3gpuE7ELNS1_3repE0EEENS1_47radix_sort_onesweep_sort_config_static_selectorELNS0_4arch9wavefront6targetE1EEEvSC_,"axG",@progbits,_ZN7rocprim17ROCPRIM_400000_NS6detail17trampoline_kernelINS0_14default_configENS1_35radix_sort_onesweep_config_selectorIiiEEZZNS1_29radix_sort_onesweep_iterationIS3_Lb0EPiS7_S7_S7_jNS0_19identity_decomposerENS1_16block_id_wrapperIjLb1EEEEE10hipError_tT1_PNSt15iterator_traitsISC_E10value_typeET2_T3_PNSD_ISI_E10value_typeET4_T5_PSN_SO_PNS1_23onesweep_lookback_stateEbbT6_jjT7_P12ihipStream_tbENKUlT_T0_SC_SH_E_clIS7_S7_S7_S7_EEDaSV_SW_SC_SH_EUlSV_E_NS1_11comp_targetILNS1_3genE3ELNS1_11target_archE908ELNS1_3gpuE7ELNS1_3repE0EEENS1_47radix_sort_onesweep_sort_config_static_selectorELNS0_4arch9wavefront6targetE1EEEvSC_,comdat
.Lfunc_end372:
	.size	_ZN7rocprim17ROCPRIM_400000_NS6detail17trampoline_kernelINS0_14default_configENS1_35radix_sort_onesweep_config_selectorIiiEEZZNS1_29radix_sort_onesweep_iterationIS3_Lb0EPiS7_S7_S7_jNS0_19identity_decomposerENS1_16block_id_wrapperIjLb1EEEEE10hipError_tT1_PNSt15iterator_traitsISC_E10value_typeET2_T3_PNSD_ISI_E10value_typeET4_T5_PSN_SO_PNS1_23onesweep_lookback_stateEbbT6_jjT7_P12ihipStream_tbENKUlT_T0_SC_SH_E_clIS7_S7_S7_S7_EEDaSV_SW_SC_SH_EUlSV_E_NS1_11comp_targetILNS1_3genE3ELNS1_11target_archE908ELNS1_3gpuE7ELNS1_3repE0EEENS1_47radix_sort_onesweep_sort_config_static_selectorELNS0_4arch9wavefront6targetE1EEEvSC_, .Lfunc_end372-_ZN7rocprim17ROCPRIM_400000_NS6detail17trampoline_kernelINS0_14default_configENS1_35radix_sort_onesweep_config_selectorIiiEEZZNS1_29radix_sort_onesweep_iterationIS3_Lb0EPiS7_S7_S7_jNS0_19identity_decomposerENS1_16block_id_wrapperIjLb1EEEEE10hipError_tT1_PNSt15iterator_traitsISC_E10value_typeET2_T3_PNSD_ISI_E10value_typeET4_T5_PSN_SO_PNS1_23onesweep_lookback_stateEbbT6_jjT7_P12ihipStream_tbENKUlT_T0_SC_SH_E_clIS7_S7_S7_S7_EEDaSV_SW_SC_SH_EUlSV_E_NS1_11comp_targetILNS1_3genE3ELNS1_11target_archE908ELNS1_3gpuE7ELNS1_3repE0EEENS1_47radix_sort_onesweep_sort_config_static_selectorELNS0_4arch9wavefront6targetE1EEEvSC_
                                        ; -- End function
	.section	.AMDGPU.csdata,"",@progbits
; Kernel info:
; codeLenInByte = 0
; NumSgprs: 4
; NumVgprs: 0
; NumAgprs: 0
; TotalNumVgprs: 0
; ScratchSize: 0
; MemoryBound: 0
; FloatMode: 240
; IeeeMode: 1
; LDSByteSize: 0 bytes/workgroup (compile time only)
; SGPRBlocks: 0
; VGPRBlocks: 0
; NumSGPRsForWavesPerEU: 4
; NumVGPRsForWavesPerEU: 1
; AccumOffset: 4
; Occupancy: 8
; WaveLimiterHint : 0
; COMPUTE_PGM_RSRC2:SCRATCH_EN: 0
; COMPUTE_PGM_RSRC2:USER_SGPR: 6
; COMPUTE_PGM_RSRC2:TRAP_HANDLER: 0
; COMPUTE_PGM_RSRC2:TGID_X_EN: 1
; COMPUTE_PGM_RSRC2:TGID_Y_EN: 0
; COMPUTE_PGM_RSRC2:TGID_Z_EN: 0
; COMPUTE_PGM_RSRC2:TIDIG_COMP_CNT: 0
; COMPUTE_PGM_RSRC3_GFX90A:ACCUM_OFFSET: 0
; COMPUTE_PGM_RSRC3_GFX90A:TG_SPLIT: 0
	.section	.text._ZN7rocprim17ROCPRIM_400000_NS6detail17trampoline_kernelINS0_14default_configENS1_35radix_sort_onesweep_config_selectorIiiEEZZNS1_29radix_sort_onesweep_iterationIS3_Lb0EPiS7_S7_S7_jNS0_19identity_decomposerENS1_16block_id_wrapperIjLb1EEEEE10hipError_tT1_PNSt15iterator_traitsISC_E10value_typeET2_T3_PNSD_ISI_E10value_typeET4_T5_PSN_SO_PNS1_23onesweep_lookback_stateEbbT6_jjT7_P12ihipStream_tbENKUlT_T0_SC_SH_E_clIS7_S7_S7_S7_EEDaSV_SW_SC_SH_EUlSV_E_NS1_11comp_targetILNS1_3genE10ELNS1_11target_archE1201ELNS1_3gpuE5ELNS1_3repE0EEENS1_47radix_sort_onesweep_sort_config_static_selectorELNS0_4arch9wavefront6targetE1EEEvSC_,"axG",@progbits,_ZN7rocprim17ROCPRIM_400000_NS6detail17trampoline_kernelINS0_14default_configENS1_35radix_sort_onesweep_config_selectorIiiEEZZNS1_29radix_sort_onesweep_iterationIS3_Lb0EPiS7_S7_S7_jNS0_19identity_decomposerENS1_16block_id_wrapperIjLb1EEEEE10hipError_tT1_PNSt15iterator_traitsISC_E10value_typeET2_T3_PNSD_ISI_E10value_typeET4_T5_PSN_SO_PNS1_23onesweep_lookback_stateEbbT6_jjT7_P12ihipStream_tbENKUlT_T0_SC_SH_E_clIS7_S7_S7_S7_EEDaSV_SW_SC_SH_EUlSV_E_NS1_11comp_targetILNS1_3genE10ELNS1_11target_archE1201ELNS1_3gpuE5ELNS1_3repE0EEENS1_47radix_sort_onesweep_sort_config_static_selectorELNS0_4arch9wavefront6targetE1EEEvSC_,comdat
	.protected	_ZN7rocprim17ROCPRIM_400000_NS6detail17trampoline_kernelINS0_14default_configENS1_35radix_sort_onesweep_config_selectorIiiEEZZNS1_29radix_sort_onesweep_iterationIS3_Lb0EPiS7_S7_S7_jNS0_19identity_decomposerENS1_16block_id_wrapperIjLb1EEEEE10hipError_tT1_PNSt15iterator_traitsISC_E10value_typeET2_T3_PNSD_ISI_E10value_typeET4_T5_PSN_SO_PNS1_23onesweep_lookback_stateEbbT6_jjT7_P12ihipStream_tbENKUlT_T0_SC_SH_E_clIS7_S7_S7_S7_EEDaSV_SW_SC_SH_EUlSV_E_NS1_11comp_targetILNS1_3genE10ELNS1_11target_archE1201ELNS1_3gpuE5ELNS1_3repE0EEENS1_47radix_sort_onesweep_sort_config_static_selectorELNS0_4arch9wavefront6targetE1EEEvSC_ ; -- Begin function _ZN7rocprim17ROCPRIM_400000_NS6detail17trampoline_kernelINS0_14default_configENS1_35radix_sort_onesweep_config_selectorIiiEEZZNS1_29radix_sort_onesweep_iterationIS3_Lb0EPiS7_S7_S7_jNS0_19identity_decomposerENS1_16block_id_wrapperIjLb1EEEEE10hipError_tT1_PNSt15iterator_traitsISC_E10value_typeET2_T3_PNSD_ISI_E10value_typeET4_T5_PSN_SO_PNS1_23onesweep_lookback_stateEbbT6_jjT7_P12ihipStream_tbENKUlT_T0_SC_SH_E_clIS7_S7_S7_S7_EEDaSV_SW_SC_SH_EUlSV_E_NS1_11comp_targetILNS1_3genE10ELNS1_11target_archE1201ELNS1_3gpuE5ELNS1_3repE0EEENS1_47radix_sort_onesweep_sort_config_static_selectorELNS0_4arch9wavefront6targetE1EEEvSC_
	.globl	_ZN7rocprim17ROCPRIM_400000_NS6detail17trampoline_kernelINS0_14default_configENS1_35radix_sort_onesweep_config_selectorIiiEEZZNS1_29radix_sort_onesweep_iterationIS3_Lb0EPiS7_S7_S7_jNS0_19identity_decomposerENS1_16block_id_wrapperIjLb1EEEEE10hipError_tT1_PNSt15iterator_traitsISC_E10value_typeET2_T3_PNSD_ISI_E10value_typeET4_T5_PSN_SO_PNS1_23onesweep_lookback_stateEbbT6_jjT7_P12ihipStream_tbENKUlT_T0_SC_SH_E_clIS7_S7_S7_S7_EEDaSV_SW_SC_SH_EUlSV_E_NS1_11comp_targetILNS1_3genE10ELNS1_11target_archE1201ELNS1_3gpuE5ELNS1_3repE0EEENS1_47radix_sort_onesweep_sort_config_static_selectorELNS0_4arch9wavefront6targetE1EEEvSC_
	.p2align	8
	.type	_ZN7rocprim17ROCPRIM_400000_NS6detail17trampoline_kernelINS0_14default_configENS1_35radix_sort_onesweep_config_selectorIiiEEZZNS1_29radix_sort_onesweep_iterationIS3_Lb0EPiS7_S7_S7_jNS0_19identity_decomposerENS1_16block_id_wrapperIjLb1EEEEE10hipError_tT1_PNSt15iterator_traitsISC_E10value_typeET2_T3_PNSD_ISI_E10value_typeET4_T5_PSN_SO_PNS1_23onesweep_lookback_stateEbbT6_jjT7_P12ihipStream_tbENKUlT_T0_SC_SH_E_clIS7_S7_S7_S7_EEDaSV_SW_SC_SH_EUlSV_E_NS1_11comp_targetILNS1_3genE10ELNS1_11target_archE1201ELNS1_3gpuE5ELNS1_3repE0EEENS1_47radix_sort_onesweep_sort_config_static_selectorELNS0_4arch9wavefront6targetE1EEEvSC_,@function
_ZN7rocprim17ROCPRIM_400000_NS6detail17trampoline_kernelINS0_14default_configENS1_35radix_sort_onesweep_config_selectorIiiEEZZNS1_29radix_sort_onesweep_iterationIS3_Lb0EPiS7_S7_S7_jNS0_19identity_decomposerENS1_16block_id_wrapperIjLb1EEEEE10hipError_tT1_PNSt15iterator_traitsISC_E10value_typeET2_T3_PNSD_ISI_E10value_typeET4_T5_PSN_SO_PNS1_23onesweep_lookback_stateEbbT6_jjT7_P12ihipStream_tbENKUlT_T0_SC_SH_E_clIS7_S7_S7_S7_EEDaSV_SW_SC_SH_EUlSV_E_NS1_11comp_targetILNS1_3genE10ELNS1_11target_archE1201ELNS1_3gpuE5ELNS1_3repE0EEENS1_47radix_sort_onesweep_sort_config_static_selectorELNS0_4arch9wavefront6targetE1EEEvSC_: ; @_ZN7rocprim17ROCPRIM_400000_NS6detail17trampoline_kernelINS0_14default_configENS1_35radix_sort_onesweep_config_selectorIiiEEZZNS1_29radix_sort_onesweep_iterationIS3_Lb0EPiS7_S7_S7_jNS0_19identity_decomposerENS1_16block_id_wrapperIjLb1EEEEE10hipError_tT1_PNSt15iterator_traitsISC_E10value_typeET2_T3_PNSD_ISI_E10value_typeET4_T5_PSN_SO_PNS1_23onesweep_lookback_stateEbbT6_jjT7_P12ihipStream_tbENKUlT_T0_SC_SH_E_clIS7_S7_S7_S7_EEDaSV_SW_SC_SH_EUlSV_E_NS1_11comp_targetILNS1_3genE10ELNS1_11target_archE1201ELNS1_3gpuE5ELNS1_3repE0EEENS1_47radix_sort_onesweep_sort_config_static_selectorELNS0_4arch9wavefront6targetE1EEEvSC_
; %bb.0:
	.section	.rodata,"a",@progbits
	.p2align	6, 0x0
	.amdhsa_kernel _ZN7rocprim17ROCPRIM_400000_NS6detail17trampoline_kernelINS0_14default_configENS1_35radix_sort_onesweep_config_selectorIiiEEZZNS1_29radix_sort_onesweep_iterationIS3_Lb0EPiS7_S7_S7_jNS0_19identity_decomposerENS1_16block_id_wrapperIjLb1EEEEE10hipError_tT1_PNSt15iterator_traitsISC_E10value_typeET2_T3_PNSD_ISI_E10value_typeET4_T5_PSN_SO_PNS1_23onesweep_lookback_stateEbbT6_jjT7_P12ihipStream_tbENKUlT_T0_SC_SH_E_clIS7_S7_S7_S7_EEDaSV_SW_SC_SH_EUlSV_E_NS1_11comp_targetILNS1_3genE10ELNS1_11target_archE1201ELNS1_3gpuE5ELNS1_3repE0EEENS1_47radix_sort_onesweep_sort_config_static_selectorELNS0_4arch9wavefront6targetE1EEEvSC_
		.amdhsa_group_segment_fixed_size 0
		.amdhsa_private_segment_fixed_size 0
		.amdhsa_kernarg_size 88
		.amdhsa_user_sgpr_count 6
		.amdhsa_user_sgpr_private_segment_buffer 1
		.amdhsa_user_sgpr_dispatch_ptr 0
		.amdhsa_user_sgpr_queue_ptr 0
		.amdhsa_user_sgpr_kernarg_segment_ptr 1
		.amdhsa_user_sgpr_dispatch_id 0
		.amdhsa_user_sgpr_flat_scratch_init 0
		.amdhsa_user_sgpr_kernarg_preload_length 0
		.amdhsa_user_sgpr_kernarg_preload_offset 0
		.amdhsa_user_sgpr_private_segment_size 0
		.amdhsa_uses_dynamic_stack 0
		.amdhsa_system_sgpr_private_segment_wavefront_offset 0
		.amdhsa_system_sgpr_workgroup_id_x 1
		.amdhsa_system_sgpr_workgroup_id_y 0
		.amdhsa_system_sgpr_workgroup_id_z 0
		.amdhsa_system_sgpr_workgroup_info 0
		.amdhsa_system_vgpr_workitem_id 0
		.amdhsa_next_free_vgpr 1
		.amdhsa_next_free_sgpr 0
		.amdhsa_accum_offset 4
		.amdhsa_reserve_vcc 0
		.amdhsa_reserve_flat_scratch 0
		.amdhsa_float_round_mode_32 0
		.amdhsa_float_round_mode_16_64 0
		.amdhsa_float_denorm_mode_32 3
		.amdhsa_float_denorm_mode_16_64 3
		.amdhsa_dx10_clamp 1
		.amdhsa_ieee_mode 1
		.amdhsa_fp16_overflow 0
		.amdhsa_tg_split 0
		.amdhsa_exception_fp_ieee_invalid_op 0
		.amdhsa_exception_fp_denorm_src 0
		.amdhsa_exception_fp_ieee_div_zero 0
		.amdhsa_exception_fp_ieee_overflow 0
		.amdhsa_exception_fp_ieee_underflow 0
		.amdhsa_exception_fp_ieee_inexact 0
		.amdhsa_exception_int_div_zero 0
	.end_amdhsa_kernel
	.section	.text._ZN7rocprim17ROCPRIM_400000_NS6detail17trampoline_kernelINS0_14default_configENS1_35radix_sort_onesweep_config_selectorIiiEEZZNS1_29radix_sort_onesweep_iterationIS3_Lb0EPiS7_S7_S7_jNS0_19identity_decomposerENS1_16block_id_wrapperIjLb1EEEEE10hipError_tT1_PNSt15iterator_traitsISC_E10value_typeET2_T3_PNSD_ISI_E10value_typeET4_T5_PSN_SO_PNS1_23onesweep_lookback_stateEbbT6_jjT7_P12ihipStream_tbENKUlT_T0_SC_SH_E_clIS7_S7_S7_S7_EEDaSV_SW_SC_SH_EUlSV_E_NS1_11comp_targetILNS1_3genE10ELNS1_11target_archE1201ELNS1_3gpuE5ELNS1_3repE0EEENS1_47radix_sort_onesweep_sort_config_static_selectorELNS0_4arch9wavefront6targetE1EEEvSC_,"axG",@progbits,_ZN7rocprim17ROCPRIM_400000_NS6detail17trampoline_kernelINS0_14default_configENS1_35radix_sort_onesweep_config_selectorIiiEEZZNS1_29radix_sort_onesweep_iterationIS3_Lb0EPiS7_S7_S7_jNS0_19identity_decomposerENS1_16block_id_wrapperIjLb1EEEEE10hipError_tT1_PNSt15iterator_traitsISC_E10value_typeET2_T3_PNSD_ISI_E10value_typeET4_T5_PSN_SO_PNS1_23onesweep_lookback_stateEbbT6_jjT7_P12ihipStream_tbENKUlT_T0_SC_SH_E_clIS7_S7_S7_S7_EEDaSV_SW_SC_SH_EUlSV_E_NS1_11comp_targetILNS1_3genE10ELNS1_11target_archE1201ELNS1_3gpuE5ELNS1_3repE0EEENS1_47radix_sort_onesweep_sort_config_static_selectorELNS0_4arch9wavefront6targetE1EEEvSC_,comdat
.Lfunc_end373:
	.size	_ZN7rocprim17ROCPRIM_400000_NS6detail17trampoline_kernelINS0_14default_configENS1_35radix_sort_onesweep_config_selectorIiiEEZZNS1_29radix_sort_onesweep_iterationIS3_Lb0EPiS7_S7_S7_jNS0_19identity_decomposerENS1_16block_id_wrapperIjLb1EEEEE10hipError_tT1_PNSt15iterator_traitsISC_E10value_typeET2_T3_PNSD_ISI_E10value_typeET4_T5_PSN_SO_PNS1_23onesweep_lookback_stateEbbT6_jjT7_P12ihipStream_tbENKUlT_T0_SC_SH_E_clIS7_S7_S7_S7_EEDaSV_SW_SC_SH_EUlSV_E_NS1_11comp_targetILNS1_3genE10ELNS1_11target_archE1201ELNS1_3gpuE5ELNS1_3repE0EEENS1_47radix_sort_onesweep_sort_config_static_selectorELNS0_4arch9wavefront6targetE1EEEvSC_, .Lfunc_end373-_ZN7rocprim17ROCPRIM_400000_NS6detail17trampoline_kernelINS0_14default_configENS1_35radix_sort_onesweep_config_selectorIiiEEZZNS1_29radix_sort_onesweep_iterationIS3_Lb0EPiS7_S7_S7_jNS0_19identity_decomposerENS1_16block_id_wrapperIjLb1EEEEE10hipError_tT1_PNSt15iterator_traitsISC_E10value_typeET2_T3_PNSD_ISI_E10value_typeET4_T5_PSN_SO_PNS1_23onesweep_lookback_stateEbbT6_jjT7_P12ihipStream_tbENKUlT_T0_SC_SH_E_clIS7_S7_S7_S7_EEDaSV_SW_SC_SH_EUlSV_E_NS1_11comp_targetILNS1_3genE10ELNS1_11target_archE1201ELNS1_3gpuE5ELNS1_3repE0EEENS1_47radix_sort_onesweep_sort_config_static_selectorELNS0_4arch9wavefront6targetE1EEEvSC_
                                        ; -- End function
	.section	.AMDGPU.csdata,"",@progbits
; Kernel info:
; codeLenInByte = 0
; NumSgprs: 4
; NumVgprs: 0
; NumAgprs: 0
; TotalNumVgprs: 0
; ScratchSize: 0
; MemoryBound: 0
; FloatMode: 240
; IeeeMode: 1
; LDSByteSize: 0 bytes/workgroup (compile time only)
; SGPRBlocks: 0
; VGPRBlocks: 0
; NumSGPRsForWavesPerEU: 4
; NumVGPRsForWavesPerEU: 1
; AccumOffset: 4
; Occupancy: 8
; WaveLimiterHint : 0
; COMPUTE_PGM_RSRC2:SCRATCH_EN: 0
; COMPUTE_PGM_RSRC2:USER_SGPR: 6
; COMPUTE_PGM_RSRC2:TRAP_HANDLER: 0
; COMPUTE_PGM_RSRC2:TGID_X_EN: 1
; COMPUTE_PGM_RSRC2:TGID_Y_EN: 0
; COMPUTE_PGM_RSRC2:TGID_Z_EN: 0
; COMPUTE_PGM_RSRC2:TIDIG_COMP_CNT: 0
; COMPUTE_PGM_RSRC3_GFX90A:ACCUM_OFFSET: 0
; COMPUTE_PGM_RSRC3_GFX90A:TG_SPLIT: 0
	.section	.text._ZN7rocprim17ROCPRIM_400000_NS6detail17trampoline_kernelINS0_14default_configENS1_35radix_sort_onesweep_config_selectorIiiEEZZNS1_29radix_sort_onesweep_iterationIS3_Lb0EPiS7_S7_S7_jNS0_19identity_decomposerENS1_16block_id_wrapperIjLb1EEEEE10hipError_tT1_PNSt15iterator_traitsISC_E10value_typeET2_T3_PNSD_ISI_E10value_typeET4_T5_PSN_SO_PNS1_23onesweep_lookback_stateEbbT6_jjT7_P12ihipStream_tbENKUlT_T0_SC_SH_E_clIS7_S7_S7_S7_EEDaSV_SW_SC_SH_EUlSV_E_NS1_11comp_targetILNS1_3genE9ELNS1_11target_archE1100ELNS1_3gpuE3ELNS1_3repE0EEENS1_47radix_sort_onesweep_sort_config_static_selectorELNS0_4arch9wavefront6targetE1EEEvSC_,"axG",@progbits,_ZN7rocprim17ROCPRIM_400000_NS6detail17trampoline_kernelINS0_14default_configENS1_35radix_sort_onesweep_config_selectorIiiEEZZNS1_29radix_sort_onesweep_iterationIS3_Lb0EPiS7_S7_S7_jNS0_19identity_decomposerENS1_16block_id_wrapperIjLb1EEEEE10hipError_tT1_PNSt15iterator_traitsISC_E10value_typeET2_T3_PNSD_ISI_E10value_typeET4_T5_PSN_SO_PNS1_23onesweep_lookback_stateEbbT6_jjT7_P12ihipStream_tbENKUlT_T0_SC_SH_E_clIS7_S7_S7_S7_EEDaSV_SW_SC_SH_EUlSV_E_NS1_11comp_targetILNS1_3genE9ELNS1_11target_archE1100ELNS1_3gpuE3ELNS1_3repE0EEENS1_47radix_sort_onesweep_sort_config_static_selectorELNS0_4arch9wavefront6targetE1EEEvSC_,comdat
	.protected	_ZN7rocprim17ROCPRIM_400000_NS6detail17trampoline_kernelINS0_14default_configENS1_35radix_sort_onesweep_config_selectorIiiEEZZNS1_29radix_sort_onesweep_iterationIS3_Lb0EPiS7_S7_S7_jNS0_19identity_decomposerENS1_16block_id_wrapperIjLb1EEEEE10hipError_tT1_PNSt15iterator_traitsISC_E10value_typeET2_T3_PNSD_ISI_E10value_typeET4_T5_PSN_SO_PNS1_23onesweep_lookback_stateEbbT6_jjT7_P12ihipStream_tbENKUlT_T0_SC_SH_E_clIS7_S7_S7_S7_EEDaSV_SW_SC_SH_EUlSV_E_NS1_11comp_targetILNS1_3genE9ELNS1_11target_archE1100ELNS1_3gpuE3ELNS1_3repE0EEENS1_47radix_sort_onesweep_sort_config_static_selectorELNS0_4arch9wavefront6targetE1EEEvSC_ ; -- Begin function _ZN7rocprim17ROCPRIM_400000_NS6detail17trampoline_kernelINS0_14default_configENS1_35radix_sort_onesweep_config_selectorIiiEEZZNS1_29radix_sort_onesweep_iterationIS3_Lb0EPiS7_S7_S7_jNS0_19identity_decomposerENS1_16block_id_wrapperIjLb1EEEEE10hipError_tT1_PNSt15iterator_traitsISC_E10value_typeET2_T3_PNSD_ISI_E10value_typeET4_T5_PSN_SO_PNS1_23onesweep_lookback_stateEbbT6_jjT7_P12ihipStream_tbENKUlT_T0_SC_SH_E_clIS7_S7_S7_S7_EEDaSV_SW_SC_SH_EUlSV_E_NS1_11comp_targetILNS1_3genE9ELNS1_11target_archE1100ELNS1_3gpuE3ELNS1_3repE0EEENS1_47radix_sort_onesweep_sort_config_static_selectorELNS0_4arch9wavefront6targetE1EEEvSC_
	.globl	_ZN7rocprim17ROCPRIM_400000_NS6detail17trampoline_kernelINS0_14default_configENS1_35radix_sort_onesweep_config_selectorIiiEEZZNS1_29radix_sort_onesweep_iterationIS3_Lb0EPiS7_S7_S7_jNS0_19identity_decomposerENS1_16block_id_wrapperIjLb1EEEEE10hipError_tT1_PNSt15iterator_traitsISC_E10value_typeET2_T3_PNSD_ISI_E10value_typeET4_T5_PSN_SO_PNS1_23onesweep_lookback_stateEbbT6_jjT7_P12ihipStream_tbENKUlT_T0_SC_SH_E_clIS7_S7_S7_S7_EEDaSV_SW_SC_SH_EUlSV_E_NS1_11comp_targetILNS1_3genE9ELNS1_11target_archE1100ELNS1_3gpuE3ELNS1_3repE0EEENS1_47radix_sort_onesweep_sort_config_static_selectorELNS0_4arch9wavefront6targetE1EEEvSC_
	.p2align	8
	.type	_ZN7rocprim17ROCPRIM_400000_NS6detail17trampoline_kernelINS0_14default_configENS1_35radix_sort_onesweep_config_selectorIiiEEZZNS1_29radix_sort_onesweep_iterationIS3_Lb0EPiS7_S7_S7_jNS0_19identity_decomposerENS1_16block_id_wrapperIjLb1EEEEE10hipError_tT1_PNSt15iterator_traitsISC_E10value_typeET2_T3_PNSD_ISI_E10value_typeET4_T5_PSN_SO_PNS1_23onesweep_lookback_stateEbbT6_jjT7_P12ihipStream_tbENKUlT_T0_SC_SH_E_clIS7_S7_S7_S7_EEDaSV_SW_SC_SH_EUlSV_E_NS1_11comp_targetILNS1_3genE9ELNS1_11target_archE1100ELNS1_3gpuE3ELNS1_3repE0EEENS1_47radix_sort_onesweep_sort_config_static_selectorELNS0_4arch9wavefront6targetE1EEEvSC_,@function
_ZN7rocprim17ROCPRIM_400000_NS6detail17trampoline_kernelINS0_14default_configENS1_35radix_sort_onesweep_config_selectorIiiEEZZNS1_29radix_sort_onesweep_iterationIS3_Lb0EPiS7_S7_S7_jNS0_19identity_decomposerENS1_16block_id_wrapperIjLb1EEEEE10hipError_tT1_PNSt15iterator_traitsISC_E10value_typeET2_T3_PNSD_ISI_E10value_typeET4_T5_PSN_SO_PNS1_23onesweep_lookback_stateEbbT6_jjT7_P12ihipStream_tbENKUlT_T0_SC_SH_E_clIS7_S7_S7_S7_EEDaSV_SW_SC_SH_EUlSV_E_NS1_11comp_targetILNS1_3genE9ELNS1_11target_archE1100ELNS1_3gpuE3ELNS1_3repE0EEENS1_47radix_sort_onesweep_sort_config_static_selectorELNS0_4arch9wavefront6targetE1EEEvSC_: ; @_ZN7rocprim17ROCPRIM_400000_NS6detail17trampoline_kernelINS0_14default_configENS1_35radix_sort_onesweep_config_selectorIiiEEZZNS1_29radix_sort_onesweep_iterationIS3_Lb0EPiS7_S7_S7_jNS0_19identity_decomposerENS1_16block_id_wrapperIjLb1EEEEE10hipError_tT1_PNSt15iterator_traitsISC_E10value_typeET2_T3_PNSD_ISI_E10value_typeET4_T5_PSN_SO_PNS1_23onesweep_lookback_stateEbbT6_jjT7_P12ihipStream_tbENKUlT_T0_SC_SH_E_clIS7_S7_S7_S7_EEDaSV_SW_SC_SH_EUlSV_E_NS1_11comp_targetILNS1_3genE9ELNS1_11target_archE1100ELNS1_3gpuE3ELNS1_3repE0EEENS1_47radix_sort_onesweep_sort_config_static_selectorELNS0_4arch9wavefront6targetE1EEEvSC_
; %bb.0:
	.section	.rodata,"a",@progbits
	.p2align	6, 0x0
	.amdhsa_kernel _ZN7rocprim17ROCPRIM_400000_NS6detail17trampoline_kernelINS0_14default_configENS1_35radix_sort_onesweep_config_selectorIiiEEZZNS1_29radix_sort_onesweep_iterationIS3_Lb0EPiS7_S7_S7_jNS0_19identity_decomposerENS1_16block_id_wrapperIjLb1EEEEE10hipError_tT1_PNSt15iterator_traitsISC_E10value_typeET2_T3_PNSD_ISI_E10value_typeET4_T5_PSN_SO_PNS1_23onesweep_lookback_stateEbbT6_jjT7_P12ihipStream_tbENKUlT_T0_SC_SH_E_clIS7_S7_S7_S7_EEDaSV_SW_SC_SH_EUlSV_E_NS1_11comp_targetILNS1_3genE9ELNS1_11target_archE1100ELNS1_3gpuE3ELNS1_3repE0EEENS1_47radix_sort_onesweep_sort_config_static_selectorELNS0_4arch9wavefront6targetE1EEEvSC_
		.amdhsa_group_segment_fixed_size 0
		.amdhsa_private_segment_fixed_size 0
		.amdhsa_kernarg_size 88
		.amdhsa_user_sgpr_count 6
		.amdhsa_user_sgpr_private_segment_buffer 1
		.amdhsa_user_sgpr_dispatch_ptr 0
		.amdhsa_user_sgpr_queue_ptr 0
		.amdhsa_user_sgpr_kernarg_segment_ptr 1
		.amdhsa_user_sgpr_dispatch_id 0
		.amdhsa_user_sgpr_flat_scratch_init 0
		.amdhsa_user_sgpr_kernarg_preload_length 0
		.amdhsa_user_sgpr_kernarg_preload_offset 0
		.amdhsa_user_sgpr_private_segment_size 0
		.amdhsa_uses_dynamic_stack 0
		.amdhsa_system_sgpr_private_segment_wavefront_offset 0
		.amdhsa_system_sgpr_workgroup_id_x 1
		.amdhsa_system_sgpr_workgroup_id_y 0
		.amdhsa_system_sgpr_workgroup_id_z 0
		.amdhsa_system_sgpr_workgroup_info 0
		.amdhsa_system_vgpr_workitem_id 0
		.amdhsa_next_free_vgpr 1
		.amdhsa_next_free_sgpr 0
		.amdhsa_accum_offset 4
		.amdhsa_reserve_vcc 0
		.amdhsa_reserve_flat_scratch 0
		.amdhsa_float_round_mode_32 0
		.amdhsa_float_round_mode_16_64 0
		.amdhsa_float_denorm_mode_32 3
		.amdhsa_float_denorm_mode_16_64 3
		.amdhsa_dx10_clamp 1
		.amdhsa_ieee_mode 1
		.amdhsa_fp16_overflow 0
		.amdhsa_tg_split 0
		.amdhsa_exception_fp_ieee_invalid_op 0
		.amdhsa_exception_fp_denorm_src 0
		.amdhsa_exception_fp_ieee_div_zero 0
		.amdhsa_exception_fp_ieee_overflow 0
		.amdhsa_exception_fp_ieee_underflow 0
		.amdhsa_exception_fp_ieee_inexact 0
		.amdhsa_exception_int_div_zero 0
	.end_amdhsa_kernel
	.section	.text._ZN7rocprim17ROCPRIM_400000_NS6detail17trampoline_kernelINS0_14default_configENS1_35radix_sort_onesweep_config_selectorIiiEEZZNS1_29radix_sort_onesweep_iterationIS3_Lb0EPiS7_S7_S7_jNS0_19identity_decomposerENS1_16block_id_wrapperIjLb1EEEEE10hipError_tT1_PNSt15iterator_traitsISC_E10value_typeET2_T3_PNSD_ISI_E10value_typeET4_T5_PSN_SO_PNS1_23onesweep_lookback_stateEbbT6_jjT7_P12ihipStream_tbENKUlT_T0_SC_SH_E_clIS7_S7_S7_S7_EEDaSV_SW_SC_SH_EUlSV_E_NS1_11comp_targetILNS1_3genE9ELNS1_11target_archE1100ELNS1_3gpuE3ELNS1_3repE0EEENS1_47radix_sort_onesweep_sort_config_static_selectorELNS0_4arch9wavefront6targetE1EEEvSC_,"axG",@progbits,_ZN7rocprim17ROCPRIM_400000_NS6detail17trampoline_kernelINS0_14default_configENS1_35radix_sort_onesweep_config_selectorIiiEEZZNS1_29radix_sort_onesweep_iterationIS3_Lb0EPiS7_S7_S7_jNS0_19identity_decomposerENS1_16block_id_wrapperIjLb1EEEEE10hipError_tT1_PNSt15iterator_traitsISC_E10value_typeET2_T3_PNSD_ISI_E10value_typeET4_T5_PSN_SO_PNS1_23onesweep_lookback_stateEbbT6_jjT7_P12ihipStream_tbENKUlT_T0_SC_SH_E_clIS7_S7_S7_S7_EEDaSV_SW_SC_SH_EUlSV_E_NS1_11comp_targetILNS1_3genE9ELNS1_11target_archE1100ELNS1_3gpuE3ELNS1_3repE0EEENS1_47radix_sort_onesweep_sort_config_static_selectorELNS0_4arch9wavefront6targetE1EEEvSC_,comdat
.Lfunc_end374:
	.size	_ZN7rocprim17ROCPRIM_400000_NS6detail17trampoline_kernelINS0_14default_configENS1_35radix_sort_onesweep_config_selectorIiiEEZZNS1_29radix_sort_onesweep_iterationIS3_Lb0EPiS7_S7_S7_jNS0_19identity_decomposerENS1_16block_id_wrapperIjLb1EEEEE10hipError_tT1_PNSt15iterator_traitsISC_E10value_typeET2_T3_PNSD_ISI_E10value_typeET4_T5_PSN_SO_PNS1_23onesweep_lookback_stateEbbT6_jjT7_P12ihipStream_tbENKUlT_T0_SC_SH_E_clIS7_S7_S7_S7_EEDaSV_SW_SC_SH_EUlSV_E_NS1_11comp_targetILNS1_3genE9ELNS1_11target_archE1100ELNS1_3gpuE3ELNS1_3repE0EEENS1_47radix_sort_onesweep_sort_config_static_selectorELNS0_4arch9wavefront6targetE1EEEvSC_, .Lfunc_end374-_ZN7rocprim17ROCPRIM_400000_NS6detail17trampoline_kernelINS0_14default_configENS1_35radix_sort_onesweep_config_selectorIiiEEZZNS1_29radix_sort_onesweep_iterationIS3_Lb0EPiS7_S7_S7_jNS0_19identity_decomposerENS1_16block_id_wrapperIjLb1EEEEE10hipError_tT1_PNSt15iterator_traitsISC_E10value_typeET2_T3_PNSD_ISI_E10value_typeET4_T5_PSN_SO_PNS1_23onesweep_lookback_stateEbbT6_jjT7_P12ihipStream_tbENKUlT_T0_SC_SH_E_clIS7_S7_S7_S7_EEDaSV_SW_SC_SH_EUlSV_E_NS1_11comp_targetILNS1_3genE9ELNS1_11target_archE1100ELNS1_3gpuE3ELNS1_3repE0EEENS1_47radix_sort_onesweep_sort_config_static_selectorELNS0_4arch9wavefront6targetE1EEEvSC_
                                        ; -- End function
	.section	.AMDGPU.csdata,"",@progbits
; Kernel info:
; codeLenInByte = 0
; NumSgprs: 4
; NumVgprs: 0
; NumAgprs: 0
; TotalNumVgprs: 0
; ScratchSize: 0
; MemoryBound: 0
; FloatMode: 240
; IeeeMode: 1
; LDSByteSize: 0 bytes/workgroup (compile time only)
; SGPRBlocks: 0
; VGPRBlocks: 0
; NumSGPRsForWavesPerEU: 4
; NumVGPRsForWavesPerEU: 1
; AccumOffset: 4
; Occupancy: 8
; WaveLimiterHint : 0
; COMPUTE_PGM_RSRC2:SCRATCH_EN: 0
; COMPUTE_PGM_RSRC2:USER_SGPR: 6
; COMPUTE_PGM_RSRC2:TRAP_HANDLER: 0
; COMPUTE_PGM_RSRC2:TGID_X_EN: 1
; COMPUTE_PGM_RSRC2:TGID_Y_EN: 0
; COMPUTE_PGM_RSRC2:TGID_Z_EN: 0
; COMPUTE_PGM_RSRC2:TIDIG_COMP_CNT: 0
; COMPUTE_PGM_RSRC3_GFX90A:ACCUM_OFFSET: 0
; COMPUTE_PGM_RSRC3_GFX90A:TG_SPLIT: 0
	.section	.text._ZN7rocprim17ROCPRIM_400000_NS6detail17trampoline_kernelINS0_14default_configENS1_35radix_sort_onesweep_config_selectorIiiEEZZNS1_29radix_sort_onesweep_iterationIS3_Lb0EPiS7_S7_S7_jNS0_19identity_decomposerENS1_16block_id_wrapperIjLb1EEEEE10hipError_tT1_PNSt15iterator_traitsISC_E10value_typeET2_T3_PNSD_ISI_E10value_typeET4_T5_PSN_SO_PNS1_23onesweep_lookback_stateEbbT6_jjT7_P12ihipStream_tbENKUlT_T0_SC_SH_E_clIS7_S7_S7_S7_EEDaSV_SW_SC_SH_EUlSV_E_NS1_11comp_targetILNS1_3genE8ELNS1_11target_archE1030ELNS1_3gpuE2ELNS1_3repE0EEENS1_47radix_sort_onesweep_sort_config_static_selectorELNS0_4arch9wavefront6targetE1EEEvSC_,"axG",@progbits,_ZN7rocprim17ROCPRIM_400000_NS6detail17trampoline_kernelINS0_14default_configENS1_35radix_sort_onesweep_config_selectorIiiEEZZNS1_29radix_sort_onesweep_iterationIS3_Lb0EPiS7_S7_S7_jNS0_19identity_decomposerENS1_16block_id_wrapperIjLb1EEEEE10hipError_tT1_PNSt15iterator_traitsISC_E10value_typeET2_T3_PNSD_ISI_E10value_typeET4_T5_PSN_SO_PNS1_23onesweep_lookback_stateEbbT6_jjT7_P12ihipStream_tbENKUlT_T0_SC_SH_E_clIS7_S7_S7_S7_EEDaSV_SW_SC_SH_EUlSV_E_NS1_11comp_targetILNS1_3genE8ELNS1_11target_archE1030ELNS1_3gpuE2ELNS1_3repE0EEENS1_47radix_sort_onesweep_sort_config_static_selectorELNS0_4arch9wavefront6targetE1EEEvSC_,comdat
	.protected	_ZN7rocprim17ROCPRIM_400000_NS6detail17trampoline_kernelINS0_14default_configENS1_35radix_sort_onesweep_config_selectorIiiEEZZNS1_29radix_sort_onesweep_iterationIS3_Lb0EPiS7_S7_S7_jNS0_19identity_decomposerENS1_16block_id_wrapperIjLb1EEEEE10hipError_tT1_PNSt15iterator_traitsISC_E10value_typeET2_T3_PNSD_ISI_E10value_typeET4_T5_PSN_SO_PNS1_23onesweep_lookback_stateEbbT6_jjT7_P12ihipStream_tbENKUlT_T0_SC_SH_E_clIS7_S7_S7_S7_EEDaSV_SW_SC_SH_EUlSV_E_NS1_11comp_targetILNS1_3genE8ELNS1_11target_archE1030ELNS1_3gpuE2ELNS1_3repE0EEENS1_47radix_sort_onesweep_sort_config_static_selectorELNS0_4arch9wavefront6targetE1EEEvSC_ ; -- Begin function _ZN7rocprim17ROCPRIM_400000_NS6detail17trampoline_kernelINS0_14default_configENS1_35radix_sort_onesweep_config_selectorIiiEEZZNS1_29radix_sort_onesweep_iterationIS3_Lb0EPiS7_S7_S7_jNS0_19identity_decomposerENS1_16block_id_wrapperIjLb1EEEEE10hipError_tT1_PNSt15iterator_traitsISC_E10value_typeET2_T3_PNSD_ISI_E10value_typeET4_T5_PSN_SO_PNS1_23onesweep_lookback_stateEbbT6_jjT7_P12ihipStream_tbENKUlT_T0_SC_SH_E_clIS7_S7_S7_S7_EEDaSV_SW_SC_SH_EUlSV_E_NS1_11comp_targetILNS1_3genE8ELNS1_11target_archE1030ELNS1_3gpuE2ELNS1_3repE0EEENS1_47radix_sort_onesweep_sort_config_static_selectorELNS0_4arch9wavefront6targetE1EEEvSC_
	.globl	_ZN7rocprim17ROCPRIM_400000_NS6detail17trampoline_kernelINS0_14default_configENS1_35radix_sort_onesweep_config_selectorIiiEEZZNS1_29radix_sort_onesweep_iterationIS3_Lb0EPiS7_S7_S7_jNS0_19identity_decomposerENS1_16block_id_wrapperIjLb1EEEEE10hipError_tT1_PNSt15iterator_traitsISC_E10value_typeET2_T3_PNSD_ISI_E10value_typeET4_T5_PSN_SO_PNS1_23onesweep_lookback_stateEbbT6_jjT7_P12ihipStream_tbENKUlT_T0_SC_SH_E_clIS7_S7_S7_S7_EEDaSV_SW_SC_SH_EUlSV_E_NS1_11comp_targetILNS1_3genE8ELNS1_11target_archE1030ELNS1_3gpuE2ELNS1_3repE0EEENS1_47radix_sort_onesweep_sort_config_static_selectorELNS0_4arch9wavefront6targetE1EEEvSC_
	.p2align	8
	.type	_ZN7rocprim17ROCPRIM_400000_NS6detail17trampoline_kernelINS0_14default_configENS1_35radix_sort_onesweep_config_selectorIiiEEZZNS1_29radix_sort_onesweep_iterationIS3_Lb0EPiS7_S7_S7_jNS0_19identity_decomposerENS1_16block_id_wrapperIjLb1EEEEE10hipError_tT1_PNSt15iterator_traitsISC_E10value_typeET2_T3_PNSD_ISI_E10value_typeET4_T5_PSN_SO_PNS1_23onesweep_lookback_stateEbbT6_jjT7_P12ihipStream_tbENKUlT_T0_SC_SH_E_clIS7_S7_S7_S7_EEDaSV_SW_SC_SH_EUlSV_E_NS1_11comp_targetILNS1_3genE8ELNS1_11target_archE1030ELNS1_3gpuE2ELNS1_3repE0EEENS1_47radix_sort_onesweep_sort_config_static_selectorELNS0_4arch9wavefront6targetE1EEEvSC_,@function
_ZN7rocprim17ROCPRIM_400000_NS6detail17trampoline_kernelINS0_14default_configENS1_35radix_sort_onesweep_config_selectorIiiEEZZNS1_29radix_sort_onesweep_iterationIS3_Lb0EPiS7_S7_S7_jNS0_19identity_decomposerENS1_16block_id_wrapperIjLb1EEEEE10hipError_tT1_PNSt15iterator_traitsISC_E10value_typeET2_T3_PNSD_ISI_E10value_typeET4_T5_PSN_SO_PNS1_23onesweep_lookback_stateEbbT6_jjT7_P12ihipStream_tbENKUlT_T0_SC_SH_E_clIS7_S7_S7_S7_EEDaSV_SW_SC_SH_EUlSV_E_NS1_11comp_targetILNS1_3genE8ELNS1_11target_archE1030ELNS1_3gpuE2ELNS1_3repE0EEENS1_47radix_sort_onesweep_sort_config_static_selectorELNS0_4arch9wavefront6targetE1EEEvSC_: ; @_ZN7rocprim17ROCPRIM_400000_NS6detail17trampoline_kernelINS0_14default_configENS1_35radix_sort_onesweep_config_selectorIiiEEZZNS1_29radix_sort_onesweep_iterationIS3_Lb0EPiS7_S7_S7_jNS0_19identity_decomposerENS1_16block_id_wrapperIjLb1EEEEE10hipError_tT1_PNSt15iterator_traitsISC_E10value_typeET2_T3_PNSD_ISI_E10value_typeET4_T5_PSN_SO_PNS1_23onesweep_lookback_stateEbbT6_jjT7_P12ihipStream_tbENKUlT_T0_SC_SH_E_clIS7_S7_S7_S7_EEDaSV_SW_SC_SH_EUlSV_E_NS1_11comp_targetILNS1_3genE8ELNS1_11target_archE1030ELNS1_3gpuE2ELNS1_3repE0EEENS1_47radix_sort_onesweep_sort_config_static_selectorELNS0_4arch9wavefront6targetE1EEEvSC_
; %bb.0:
	.section	.rodata,"a",@progbits
	.p2align	6, 0x0
	.amdhsa_kernel _ZN7rocprim17ROCPRIM_400000_NS6detail17trampoline_kernelINS0_14default_configENS1_35radix_sort_onesweep_config_selectorIiiEEZZNS1_29radix_sort_onesweep_iterationIS3_Lb0EPiS7_S7_S7_jNS0_19identity_decomposerENS1_16block_id_wrapperIjLb1EEEEE10hipError_tT1_PNSt15iterator_traitsISC_E10value_typeET2_T3_PNSD_ISI_E10value_typeET4_T5_PSN_SO_PNS1_23onesweep_lookback_stateEbbT6_jjT7_P12ihipStream_tbENKUlT_T0_SC_SH_E_clIS7_S7_S7_S7_EEDaSV_SW_SC_SH_EUlSV_E_NS1_11comp_targetILNS1_3genE8ELNS1_11target_archE1030ELNS1_3gpuE2ELNS1_3repE0EEENS1_47radix_sort_onesweep_sort_config_static_selectorELNS0_4arch9wavefront6targetE1EEEvSC_
		.amdhsa_group_segment_fixed_size 0
		.amdhsa_private_segment_fixed_size 0
		.amdhsa_kernarg_size 88
		.amdhsa_user_sgpr_count 6
		.amdhsa_user_sgpr_private_segment_buffer 1
		.amdhsa_user_sgpr_dispatch_ptr 0
		.amdhsa_user_sgpr_queue_ptr 0
		.amdhsa_user_sgpr_kernarg_segment_ptr 1
		.amdhsa_user_sgpr_dispatch_id 0
		.amdhsa_user_sgpr_flat_scratch_init 0
		.amdhsa_user_sgpr_kernarg_preload_length 0
		.amdhsa_user_sgpr_kernarg_preload_offset 0
		.amdhsa_user_sgpr_private_segment_size 0
		.amdhsa_uses_dynamic_stack 0
		.amdhsa_system_sgpr_private_segment_wavefront_offset 0
		.amdhsa_system_sgpr_workgroup_id_x 1
		.amdhsa_system_sgpr_workgroup_id_y 0
		.amdhsa_system_sgpr_workgroup_id_z 0
		.amdhsa_system_sgpr_workgroup_info 0
		.amdhsa_system_vgpr_workitem_id 0
		.amdhsa_next_free_vgpr 1
		.amdhsa_next_free_sgpr 0
		.amdhsa_accum_offset 4
		.amdhsa_reserve_vcc 0
		.amdhsa_reserve_flat_scratch 0
		.amdhsa_float_round_mode_32 0
		.amdhsa_float_round_mode_16_64 0
		.amdhsa_float_denorm_mode_32 3
		.amdhsa_float_denorm_mode_16_64 3
		.amdhsa_dx10_clamp 1
		.amdhsa_ieee_mode 1
		.amdhsa_fp16_overflow 0
		.amdhsa_tg_split 0
		.amdhsa_exception_fp_ieee_invalid_op 0
		.amdhsa_exception_fp_denorm_src 0
		.amdhsa_exception_fp_ieee_div_zero 0
		.amdhsa_exception_fp_ieee_overflow 0
		.amdhsa_exception_fp_ieee_underflow 0
		.amdhsa_exception_fp_ieee_inexact 0
		.amdhsa_exception_int_div_zero 0
	.end_amdhsa_kernel
	.section	.text._ZN7rocprim17ROCPRIM_400000_NS6detail17trampoline_kernelINS0_14default_configENS1_35radix_sort_onesweep_config_selectorIiiEEZZNS1_29radix_sort_onesweep_iterationIS3_Lb0EPiS7_S7_S7_jNS0_19identity_decomposerENS1_16block_id_wrapperIjLb1EEEEE10hipError_tT1_PNSt15iterator_traitsISC_E10value_typeET2_T3_PNSD_ISI_E10value_typeET4_T5_PSN_SO_PNS1_23onesweep_lookback_stateEbbT6_jjT7_P12ihipStream_tbENKUlT_T0_SC_SH_E_clIS7_S7_S7_S7_EEDaSV_SW_SC_SH_EUlSV_E_NS1_11comp_targetILNS1_3genE8ELNS1_11target_archE1030ELNS1_3gpuE2ELNS1_3repE0EEENS1_47radix_sort_onesweep_sort_config_static_selectorELNS0_4arch9wavefront6targetE1EEEvSC_,"axG",@progbits,_ZN7rocprim17ROCPRIM_400000_NS6detail17trampoline_kernelINS0_14default_configENS1_35radix_sort_onesweep_config_selectorIiiEEZZNS1_29radix_sort_onesweep_iterationIS3_Lb0EPiS7_S7_S7_jNS0_19identity_decomposerENS1_16block_id_wrapperIjLb1EEEEE10hipError_tT1_PNSt15iterator_traitsISC_E10value_typeET2_T3_PNSD_ISI_E10value_typeET4_T5_PSN_SO_PNS1_23onesweep_lookback_stateEbbT6_jjT7_P12ihipStream_tbENKUlT_T0_SC_SH_E_clIS7_S7_S7_S7_EEDaSV_SW_SC_SH_EUlSV_E_NS1_11comp_targetILNS1_3genE8ELNS1_11target_archE1030ELNS1_3gpuE2ELNS1_3repE0EEENS1_47radix_sort_onesweep_sort_config_static_selectorELNS0_4arch9wavefront6targetE1EEEvSC_,comdat
.Lfunc_end375:
	.size	_ZN7rocprim17ROCPRIM_400000_NS6detail17trampoline_kernelINS0_14default_configENS1_35radix_sort_onesweep_config_selectorIiiEEZZNS1_29radix_sort_onesweep_iterationIS3_Lb0EPiS7_S7_S7_jNS0_19identity_decomposerENS1_16block_id_wrapperIjLb1EEEEE10hipError_tT1_PNSt15iterator_traitsISC_E10value_typeET2_T3_PNSD_ISI_E10value_typeET4_T5_PSN_SO_PNS1_23onesweep_lookback_stateEbbT6_jjT7_P12ihipStream_tbENKUlT_T0_SC_SH_E_clIS7_S7_S7_S7_EEDaSV_SW_SC_SH_EUlSV_E_NS1_11comp_targetILNS1_3genE8ELNS1_11target_archE1030ELNS1_3gpuE2ELNS1_3repE0EEENS1_47radix_sort_onesweep_sort_config_static_selectorELNS0_4arch9wavefront6targetE1EEEvSC_, .Lfunc_end375-_ZN7rocprim17ROCPRIM_400000_NS6detail17trampoline_kernelINS0_14default_configENS1_35radix_sort_onesweep_config_selectorIiiEEZZNS1_29radix_sort_onesweep_iterationIS3_Lb0EPiS7_S7_S7_jNS0_19identity_decomposerENS1_16block_id_wrapperIjLb1EEEEE10hipError_tT1_PNSt15iterator_traitsISC_E10value_typeET2_T3_PNSD_ISI_E10value_typeET4_T5_PSN_SO_PNS1_23onesweep_lookback_stateEbbT6_jjT7_P12ihipStream_tbENKUlT_T0_SC_SH_E_clIS7_S7_S7_S7_EEDaSV_SW_SC_SH_EUlSV_E_NS1_11comp_targetILNS1_3genE8ELNS1_11target_archE1030ELNS1_3gpuE2ELNS1_3repE0EEENS1_47radix_sort_onesweep_sort_config_static_selectorELNS0_4arch9wavefront6targetE1EEEvSC_
                                        ; -- End function
	.section	.AMDGPU.csdata,"",@progbits
; Kernel info:
; codeLenInByte = 0
; NumSgprs: 4
; NumVgprs: 0
; NumAgprs: 0
; TotalNumVgprs: 0
; ScratchSize: 0
; MemoryBound: 0
; FloatMode: 240
; IeeeMode: 1
; LDSByteSize: 0 bytes/workgroup (compile time only)
; SGPRBlocks: 0
; VGPRBlocks: 0
; NumSGPRsForWavesPerEU: 4
; NumVGPRsForWavesPerEU: 1
; AccumOffset: 4
; Occupancy: 8
; WaveLimiterHint : 0
; COMPUTE_PGM_RSRC2:SCRATCH_EN: 0
; COMPUTE_PGM_RSRC2:USER_SGPR: 6
; COMPUTE_PGM_RSRC2:TRAP_HANDLER: 0
; COMPUTE_PGM_RSRC2:TGID_X_EN: 1
; COMPUTE_PGM_RSRC2:TGID_Y_EN: 0
; COMPUTE_PGM_RSRC2:TGID_Z_EN: 0
; COMPUTE_PGM_RSRC2:TIDIG_COMP_CNT: 0
; COMPUTE_PGM_RSRC3_GFX90A:ACCUM_OFFSET: 0
; COMPUTE_PGM_RSRC3_GFX90A:TG_SPLIT: 0
	.section	.text._ZN7rocprim17ROCPRIM_400000_NS6detail17trampoline_kernelINS0_14default_configENS1_35radix_sort_onesweep_config_selectorIiiEEZZNS1_29radix_sort_onesweep_iterationIS3_Lb0EPiS7_S7_S7_jNS0_19identity_decomposerENS1_16block_id_wrapperIjLb0EEEEE10hipError_tT1_PNSt15iterator_traitsISC_E10value_typeET2_T3_PNSD_ISI_E10value_typeET4_T5_PSN_SO_PNS1_23onesweep_lookback_stateEbbT6_jjT7_P12ihipStream_tbENKUlT_T0_SC_SH_E_clIS7_S7_S7_S7_EEDaSV_SW_SC_SH_EUlSV_E_NS1_11comp_targetILNS1_3genE0ELNS1_11target_archE4294967295ELNS1_3gpuE0ELNS1_3repE0EEENS1_47radix_sort_onesweep_sort_config_static_selectorELNS0_4arch9wavefront6targetE1EEEvSC_,"axG",@progbits,_ZN7rocprim17ROCPRIM_400000_NS6detail17trampoline_kernelINS0_14default_configENS1_35radix_sort_onesweep_config_selectorIiiEEZZNS1_29radix_sort_onesweep_iterationIS3_Lb0EPiS7_S7_S7_jNS0_19identity_decomposerENS1_16block_id_wrapperIjLb0EEEEE10hipError_tT1_PNSt15iterator_traitsISC_E10value_typeET2_T3_PNSD_ISI_E10value_typeET4_T5_PSN_SO_PNS1_23onesweep_lookback_stateEbbT6_jjT7_P12ihipStream_tbENKUlT_T0_SC_SH_E_clIS7_S7_S7_S7_EEDaSV_SW_SC_SH_EUlSV_E_NS1_11comp_targetILNS1_3genE0ELNS1_11target_archE4294967295ELNS1_3gpuE0ELNS1_3repE0EEENS1_47radix_sort_onesweep_sort_config_static_selectorELNS0_4arch9wavefront6targetE1EEEvSC_,comdat
	.protected	_ZN7rocprim17ROCPRIM_400000_NS6detail17trampoline_kernelINS0_14default_configENS1_35radix_sort_onesweep_config_selectorIiiEEZZNS1_29radix_sort_onesweep_iterationIS3_Lb0EPiS7_S7_S7_jNS0_19identity_decomposerENS1_16block_id_wrapperIjLb0EEEEE10hipError_tT1_PNSt15iterator_traitsISC_E10value_typeET2_T3_PNSD_ISI_E10value_typeET4_T5_PSN_SO_PNS1_23onesweep_lookback_stateEbbT6_jjT7_P12ihipStream_tbENKUlT_T0_SC_SH_E_clIS7_S7_S7_S7_EEDaSV_SW_SC_SH_EUlSV_E_NS1_11comp_targetILNS1_3genE0ELNS1_11target_archE4294967295ELNS1_3gpuE0ELNS1_3repE0EEENS1_47radix_sort_onesweep_sort_config_static_selectorELNS0_4arch9wavefront6targetE1EEEvSC_ ; -- Begin function _ZN7rocprim17ROCPRIM_400000_NS6detail17trampoline_kernelINS0_14default_configENS1_35radix_sort_onesweep_config_selectorIiiEEZZNS1_29radix_sort_onesweep_iterationIS3_Lb0EPiS7_S7_S7_jNS0_19identity_decomposerENS1_16block_id_wrapperIjLb0EEEEE10hipError_tT1_PNSt15iterator_traitsISC_E10value_typeET2_T3_PNSD_ISI_E10value_typeET4_T5_PSN_SO_PNS1_23onesweep_lookback_stateEbbT6_jjT7_P12ihipStream_tbENKUlT_T0_SC_SH_E_clIS7_S7_S7_S7_EEDaSV_SW_SC_SH_EUlSV_E_NS1_11comp_targetILNS1_3genE0ELNS1_11target_archE4294967295ELNS1_3gpuE0ELNS1_3repE0EEENS1_47radix_sort_onesweep_sort_config_static_selectorELNS0_4arch9wavefront6targetE1EEEvSC_
	.globl	_ZN7rocprim17ROCPRIM_400000_NS6detail17trampoline_kernelINS0_14default_configENS1_35radix_sort_onesweep_config_selectorIiiEEZZNS1_29radix_sort_onesweep_iterationIS3_Lb0EPiS7_S7_S7_jNS0_19identity_decomposerENS1_16block_id_wrapperIjLb0EEEEE10hipError_tT1_PNSt15iterator_traitsISC_E10value_typeET2_T3_PNSD_ISI_E10value_typeET4_T5_PSN_SO_PNS1_23onesweep_lookback_stateEbbT6_jjT7_P12ihipStream_tbENKUlT_T0_SC_SH_E_clIS7_S7_S7_S7_EEDaSV_SW_SC_SH_EUlSV_E_NS1_11comp_targetILNS1_3genE0ELNS1_11target_archE4294967295ELNS1_3gpuE0ELNS1_3repE0EEENS1_47radix_sort_onesweep_sort_config_static_selectorELNS0_4arch9wavefront6targetE1EEEvSC_
	.p2align	8
	.type	_ZN7rocprim17ROCPRIM_400000_NS6detail17trampoline_kernelINS0_14default_configENS1_35radix_sort_onesweep_config_selectorIiiEEZZNS1_29radix_sort_onesweep_iterationIS3_Lb0EPiS7_S7_S7_jNS0_19identity_decomposerENS1_16block_id_wrapperIjLb0EEEEE10hipError_tT1_PNSt15iterator_traitsISC_E10value_typeET2_T3_PNSD_ISI_E10value_typeET4_T5_PSN_SO_PNS1_23onesweep_lookback_stateEbbT6_jjT7_P12ihipStream_tbENKUlT_T0_SC_SH_E_clIS7_S7_S7_S7_EEDaSV_SW_SC_SH_EUlSV_E_NS1_11comp_targetILNS1_3genE0ELNS1_11target_archE4294967295ELNS1_3gpuE0ELNS1_3repE0EEENS1_47radix_sort_onesweep_sort_config_static_selectorELNS0_4arch9wavefront6targetE1EEEvSC_,@function
_ZN7rocprim17ROCPRIM_400000_NS6detail17trampoline_kernelINS0_14default_configENS1_35radix_sort_onesweep_config_selectorIiiEEZZNS1_29radix_sort_onesweep_iterationIS3_Lb0EPiS7_S7_S7_jNS0_19identity_decomposerENS1_16block_id_wrapperIjLb0EEEEE10hipError_tT1_PNSt15iterator_traitsISC_E10value_typeET2_T3_PNSD_ISI_E10value_typeET4_T5_PSN_SO_PNS1_23onesweep_lookback_stateEbbT6_jjT7_P12ihipStream_tbENKUlT_T0_SC_SH_E_clIS7_S7_S7_S7_EEDaSV_SW_SC_SH_EUlSV_E_NS1_11comp_targetILNS1_3genE0ELNS1_11target_archE4294967295ELNS1_3gpuE0ELNS1_3repE0EEENS1_47radix_sort_onesweep_sort_config_static_selectorELNS0_4arch9wavefront6targetE1EEEvSC_: ; @_ZN7rocprim17ROCPRIM_400000_NS6detail17trampoline_kernelINS0_14default_configENS1_35radix_sort_onesweep_config_selectorIiiEEZZNS1_29radix_sort_onesweep_iterationIS3_Lb0EPiS7_S7_S7_jNS0_19identity_decomposerENS1_16block_id_wrapperIjLb0EEEEE10hipError_tT1_PNSt15iterator_traitsISC_E10value_typeET2_T3_PNSD_ISI_E10value_typeET4_T5_PSN_SO_PNS1_23onesweep_lookback_stateEbbT6_jjT7_P12ihipStream_tbENKUlT_T0_SC_SH_E_clIS7_S7_S7_S7_EEDaSV_SW_SC_SH_EUlSV_E_NS1_11comp_targetILNS1_3genE0ELNS1_11target_archE4294967295ELNS1_3gpuE0ELNS1_3repE0EEENS1_47radix_sort_onesweep_sort_config_static_selectorELNS0_4arch9wavefront6targetE1EEEvSC_
; %bb.0:
	.section	.rodata,"a",@progbits
	.p2align	6, 0x0
	.amdhsa_kernel _ZN7rocprim17ROCPRIM_400000_NS6detail17trampoline_kernelINS0_14default_configENS1_35radix_sort_onesweep_config_selectorIiiEEZZNS1_29radix_sort_onesweep_iterationIS3_Lb0EPiS7_S7_S7_jNS0_19identity_decomposerENS1_16block_id_wrapperIjLb0EEEEE10hipError_tT1_PNSt15iterator_traitsISC_E10value_typeET2_T3_PNSD_ISI_E10value_typeET4_T5_PSN_SO_PNS1_23onesweep_lookback_stateEbbT6_jjT7_P12ihipStream_tbENKUlT_T0_SC_SH_E_clIS7_S7_S7_S7_EEDaSV_SW_SC_SH_EUlSV_E_NS1_11comp_targetILNS1_3genE0ELNS1_11target_archE4294967295ELNS1_3gpuE0ELNS1_3repE0EEENS1_47radix_sort_onesweep_sort_config_static_selectorELNS0_4arch9wavefront6targetE1EEEvSC_
		.amdhsa_group_segment_fixed_size 0
		.amdhsa_private_segment_fixed_size 0
		.amdhsa_kernarg_size 88
		.amdhsa_user_sgpr_count 6
		.amdhsa_user_sgpr_private_segment_buffer 1
		.amdhsa_user_sgpr_dispatch_ptr 0
		.amdhsa_user_sgpr_queue_ptr 0
		.amdhsa_user_sgpr_kernarg_segment_ptr 1
		.amdhsa_user_sgpr_dispatch_id 0
		.amdhsa_user_sgpr_flat_scratch_init 0
		.amdhsa_user_sgpr_kernarg_preload_length 0
		.amdhsa_user_sgpr_kernarg_preload_offset 0
		.amdhsa_user_sgpr_private_segment_size 0
		.amdhsa_uses_dynamic_stack 0
		.amdhsa_system_sgpr_private_segment_wavefront_offset 0
		.amdhsa_system_sgpr_workgroup_id_x 1
		.amdhsa_system_sgpr_workgroup_id_y 0
		.amdhsa_system_sgpr_workgroup_id_z 0
		.amdhsa_system_sgpr_workgroup_info 0
		.amdhsa_system_vgpr_workitem_id 0
		.amdhsa_next_free_vgpr 1
		.amdhsa_next_free_sgpr 0
		.amdhsa_accum_offset 4
		.amdhsa_reserve_vcc 0
		.amdhsa_reserve_flat_scratch 0
		.amdhsa_float_round_mode_32 0
		.amdhsa_float_round_mode_16_64 0
		.amdhsa_float_denorm_mode_32 3
		.amdhsa_float_denorm_mode_16_64 3
		.amdhsa_dx10_clamp 1
		.amdhsa_ieee_mode 1
		.amdhsa_fp16_overflow 0
		.amdhsa_tg_split 0
		.amdhsa_exception_fp_ieee_invalid_op 0
		.amdhsa_exception_fp_denorm_src 0
		.amdhsa_exception_fp_ieee_div_zero 0
		.amdhsa_exception_fp_ieee_overflow 0
		.amdhsa_exception_fp_ieee_underflow 0
		.amdhsa_exception_fp_ieee_inexact 0
		.amdhsa_exception_int_div_zero 0
	.end_amdhsa_kernel
	.section	.text._ZN7rocprim17ROCPRIM_400000_NS6detail17trampoline_kernelINS0_14default_configENS1_35radix_sort_onesweep_config_selectorIiiEEZZNS1_29radix_sort_onesweep_iterationIS3_Lb0EPiS7_S7_S7_jNS0_19identity_decomposerENS1_16block_id_wrapperIjLb0EEEEE10hipError_tT1_PNSt15iterator_traitsISC_E10value_typeET2_T3_PNSD_ISI_E10value_typeET4_T5_PSN_SO_PNS1_23onesweep_lookback_stateEbbT6_jjT7_P12ihipStream_tbENKUlT_T0_SC_SH_E_clIS7_S7_S7_S7_EEDaSV_SW_SC_SH_EUlSV_E_NS1_11comp_targetILNS1_3genE0ELNS1_11target_archE4294967295ELNS1_3gpuE0ELNS1_3repE0EEENS1_47radix_sort_onesweep_sort_config_static_selectorELNS0_4arch9wavefront6targetE1EEEvSC_,"axG",@progbits,_ZN7rocprim17ROCPRIM_400000_NS6detail17trampoline_kernelINS0_14default_configENS1_35radix_sort_onesweep_config_selectorIiiEEZZNS1_29radix_sort_onesweep_iterationIS3_Lb0EPiS7_S7_S7_jNS0_19identity_decomposerENS1_16block_id_wrapperIjLb0EEEEE10hipError_tT1_PNSt15iterator_traitsISC_E10value_typeET2_T3_PNSD_ISI_E10value_typeET4_T5_PSN_SO_PNS1_23onesweep_lookback_stateEbbT6_jjT7_P12ihipStream_tbENKUlT_T0_SC_SH_E_clIS7_S7_S7_S7_EEDaSV_SW_SC_SH_EUlSV_E_NS1_11comp_targetILNS1_3genE0ELNS1_11target_archE4294967295ELNS1_3gpuE0ELNS1_3repE0EEENS1_47radix_sort_onesweep_sort_config_static_selectorELNS0_4arch9wavefront6targetE1EEEvSC_,comdat
.Lfunc_end376:
	.size	_ZN7rocprim17ROCPRIM_400000_NS6detail17trampoline_kernelINS0_14default_configENS1_35radix_sort_onesweep_config_selectorIiiEEZZNS1_29radix_sort_onesweep_iterationIS3_Lb0EPiS7_S7_S7_jNS0_19identity_decomposerENS1_16block_id_wrapperIjLb0EEEEE10hipError_tT1_PNSt15iterator_traitsISC_E10value_typeET2_T3_PNSD_ISI_E10value_typeET4_T5_PSN_SO_PNS1_23onesweep_lookback_stateEbbT6_jjT7_P12ihipStream_tbENKUlT_T0_SC_SH_E_clIS7_S7_S7_S7_EEDaSV_SW_SC_SH_EUlSV_E_NS1_11comp_targetILNS1_3genE0ELNS1_11target_archE4294967295ELNS1_3gpuE0ELNS1_3repE0EEENS1_47radix_sort_onesweep_sort_config_static_selectorELNS0_4arch9wavefront6targetE1EEEvSC_, .Lfunc_end376-_ZN7rocprim17ROCPRIM_400000_NS6detail17trampoline_kernelINS0_14default_configENS1_35radix_sort_onesweep_config_selectorIiiEEZZNS1_29radix_sort_onesweep_iterationIS3_Lb0EPiS7_S7_S7_jNS0_19identity_decomposerENS1_16block_id_wrapperIjLb0EEEEE10hipError_tT1_PNSt15iterator_traitsISC_E10value_typeET2_T3_PNSD_ISI_E10value_typeET4_T5_PSN_SO_PNS1_23onesweep_lookback_stateEbbT6_jjT7_P12ihipStream_tbENKUlT_T0_SC_SH_E_clIS7_S7_S7_S7_EEDaSV_SW_SC_SH_EUlSV_E_NS1_11comp_targetILNS1_3genE0ELNS1_11target_archE4294967295ELNS1_3gpuE0ELNS1_3repE0EEENS1_47radix_sort_onesweep_sort_config_static_selectorELNS0_4arch9wavefront6targetE1EEEvSC_
                                        ; -- End function
	.section	.AMDGPU.csdata,"",@progbits
; Kernel info:
; codeLenInByte = 0
; NumSgprs: 4
; NumVgprs: 0
; NumAgprs: 0
; TotalNumVgprs: 0
; ScratchSize: 0
; MemoryBound: 0
; FloatMode: 240
; IeeeMode: 1
; LDSByteSize: 0 bytes/workgroup (compile time only)
; SGPRBlocks: 0
; VGPRBlocks: 0
; NumSGPRsForWavesPerEU: 4
; NumVGPRsForWavesPerEU: 1
; AccumOffset: 4
; Occupancy: 8
; WaveLimiterHint : 0
; COMPUTE_PGM_RSRC2:SCRATCH_EN: 0
; COMPUTE_PGM_RSRC2:USER_SGPR: 6
; COMPUTE_PGM_RSRC2:TRAP_HANDLER: 0
; COMPUTE_PGM_RSRC2:TGID_X_EN: 1
; COMPUTE_PGM_RSRC2:TGID_Y_EN: 0
; COMPUTE_PGM_RSRC2:TGID_Z_EN: 0
; COMPUTE_PGM_RSRC2:TIDIG_COMP_CNT: 0
; COMPUTE_PGM_RSRC3_GFX90A:ACCUM_OFFSET: 0
; COMPUTE_PGM_RSRC3_GFX90A:TG_SPLIT: 0
	.section	.text._ZN7rocprim17ROCPRIM_400000_NS6detail17trampoline_kernelINS0_14default_configENS1_35radix_sort_onesweep_config_selectorIiiEEZZNS1_29radix_sort_onesweep_iterationIS3_Lb0EPiS7_S7_S7_jNS0_19identity_decomposerENS1_16block_id_wrapperIjLb0EEEEE10hipError_tT1_PNSt15iterator_traitsISC_E10value_typeET2_T3_PNSD_ISI_E10value_typeET4_T5_PSN_SO_PNS1_23onesweep_lookback_stateEbbT6_jjT7_P12ihipStream_tbENKUlT_T0_SC_SH_E_clIS7_S7_S7_S7_EEDaSV_SW_SC_SH_EUlSV_E_NS1_11comp_targetILNS1_3genE6ELNS1_11target_archE950ELNS1_3gpuE13ELNS1_3repE0EEENS1_47radix_sort_onesweep_sort_config_static_selectorELNS0_4arch9wavefront6targetE1EEEvSC_,"axG",@progbits,_ZN7rocprim17ROCPRIM_400000_NS6detail17trampoline_kernelINS0_14default_configENS1_35radix_sort_onesweep_config_selectorIiiEEZZNS1_29radix_sort_onesweep_iterationIS3_Lb0EPiS7_S7_S7_jNS0_19identity_decomposerENS1_16block_id_wrapperIjLb0EEEEE10hipError_tT1_PNSt15iterator_traitsISC_E10value_typeET2_T3_PNSD_ISI_E10value_typeET4_T5_PSN_SO_PNS1_23onesweep_lookback_stateEbbT6_jjT7_P12ihipStream_tbENKUlT_T0_SC_SH_E_clIS7_S7_S7_S7_EEDaSV_SW_SC_SH_EUlSV_E_NS1_11comp_targetILNS1_3genE6ELNS1_11target_archE950ELNS1_3gpuE13ELNS1_3repE0EEENS1_47radix_sort_onesweep_sort_config_static_selectorELNS0_4arch9wavefront6targetE1EEEvSC_,comdat
	.protected	_ZN7rocprim17ROCPRIM_400000_NS6detail17trampoline_kernelINS0_14default_configENS1_35radix_sort_onesweep_config_selectorIiiEEZZNS1_29radix_sort_onesweep_iterationIS3_Lb0EPiS7_S7_S7_jNS0_19identity_decomposerENS1_16block_id_wrapperIjLb0EEEEE10hipError_tT1_PNSt15iterator_traitsISC_E10value_typeET2_T3_PNSD_ISI_E10value_typeET4_T5_PSN_SO_PNS1_23onesweep_lookback_stateEbbT6_jjT7_P12ihipStream_tbENKUlT_T0_SC_SH_E_clIS7_S7_S7_S7_EEDaSV_SW_SC_SH_EUlSV_E_NS1_11comp_targetILNS1_3genE6ELNS1_11target_archE950ELNS1_3gpuE13ELNS1_3repE0EEENS1_47radix_sort_onesweep_sort_config_static_selectorELNS0_4arch9wavefront6targetE1EEEvSC_ ; -- Begin function _ZN7rocprim17ROCPRIM_400000_NS6detail17trampoline_kernelINS0_14default_configENS1_35radix_sort_onesweep_config_selectorIiiEEZZNS1_29radix_sort_onesweep_iterationIS3_Lb0EPiS7_S7_S7_jNS0_19identity_decomposerENS1_16block_id_wrapperIjLb0EEEEE10hipError_tT1_PNSt15iterator_traitsISC_E10value_typeET2_T3_PNSD_ISI_E10value_typeET4_T5_PSN_SO_PNS1_23onesweep_lookback_stateEbbT6_jjT7_P12ihipStream_tbENKUlT_T0_SC_SH_E_clIS7_S7_S7_S7_EEDaSV_SW_SC_SH_EUlSV_E_NS1_11comp_targetILNS1_3genE6ELNS1_11target_archE950ELNS1_3gpuE13ELNS1_3repE0EEENS1_47radix_sort_onesweep_sort_config_static_selectorELNS0_4arch9wavefront6targetE1EEEvSC_
	.globl	_ZN7rocprim17ROCPRIM_400000_NS6detail17trampoline_kernelINS0_14default_configENS1_35radix_sort_onesweep_config_selectorIiiEEZZNS1_29radix_sort_onesweep_iterationIS3_Lb0EPiS7_S7_S7_jNS0_19identity_decomposerENS1_16block_id_wrapperIjLb0EEEEE10hipError_tT1_PNSt15iterator_traitsISC_E10value_typeET2_T3_PNSD_ISI_E10value_typeET4_T5_PSN_SO_PNS1_23onesweep_lookback_stateEbbT6_jjT7_P12ihipStream_tbENKUlT_T0_SC_SH_E_clIS7_S7_S7_S7_EEDaSV_SW_SC_SH_EUlSV_E_NS1_11comp_targetILNS1_3genE6ELNS1_11target_archE950ELNS1_3gpuE13ELNS1_3repE0EEENS1_47radix_sort_onesweep_sort_config_static_selectorELNS0_4arch9wavefront6targetE1EEEvSC_
	.p2align	8
	.type	_ZN7rocprim17ROCPRIM_400000_NS6detail17trampoline_kernelINS0_14default_configENS1_35radix_sort_onesweep_config_selectorIiiEEZZNS1_29radix_sort_onesweep_iterationIS3_Lb0EPiS7_S7_S7_jNS0_19identity_decomposerENS1_16block_id_wrapperIjLb0EEEEE10hipError_tT1_PNSt15iterator_traitsISC_E10value_typeET2_T3_PNSD_ISI_E10value_typeET4_T5_PSN_SO_PNS1_23onesweep_lookback_stateEbbT6_jjT7_P12ihipStream_tbENKUlT_T0_SC_SH_E_clIS7_S7_S7_S7_EEDaSV_SW_SC_SH_EUlSV_E_NS1_11comp_targetILNS1_3genE6ELNS1_11target_archE950ELNS1_3gpuE13ELNS1_3repE0EEENS1_47radix_sort_onesweep_sort_config_static_selectorELNS0_4arch9wavefront6targetE1EEEvSC_,@function
_ZN7rocprim17ROCPRIM_400000_NS6detail17trampoline_kernelINS0_14default_configENS1_35radix_sort_onesweep_config_selectorIiiEEZZNS1_29radix_sort_onesweep_iterationIS3_Lb0EPiS7_S7_S7_jNS0_19identity_decomposerENS1_16block_id_wrapperIjLb0EEEEE10hipError_tT1_PNSt15iterator_traitsISC_E10value_typeET2_T3_PNSD_ISI_E10value_typeET4_T5_PSN_SO_PNS1_23onesweep_lookback_stateEbbT6_jjT7_P12ihipStream_tbENKUlT_T0_SC_SH_E_clIS7_S7_S7_S7_EEDaSV_SW_SC_SH_EUlSV_E_NS1_11comp_targetILNS1_3genE6ELNS1_11target_archE950ELNS1_3gpuE13ELNS1_3repE0EEENS1_47radix_sort_onesweep_sort_config_static_selectorELNS0_4arch9wavefront6targetE1EEEvSC_: ; @_ZN7rocprim17ROCPRIM_400000_NS6detail17trampoline_kernelINS0_14default_configENS1_35radix_sort_onesweep_config_selectorIiiEEZZNS1_29radix_sort_onesweep_iterationIS3_Lb0EPiS7_S7_S7_jNS0_19identity_decomposerENS1_16block_id_wrapperIjLb0EEEEE10hipError_tT1_PNSt15iterator_traitsISC_E10value_typeET2_T3_PNSD_ISI_E10value_typeET4_T5_PSN_SO_PNS1_23onesweep_lookback_stateEbbT6_jjT7_P12ihipStream_tbENKUlT_T0_SC_SH_E_clIS7_S7_S7_S7_EEDaSV_SW_SC_SH_EUlSV_E_NS1_11comp_targetILNS1_3genE6ELNS1_11target_archE950ELNS1_3gpuE13ELNS1_3repE0EEENS1_47radix_sort_onesweep_sort_config_static_selectorELNS0_4arch9wavefront6targetE1EEEvSC_
; %bb.0:
	.section	.rodata,"a",@progbits
	.p2align	6, 0x0
	.amdhsa_kernel _ZN7rocprim17ROCPRIM_400000_NS6detail17trampoline_kernelINS0_14default_configENS1_35radix_sort_onesweep_config_selectorIiiEEZZNS1_29radix_sort_onesweep_iterationIS3_Lb0EPiS7_S7_S7_jNS0_19identity_decomposerENS1_16block_id_wrapperIjLb0EEEEE10hipError_tT1_PNSt15iterator_traitsISC_E10value_typeET2_T3_PNSD_ISI_E10value_typeET4_T5_PSN_SO_PNS1_23onesweep_lookback_stateEbbT6_jjT7_P12ihipStream_tbENKUlT_T0_SC_SH_E_clIS7_S7_S7_S7_EEDaSV_SW_SC_SH_EUlSV_E_NS1_11comp_targetILNS1_3genE6ELNS1_11target_archE950ELNS1_3gpuE13ELNS1_3repE0EEENS1_47radix_sort_onesweep_sort_config_static_selectorELNS0_4arch9wavefront6targetE1EEEvSC_
		.amdhsa_group_segment_fixed_size 0
		.amdhsa_private_segment_fixed_size 0
		.amdhsa_kernarg_size 88
		.amdhsa_user_sgpr_count 6
		.amdhsa_user_sgpr_private_segment_buffer 1
		.amdhsa_user_sgpr_dispatch_ptr 0
		.amdhsa_user_sgpr_queue_ptr 0
		.amdhsa_user_sgpr_kernarg_segment_ptr 1
		.amdhsa_user_sgpr_dispatch_id 0
		.amdhsa_user_sgpr_flat_scratch_init 0
		.amdhsa_user_sgpr_kernarg_preload_length 0
		.amdhsa_user_sgpr_kernarg_preload_offset 0
		.amdhsa_user_sgpr_private_segment_size 0
		.amdhsa_uses_dynamic_stack 0
		.amdhsa_system_sgpr_private_segment_wavefront_offset 0
		.amdhsa_system_sgpr_workgroup_id_x 1
		.amdhsa_system_sgpr_workgroup_id_y 0
		.amdhsa_system_sgpr_workgroup_id_z 0
		.amdhsa_system_sgpr_workgroup_info 0
		.amdhsa_system_vgpr_workitem_id 0
		.amdhsa_next_free_vgpr 1
		.amdhsa_next_free_sgpr 0
		.amdhsa_accum_offset 4
		.amdhsa_reserve_vcc 0
		.amdhsa_reserve_flat_scratch 0
		.amdhsa_float_round_mode_32 0
		.amdhsa_float_round_mode_16_64 0
		.amdhsa_float_denorm_mode_32 3
		.amdhsa_float_denorm_mode_16_64 3
		.amdhsa_dx10_clamp 1
		.amdhsa_ieee_mode 1
		.amdhsa_fp16_overflow 0
		.amdhsa_tg_split 0
		.amdhsa_exception_fp_ieee_invalid_op 0
		.amdhsa_exception_fp_denorm_src 0
		.amdhsa_exception_fp_ieee_div_zero 0
		.amdhsa_exception_fp_ieee_overflow 0
		.amdhsa_exception_fp_ieee_underflow 0
		.amdhsa_exception_fp_ieee_inexact 0
		.amdhsa_exception_int_div_zero 0
	.end_amdhsa_kernel
	.section	.text._ZN7rocprim17ROCPRIM_400000_NS6detail17trampoline_kernelINS0_14default_configENS1_35radix_sort_onesweep_config_selectorIiiEEZZNS1_29radix_sort_onesweep_iterationIS3_Lb0EPiS7_S7_S7_jNS0_19identity_decomposerENS1_16block_id_wrapperIjLb0EEEEE10hipError_tT1_PNSt15iterator_traitsISC_E10value_typeET2_T3_PNSD_ISI_E10value_typeET4_T5_PSN_SO_PNS1_23onesweep_lookback_stateEbbT6_jjT7_P12ihipStream_tbENKUlT_T0_SC_SH_E_clIS7_S7_S7_S7_EEDaSV_SW_SC_SH_EUlSV_E_NS1_11comp_targetILNS1_3genE6ELNS1_11target_archE950ELNS1_3gpuE13ELNS1_3repE0EEENS1_47radix_sort_onesweep_sort_config_static_selectorELNS0_4arch9wavefront6targetE1EEEvSC_,"axG",@progbits,_ZN7rocprim17ROCPRIM_400000_NS6detail17trampoline_kernelINS0_14default_configENS1_35radix_sort_onesweep_config_selectorIiiEEZZNS1_29radix_sort_onesweep_iterationIS3_Lb0EPiS7_S7_S7_jNS0_19identity_decomposerENS1_16block_id_wrapperIjLb0EEEEE10hipError_tT1_PNSt15iterator_traitsISC_E10value_typeET2_T3_PNSD_ISI_E10value_typeET4_T5_PSN_SO_PNS1_23onesweep_lookback_stateEbbT6_jjT7_P12ihipStream_tbENKUlT_T0_SC_SH_E_clIS7_S7_S7_S7_EEDaSV_SW_SC_SH_EUlSV_E_NS1_11comp_targetILNS1_3genE6ELNS1_11target_archE950ELNS1_3gpuE13ELNS1_3repE0EEENS1_47radix_sort_onesweep_sort_config_static_selectorELNS0_4arch9wavefront6targetE1EEEvSC_,comdat
.Lfunc_end377:
	.size	_ZN7rocprim17ROCPRIM_400000_NS6detail17trampoline_kernelINS0_14default_configENS1_35radix_sort_onesweep_config_selectorIiiEEZZNS1_29radix_sort_onesweep_iterationIS3_Lb0EPiS7_S7_S7_jNS0_19identity_decomposerENS1_16block_id_wrapperIjLb0EEEEE10hipError_tT1_PNSt15iterator_traitsISC_E10value_typeET2_T3_PNSD_ISI_E10value_typeET4_T5_PSN_SO_PNS1_23onesweep_lookback_stateEbbT6_jjT7_P12ihipStream_tbENKUlT_T0_SC_SH_E_clIS7_S7_S7_S7_EEDaSV_SW_SC_SH_EUlSV_E_NS1_11comp_targetILNS1_3genE6ELNS1_11target_archE950ELNS1_3gpuE13ELNS1_3repE0EEENS1_47radix_sort_onesweep_sort_config_static_selectorELNS0_4arch9wavefront6targetE1EEEvSC_, .Lfunc_end377-_ZN7rocprim17ROCPRIM_400000_NS6detail17trampoline_kernelINS0_14default_configENS1_35radix_sort_onesweep_config_selectorIiiEEZZNS1_29radix_sort_onesweep_iterationIS3_Lb0EPiS7_S7_S7_jNS0_19identity_decomposerENS1_16block_id_wrapperIjLb0EEEEE10hipError_tT1_PNSt15iterator_traitsISC_E10value_typeET2_T3_PNSD_ISI_E10value_typeET4_T5_PSN_SO_PNS1_23onesweep_lookback_stateEbbT6_jjT7_P12ihipStream_tbENKUlT_T0_SC_SH_E_clIS7_S7_S7_S7_EEDaSV_SW_SC_SH_EUlSV_E_NS1_11comp_targetILNS1_3genE6ELNS1_11target_archE950ELNS1_3gpuE13ELNS1_3repE0EEENS1_47radix_sort_onesweep_sort_config_static_selectorELNS0_4arch9wavefront6targetE1EEEvSC_
                                        ; -- End function
	.section	.AMDGPU.csdata,"",@progbits
; Kernel info:
; codeLenInByte = 0
; NumSgprs: 4
; NumVgprs: 0
; NumAgprs: 0
; TotalNumVgprs: 0
; ScratchSize: 0
; MemoryBound: 0
; FloatMode: 240
; IeeeMode: 1
; LDSByteSize: 0 bytes/workgroup (compile time only)
; SGPRBlocks: 0
; VGPRBlocks: 0
; NumSGPRsForWavesPerEU: 4
; NumVGPRsForWavesPerEU: 1
; AccumOffset: 4
; Occupancy: 8
; WaveLimiterHint : 0
; COMPUTE_PGM_RSRC2:SCRATCH_EN: 0
; COMPUTE_PGM_RSRC2:USER_SGPR: 6
; COMPUTE_PGM_RSRC2:TRAP_HANDLER: 0
; COMPUTE_PGM_RSRC2:TGID_X_EN: 1
; COMPUTE_PGM_RSRC2:TGID_Y_EN: 0
; COMPUTE_PGM_RSRC2:TGID_Z_EN: 0
; COMPUTE_PGM_RSRC2:TIDIG_COMP_CNT: 0
; COMPUTE_PGM_RSRC3_GFX90A:ACCUM_OFFSET: 0
; COMPUTE_PGM_RSRC3_GFX90A:TG_SPLIT: 0
	.section	.text._ZN7rocprim17ROCPRIM_400000_NS6detail17trampoline_kernelINS0_14default_configENS1_35radix_sort_onesweep_config_selectorIiiEEZZNS1_29radix_sort_onesweep_iterationIS3_Lb0EPiS7_S7_S7_jNS0_19identity_decomposerENS1_16block_id_wrapperIjLb0EEEEE10hipError_tT1_PNSt15iterator_traitsISC_E10value_typeET2_T3_PNSD_ISI_E10value_typeET4_T5_PSN_SO_PNS1_23onesweep_lookback_stateEbbT6_jjT7_P12ihipStream_tbENKUlT_T0_SC_SH_E_clIS7_S7_S7_S7_EEDaSV_SW_SC_SH_EUlSV_E_NS1_11comp_targetILNS1_3genE5ELNS1_11target_archE942ELNS1_3gpuE9ELNS1_3repE0EEENS1_47radix_sort_onesweep_sort_config_static_selectorELNS0_4arch9wavefront6targetE1EEEvSC_,"axG",@progbits,_ZN7rocprim17ROCPRIM_400000_NS6detail17trampoline_kernelINS0_14default_configENS1_35radix_sort_onesweep_config_selectorIiiEEZZNS1_29radix_sort_onesweep_iterationIS3_Lb0EPiS7_S7_S7_jNS0_19identity_decomposerENS1_16block_id_wrapperIjLb0EEEEE10hipError_tT1_PNSt15iterator_traitsISC_E10value_typeET2_T3_PNSD_ISI_E10value_typeET4_T5_PSN_SO_PNS1_23onesweep_lookback_stateEbbT6_jjT7_P12ihipStream_tbENKUlT_T0_SC_SH_E_clIS7_S7_S7_S7_EEDaSV_SW_SC_SH_EUlSV_E_NS1_11comp_targetILNS1_3genE5ELNS1_11target_archE942ELNS1_3gpuE9ELNS1_3repE0EEENS1_47radix_sort_onesweep_sort_config_static_selectorELNS0_4arch9wavefront6targetE1EEEvSC_,comdat
	.protected	_ZN7rocprim17ROCPRIM_400000_NS6detail17trampoline_kernelINS0_14default_configENS1_35radix_sort_onesweep_config_selectorIiiEEZZNS1_29radix_sort_onesweep_iterationIS3_Lb0EPiS7_S7_S7_jNS0_19identity_decomposerENS1_16block_id_wrapperIjLb0EEEEE10hipError_tT1_PNSt15iterator_traitsISC_E10value_typeET2_T3_PNSD_ISI_E10value_typeET4_T5_PSN_SO_PNS1_23onesweep_lookback_stateEbbT6_jjT7_P12ihipStream_tbENKUlT_T0_SC_SH_E_clIS7_S7_S7_S7_EEDaSV_SW_SC_SH_EUlSV_E_NS1_11comp_targetILNS1_3genE5ELNS1_11target_archE942ELNS1_3gpuE9ELNS1_3repE0EEENS1_47radix_sort_onesweep_sort_config_static_selectorELNS0_4arch9wavefront6targetE1EEEvSC_ ; -- Begin function _ZN7rocprim17ROCPRIM_400000_NS6detail17trampoline_kernelINS0_14default_configENS1_35radix_sort_onesweep_config_selectorIiiEEZZNS1_29radix_sort_onesweep_iterationIS3_Lb0EPiS7_S7_S7_jNS0_19identity_decomposerENS1_16block_id_wrapperIjLb0EEEEE10hipError_tT1_PNSt15iterator_traitsISC_E10value_typeET2_T3_PNSD_ISI_E10value_typeET4_T5_PSN_SO_PNS1_23onesweep_lookback_stateEbbT6_jjT7_P12ihipStream_tbENKUlT_T0_SC_SH_E_clIS7_S7_S7_S7_EEDaSV_SW_SC_SH_EUlSV_E_NS1_11comp_targetILNS1_3genE5ELNS1_11target_archE942ELNS1_3gpuE9ELNS1_3repE0EEENS1_47radix_sort_onesweep_sort_config_static_selectorELNS0_4arch9wavefront6targetE1EEEvSC_
	.globl	_ZN7rocprim17ROCPRIM_400000_NS6detail17trampoline_kernelINS0_14default_configENS1_35radix_sort_onesweep_config_selectorIiiEEZZNS1_29radix_sort_onesweep_iterationIS3_Lb0EPiS7_S7_S7_jNS0_19identity_decomposerENS1_16block_id_wrapperIjLb0EEEEE10hipError_tT1_PNSt15iterator_traitsISC_E10value_typeET2_T3_PNSD_ISI_E10value_typeET4_T5_PSN_SO_PNS1_23onesweep_lookback_stateEbbT6_jjT7_P12ihipStream_tbENKUlT_T0_SC_SH_E_clIS7_S7_S7_S7_EEDaSV_SW_SC_SH_EUlSV_E_NS1_11comp_targetILNS1_3genE5ELNS1_11target_archE942ELNS1_3gpuE9ELNS1_3repE0EEENS1_47radix_sort_onesweep_sort_config_static_selectorELNS0_4arch9wavefront6targetE1EEEvSC_
	.p2align	8
	.type	_ZN7rocprim17ROCPRIM_400000_NS6detail17trampoline_kernelINS0_14default_configENS1_35radix_sort_onesweep_config_selectorIiiEEZZNS1_29radix_sort_onesweep_iterationIS3_Lb0EPiS7_S7_S7_jNS0_19identity_decomposerENS1_16block_id_wrapperIjLb0EEEEE10hipError_tT1_PNSt15iterator_traitsISC_E10value_typeET2_T3_PNSD_ISI_E10value_typeET4_T5_PSN_SO_PNS1_23onesweep_lookback_stateEbbT6_jjT7_P12ihipStream_tbENKUlT_T0_SC_SH_E_clIS7_S7_S7_S7_EEDaSV_SW_SC_SH_EUlSV_E_NS1_11comp_targetILNS1_3genE5ELNS1_11target_archE942ELNS1_3gpuE9ELNS1_3repE0EEENS1_47radix_sort_onesweep_sort_config_static_selectorELNS0_4arch9wavefront6targetE1EEEvSC_,@function
_ZN7rocprim17ROCPRIM_400000_NS6detail17trampoline_kernelINS0_14default_configENS1_35radix_sort_onesweep_config_selectorIiiEEZZNS1_29radix_sort_onesweep_iterationIS3_Lb0EPiS7_S7_S7_jNS0_19identity_decomposerENS1_16block_id_wrapperIjLb0EEEEE10hipError_tT1_PNSt15iterator_traitsISC_E10value_typeET2_T3_PNSD_ISI_E10value_typeET4_T5_PSN_SO_PNS1_23onesweep_lookback_stateEbbT6_jjT7_P12ihipStream_tbENKUlT_T0_SC_SH_E_clIS7_S7_S7_S7_EEDaSV_SW_SC_SH_EUlSV_E_NS1_11comp_targetILNS1_3genE5ELNS1_11target_archE942ELNS1_3gpuE9ELNS1_3repE0EEENS1_47radix_sort_onesweep_sort_config_static_selectorELNS0_4arch9wavefront6targetE1EEEvSC_: ; @_ZN7rocprim17ROCPRIM_400000_NS6detail17trampoline_kernelINS0_14default_configENS1_35radix_sort_onesweep_config_selectorIiiEEZZNS1_29radix_sort_onesweep_iterationIS3_Lb0EPiS7_S7_S7_jNS0_19identity_decomposerENS1_16block_id_wrapperIjLb0EEEEE10hipError_tT1_PNSt15iterator_traitsISC_E10value_typeET2_T3_PNSD_ISI_E10value_typeET4_T5_PSN_SO_PNS1_23onesweep_lookback_stateEbbT6_jjT7_P12ihipStream_tbENKUlT_T0_SC_SH_E_clIS7_S7_S7_S7_EEDaSV_SW_SC_SH_EUlSV_E_NS1_11comp_targetILNS1_3genE5ELNS1_11target_archE942ELNS1_3gpuE9ELNS1_3repE0EEENS1_47radix_sort_onesweep_sort_config_static_selectorELNS0_4arch9wavefront6targetE1EEEvSC_
; %bb.0:
	.section	.rodata,"a",@progbits
	.p2align	6, 0x0
	.amdhsa_kernel _ZN7rocprim17ROCPRIM_400000_NS6detail17trampoline_kernelINS0_14default_configENS1_35radix_sort_onesweep_config_selectorIiiEEZZNS1_29radix_sort_onesweep_iterationIS3_Lb0EPiS7_S7_S7_jNS0_19identity_decomposerENS1_16block_id_wrapperIjLb0EEEEE10hipError_tT1_PNSt15iterator_traitsISC_E10value_typeET2_T3_PNSD_ISI_E10value_typeET4_T5_PSN_SO_PNS1_23onesweep_lookback_stateEbbT6_jjT7_P12ihipStream_tbENKUlT_T0_SC_SH_E_clIS7_S7_S7_S7_EEDaSV_SW_SC_SH_EUlSV_E_NS1_11comp_targetILNS1_3genE5ELNS1_11target_archE942ELNS1_3gpuE9ELNS1_3repE0EEENS1_47radix_sort_onesweep_sort_config_static_selectorELNS0_4arch9wavefront6targetE1EEEvSC_
		.amdhsa_group_segment_fixed_size 0
		.amdhsa_private_segment_fixed_size 0
		.amdhsa_kernarg_size 88
		.amdhsa_user_sgpr_count 6
		.amdhsa_user_sgpr_private_segment_buffer 1
		.amdhsa_user_sgpr_dispatch_ptr 0
		.amdhsa_user_sgpr_queue_ptr 0
		.amdhsa_user_sgpr_kernarg_segment_ptr 1
		.amdhsa_user_sgpr_dispatch_id 0
		.amdhsa_user_sgpr_flat_scratch_init 0
		.amdhsa_user_sgpr_kernarg_preload_length 0
		.amdhsa_user_sgpr_kernarg_preload_offset 0
		.amdhsa_user_sgpr_private_segment_size 0
		.amdhsa_uses_dynamic_stack 0
		.amdhsa_system_sgpr_private_segment_wavefront_offset 0
		.amdhsa_system_sgpr_workgroup_id_x 1
		.amdhsa_system_sgpr_workgroup_id_y 0
		.amdhsa_system_sgpr_workgroup_id_z 0
		.amdhsa_system_sgpr_workgroup_info 0
		.amdhsa_system_vgpr_workitem_id 0
		.amdhsa_next_free_vgpr 1
		.amdhsa_next_free_sgpr 0
		.amdhsa_accum_offset 4
		.amdhsa_reserve_vcc 0
		.amdhsa_reserve_flat_scratch 0
		.amdhsa_float_round_mode_32 0
		.amdhsa_float_round_mode_16_64 0
		.amdhsa_float_denorm_mode_32 3
		.amdhsa_float_denorm_mode_16_64 3
		.amdhsa_dx10_clamp 1
		.amdhsa_ieee_mode 1
		.amdhsa_fp16_overflow 0
		.amdhsa_tg_split 0
		.amdhsa_exception_fp_ieee_invalid_op 0
		.amdhsa_exception_fp_denorm_src 0
		.amdhsa_exception_fp_ieee_div_zero 0
		.amdhsa_exception_fp_ieee_overflow 0
		.amdhsa_exception_fp_ieee_underflow 0
		.amdhsa_exception_fp_ieee_inexact 0
		.amdhsa_exception_int_div_zero 0
	.end_amdhsa_kernel
	.section	.text._ZN7rocprim17ROCPRIM_400000_NS6detail17trampoline_kernelINS0_14default_configENS1_35radix_sort_onesweep_config_selectorIiiEEZZNS1_29radix_sort_onesweep_iterationIS3_Lb0EPiS7_S7_S7_jNS0_19identity_decomposerENS1_16block_id_wrapperIjLb0EEEEE10hipError_tT1_PNSt15iterator_traitsISC_E10value_typeET2_T3_PNSD_ISI_E10value_typeET4_T5_PSN_SO_PNS1_23onesweep_lookback_stateEbbT6_jjT7_P12ihipStream_tbENKUlT_T0_SC_SH_E_clIS7_S7_S7_S7_EEDaSV_SW_SC_SH_EUlSV_E_NS1_11comp_targetILNS1_3genE5ELNS1_11target_archE942ELNS1_3gpuE9ELNS1_3repE0EEENS1_47radix_sort_onesweep_sort_config_static_selectorELNS0_4arch9wavefront6targetE1EEEvSC_,"axG",@progbits,_ZN7rocprim17ROCPRIM_400000_NS6detail17trampoline_kernelINS0_14default_configENS1_35radix_sort_onesweep_config_selectorIiiEEZZNS1_29radix_sort_onesweep_iterationIS3_Lb0EPiS7_S7_S7_jNS0_19identity_decomposerENS1_16block_id_wrapperIjLb0EEEEE10hipError_tT1_PNSt15iterator_traitsISC_E10value_typeET2_T3_PNSD_ISI_E10value_typeET4_T5_PSN_SO_PNS1_23onesweep_lookback_stateEbbT6_jjT7_P12ihipStream_tbENKUlT_T0_SC_SH_E_clIS7_S7_S7_S7_EEDaSV_SW_SC_SH_EUlSV_E_NS1_11comp_targetILNS1_3genE5ELNS1_11target_archE942ELNS1_3gpuE9ELNS1_3repE0EEENS1_47radix_sort_onesweep_sort_config_static_selectorELNS0_4arch9wavefront6targetE1EEEvSC_,comdat
.Lfunc_end378:
	.size	_ZN7rocprim17ROCPRIM_400000_NS6detail17trampoline_kernelINS0_14default_configENS1_35radix_sort_onesweep_config_selectorIiiEEZZNS1_29radix_sort_onesweep_iterationIS3_Lb0EPiS7_S7_S7_jNS0_19identity_decomposerENS1_16block_id_wrapperIjLb0EEEEE10hipError_tT1_PNSt15iterator_traitsISC_E10value_typeET2_T3_PNSD_ISI_E10value_typeET4_T5_PSN_SO_PNS1_23onesweep_lookback_stateEbbT6_jjT7_P12ihipStream_tbENKUlT_T0_SC_SH_E_clIS7_S7_S7_S7_EEDaSV_SW_SC_SH_EUlSV_E_NS1_11comp_targetILNS1_3genE5ELNS1_11target_archE942ELNS1_3gpuE9ELNS1_3repE0EEENS1_47radix_sort_onesweep_sort_config_static_selectorELNS0_4arch9wavefront6targetE1EEEvSC_, .Lfunc_end378-_ZN7rocprim17ROCPRIM_400000_NS6detail17trampoline_kernelINS0_14default_configENS1_35radix_sort_onesweep_config_selectorIiiEEZZNS1_29radix_sort_onesweep_iterationIS3_Lb0EPiS7_S7_S7_jNS0_19identity_decomposerENS1_16block_id_wrapperIjLb0EEEEE10hipError_tT1_PNSt15iterator_traitsISC_E10value_typeET2_T3_PNSD_ISI_E10value_typeET4_T5_PSN_SO_PNS1_23onesweep_lookback_stateEbbT6_jjT7_P12ihipStream_tbENKUlT_T0_SC_SH_E_clIS7_S7_S7_S7_EEDaSV_SW_SC_SH_EUlSV_E_NS1_11comp_targetILNS1_3genE5ELNS1_11target_archE942ELNS1_3gpuE9ELNS1_3repE0EEENS1_47radix_sort_onesweep_sort_config_static_selectorELNS0_4arch9wavefront6targetE1EEEvSC_
                                        ; -- End function
	.section	.AMDGPU.csdata,"",@progbits
; Kernel info:
; codeLenInByte = 0
; NumSgprs: 4
; NumVgprs: 0
; NumAgprs: 0
; TotalNumVgprs: 0
; ScratchSize: 0
; MemoryBound: 0
; FloatMode: 240
; IeeeMode: 1
; LDSByteSize: 0 bytes/workgroup (compile time only)
; SGPRBlocks: 0
; VGPRBlocks: 0
; NumSGPRsForWavesPerEU: 4
; NumVGPRsForWavesPerEU: 1
; AccumOffset: 4
; Occupancy: 8
; WaveLimiterHint : 0
; COMPUTE_PGM_RSRC2:SCRATCH_EN: 0
; COMPUTE_PGM_RSRC2:USER_SGPR: 6
; COMPUTE_PGM_RSRC2:TRAP_HANDLER: 0
; COMPUTE_PGM_RSRC2:TGID_X_EN: 1
; COMPUTE_PGM_RSRC2:TGID_Y_EN: 0
; COMPUTE_PGM_RSRC2:TGID_Z_EN: 0
; COMPUTE_PGM_RSRC2:TIDIG_COMP_CNT: 0
; COMPUTE_PGM_RSRC3_GFX90A:ACCUM_OFFSET: 0
; COMPUTE_PGM_RSRC3_GFX90A:TG_SPLIT: 0
	.section	.text._ZN7rocprim17ROCPRIM_400000_NS6detail17trampoline_kernelINS0_14default_configENS1_35radix_sort_onesweep_config_selectorIiiEEZZNS1_29radix_sort_onesweep_iterationIS3_Lb0EPiS7_S7_S7_jNS0_19identity_decomposerENS1_16block_id_wrapperIjLb0EEEEE10hipError_tT1_PNSt15iterator_traitsISC_E10value_typeET2_T3_PNSD_ISI_E10value_typeET4_T5_PSN_SO_PNS1_23onesweep_lookback_stateEbbT6_jjT7_P12ihipStream_tbENKUlT_T0_SC_SH_E_clIS7_S7_S7_S7_EEDaSV_SW_SC_SH_EUlSV_E_NS1_11comp_targetILNS1_3genE2ELNS1_11target_archE906ELNS1_3gpuE6ELNS1_3repE0EEENS1_47radix_sort_onesweep_sort_config_static_selectorELNS0_4arch9wavefront6targetE1EEEvSC_,"axG",@progbits,_ZN7rocprim17ROCPRIM_400000_NS6detail17trampoline_kernelINS0_14default_configENS1_35radix_sort_onesweep_config_selectorIiiEEZZNS1_29radix_sort_onesweep_iterationIS3_Lb0EPiS7_S7_S7_jNS0_19identity_decomposerENS1_16block_id_wrapperIjLb0EEEEE10hipError_tT1_PNSt15iterator_traitsISC_E10value_typeET2_T3_PNSD_ISI_E10value_typeET4_T5_PSN_SO_PNS1_23onesweep_lookback_stateEbbT6_jjT7_P12ihipStream_tbENKUlT_T0_SC_SH_E_clIS7_S7_S7_S7_EEDaSV_SW_SC_SH_EUlSV_E_NS1_11comp_targetILNS1_3genE2ELNS1_11target_archE906ELNS1_3gpuE6ELNS1_3repE0EEENS1_47radix_sort_onesweep_sort_config_static_selectorELNS0_4arch9wavefront6targetE1EEEvSC_,comdat
	.protected	_ZN7rocprim17ROCPRIM_400000_NS6detail17trampoline_kernelINS0_14default_configENS1_35radix_sort_onesweep_config_selectorIiiEEZZNS1_29radix_sort_onesweep_iterationIS3_Lb0EPiS7_S7_S7_jNS0_19identity_decomposerENS1_16block_id_wrapperIjLb0EEEEE10hipError_tT1_PNSt15iterator_traitsISC_E10value_typeET2_T3_PNSD_ISI_E10value_typeET4_T5_PSN_SO_PNS1_23onesweep_lookback_stateEbbT6_jjT7_P12ihipStream_tbENKUlT_T0_SC_SH_E_clIS7_S7_S7_S7_EEDaSV_SW_SC_SH_EUlSV_E_NS1_11comp_targetILNS1_3genE2ELNS1_11target_archE906ELNS1_3gpuE6ELNS1_3repE0EEENS1_47radix_sort_onesweep_sort_config_static_selectorELNS0_4arch9wavefront6targetE1EEEvSC_ ; -- Begin function _ZN7rocprim17ROCPRIM_400000_NS6detail17trampoline_kernelINS0_14default_configENS1_35radix_sort_onesweep_config_selectorIiiEEZZNS1_29radix_sort_onesweep_iterationIS3_Lb0EPiS7_S7_S7_jNS0_19identity_decomposerENS1_16block_id_wrapperIjLb0EEEEE10hipError_tT1_PNSt15iterator_traitsISC_E10value_typeET2_T3_PNSD_ISI_E10value_typeET4_T5_PSN_SO_PNS1_23onesweep_lookback_stateEbbT6_jjT7_P12ihipStream_tbENKUlT_T0_SC_SH_E_clIS7_S7_S7_S7_EEDaSV_SW_SC_SH_EUlSV_E_NS1_11comp_targetILNS1_3genE2ELNS1_11target_archE906ELNS1_3gpuE6ELNS1_3repE0EEENS1_47radix_sort_onesweep_sort_config_static_selectorELNS0_4arch9wavefront6targetE1EEEvSC_
	.globl	_ZN7rocprim17ROCPRIM_400000_NS6detail17trampoline_kernelINS0_14default_configENS1_35radix_sort_onesweep_config_selectorIiiEEZZNS1_29radix_sort_onesweep_iterationIS3_Lb0EPiS7_S7_S7_jNS0_19identity_decomposerENS1_16block_id_wrapperIjLb0EEEEE10hipError_tT1_PNSt15iterator_traitsISC_E10value_typeET2_T3_PNSD_ISI_E10value_typeET4_T5_PSN_SO_PNS1_23onesweep_lookback_stateEbbT6_jjT7_P12ihipStream_tbENKUlT_T0_SC_SH_E_clIS7_S7_S7_S7_EEDaSV_SW_SC_SH_EUlSV_E_NS1_11comp_targetILNS1_3genE2ELNS1_11target_archE906ELNS1_3gpuE6ELNS1_3repE0EEENS1_47radix_sort_onesweep_sort_config_static_selectorELNS0_4arch9wavefront6targetE1EEEvSC_
	.p2align	8
	.type	_ZN7rocprim17ROCPRIM_400000_NS6detail17trampoline_kernelINS0_14default_configENS1_35radix_sort_onesweep_config_selectorIiiEEZZNS1_29radix_sort_onesweep_iterationIS3_Lb0EPiS7_S7_S7_jNS0_19identity_decomposerENS1_16block_id_wrapperIjLb0EEEEE10hipError_tT1_PNSt15iterator_traitsISC_E10value_typeET2_T3_PNSD_ISI_E10value_typeET4_T5_PSN_SO_PNS1_23onesweep_lookback_stateEbbT6_jjT7_P12ihipStream_tbENKUlT_T0_SC_SH_E_clIS7_S7_S7_S7_EEDaSV_SW_SC_SH_EUlSV_E_NS1_11comp_targetILNS1_3genE2ELNS1_11target_archE906ELNS1_3gpuE6ELNS1_3repE0EEENS1_47radix_sort_onesweep_sort_config_static_selectorELNS0_4arch9wavefront6targetE1EEEvSC_,@function
_ZN7rocprim17ROCPRIM_400000_NS6detail17trampoline_kernelINS0_14default_configENS1_35radix_sort_onesweep_config_selectorIiiEEZZNS1_29radix_sort_onesweep_iterationIS3_Lb0EPiS7_S7_S7_jNS0_19identity_decomposerENS1_16block_id_wrapperIjLb0EEEEE10hipError_tT1_PNSt15iterator_traitsISC_E10value_typeET2_T3_PNSD_ISI_E10value_typeET4_T5_PSN_SO_PNS1_23onesweep_lookback_stateEbbT6_jjT7_P12ihipStream_tbENKUlT_T0_SC_SH_E_clIS7_S7_S7_S7_EEDaSV_SW_SC_SH_EUlSV_E_NS1_11comp_targetILNS1_3genE2ELNS1_11target_archE906ELNS1_3gpuE6ELNS1_3repE0EEENS1_47radix_sort_onesweep_sort_config_static_selectorELNS0_4arch9wavefront6targetE1EEEvSC_: ; @_ZN7rocprim17ROCPRIM_400000_NS6detail17trampoline_kernelINS0_14default_configENS1_35radix_sort_onesweep_config_selectorIiiEEZZNS1_29radix_sort_onesweep_iterationIS3_Lb0EPiS7_S7_S7_jNS0_19identity_decomposerENS1_16block_id_wrapperIjLb0EEEEE10hipError_tT1_PNSt15iterator_traitsISC_E10value_typeET2_T3_PNSD_ISI_E10value_typeET4_T5_PSN_SO_PNS1_23onesweep_lookback_stateEbbT6_jjT7_P12ihipStream_tbENKUlT_T0_SC_SH_E_clIS7_S7_S7_S7_EEDaSV_SW_SC_SH_EUlSV_E_NS1_11comp_targetILNS1_3genE2ELNS1_11target_archE906ELNS1_3gpuE6ELNS1_3repE0EEENS1_47radix_sort_onesweep_sort_config_static_selectorELNS0_4arch9wavefront6targetE1EEEvSC_
; %bb.0:
	.section	.rodata,"a",@progbits
	.p2align	6, 0x0
	.amdhsa_kernel _ZN7rocprim17ROCPRIM_400000_NS6detail17trampoline_kernelINS0_14default_configENS1_35radix_sort_onesweep_config_selectorIiiEEZZNS1_29radix_sort_onesweep_iterationIS3_Lb0EPiS7_S7_S7_jNS0_19identity_decomposerENS1_16block_id_wrapperIjLb0EEEEE10hipError_tT1_PNSt15iterator_traitsISC_E10value_typeET2_T3_PNSD_ISI_E10value_typeET4_T5_PSN_SO_PNS1_23onesweep_lookback_stateEbbT6_jjT7_P12ihipStream_tbENKUlT_T0_SC_SH_E_clIS7_S7_S7_S7_EEDaSV_SW_SC_SH_EUlSV_E_NS1_11comp_targetILNS1_3genE2ELNS1_11target_archE906ELNS1_3gpuE6ELNS1_3repE0EEENS1_47radix_sort_onesweep_sort_config_static_selectorELNS0_4arch9wavefront6targetE1EEEvSC_
		.amdhsa_group_segment_fixed_size 0
		.amdhsa_private_segment_fixed_size 0
		.amdhsa_kernarg_size 88
		.amdhsa_user_sgpr_count 6
		.amdhsa_user_sgpr_private_segment_buffer 1
		.amdhsa_user_sgpr_dispatch_ptr 0
		.amdhsa_user_sgpr_queue_ptr 0
		.amdhsa_user_sgpr_kernarg_segment_ptr 1
		.amdhsa_user_sgpr_dispatch_id 0
		.amdhsa_user_sgpr_flat_scratch_init 0
		.amdhsa_user_sgpr_kernarg_preload_length 0
		.amdhsa_user_sgpr_kernarg_preload_offset 0
		.amdhsa_user_sgpr_private_segment_size 0
		.amdhsa_uses_dynamic_stack 0
		.amdhsa_system_sgpr_private_segment_wavefront_offset 0
		.amdhsa_system_sgpr_workgroup_id_x 1
		.amdhsa_system_sgpr_workgroup_id_y 0
		.amdhsa_system_sgpr_workgroup_id_z 0
		.amdhsa_system_sgpr_workgroup_info 0
		.amdhsa_system_vgpr_workitem_id 0
		.amdhsa_next_free_vgpr 1
		.amdhsa_next_free_sgpr 0
		.amdhsa_accum_offset 4
		.amdhsa_reserve_vcc 0
		.amdhsa_reserve_flat_scratch 0
		.amdhsa_float_round_mode_32 0
		.amdhsa_float_round_mode_16_64 0
		.amdhsa_float_denorm_mode_32 3
		.amdhsa_float_denorm_mode_16_64 3
		.amdhsa_dx10_clamp 1
		.amdhsa_ieee_mode 1
		.amdhsa_fp16_overflow 0
		.amdhsa_tg_split 0
		.amdhsa_exception_fp_ieee_invalid_op 0
		.amdhsa_exception_fp_denorm_src 0
		.amdhsa_exception_fp_ieee_div_zero 0
		.amdhsa_exception_fp_ieee_overflow 0
		.amdhsa_exception_fp_ieee_underflow 0
		.amdhsa_exception_fp_ieee_inexact 0
		.amdhsa_exception_int_div_zero 0
	.end_amdhsa_kernel
	.section	.text._ZN7rocprim17ROCPRIM_400000_NS6detail17trampoline_kernelINS0_14default_configENS1_35radix_sort_onesweep_config_selectorIiiEEZZNS1_29radix_sort_onesweep_iterationIS3_Lb0EPiS7_S7_S7_jNS0_19identity_decomposerENS1_16block_id_wrapperIjLb0EEEEE10hipError_tT1_PNSt15iterator_traitsISC_E10value_typeET2_T3_PNSD_ISI_E10value_typeET4_T5_PSN_SO_PNS1_23onesweep_lookback_stateEbbT6_jjT7_P12ihipStream_tbENKUlT_T0_SC_SH_E_clIS7_S7_S7_S7_EEDaSV_SW_SC_SH_EUlSV_E_NS1_11comp_targetILNS1_3genE2ELNS1_11target_archE906ELNS1_3gpuE6ELNS1_3repE0EEENS1_47radix_sort_onesweep_sort_config_static_selectorELNS0_4arch9wavefront6targetE1EEEvSC_,"axG",@progbits,_ZN7rocprim17ROCPRIM_400000_NS6detail17trampoline_kernelINS0_14default_configENS1_35radix_sort_onesweep_config_selectorIiiEEZZNS1_29radix_sort_onesweep_iterationIS3_Lb0EPiS7_S7_S7_jNS0_19identity_decomposerENS1_16block_id_wrapperIjLb0EEEEE10hipError_tT1_PNSt15iterator_traitsISC_E10value_typeET2_T3_PNSD_ISI_E10value_typeET4_T5_PSN_SO_PNS1_23onesweep_lookback_stateEbbT6_jjT7_P12ihipStream_tbENKUlT_T0_SC_SH_E_clIS7_S7_S7_S7_EEDaSV_SW_SC_SH_EUlSV_E_NS1_11comp_targetILNS1_3genE2ELNS1_11target_archE906ELNS1_3gpuE6ELNS1_3repE0EEENS1_47radix_sort_onesweep_sort_config_static_selectorELNS0_4arch9wavefront6targetE1EEEvSC_,comdat
.Lfunc_end379:
	.size	_ZN7rocprim17ROCPRIM_400000_NS6detail17trampoline_kernelINS0_14default_configENS1_35radix_sort_onesweep_config_selectorIiiEEZZNS1_29radix_sort_onesweep_iterationIS3_Lb0EPiS7_S7_S7_jNS0_19identity_decomposerENS1_16block_id_wrapperIjLb0EEEEE10hipError_tT1_PNSt15iterator_traitsISC_E10value_typeET2_T3_PNSD_ISI_E10value_typeET4_T5_PSN_SO_PNS1_23onesweep_lookback_stateEbbT6_jjT7_P12ihipStream_tbENKUlT_T0_SC_SH_E_clIS7_S7_S7_S7_EEDaSV_SW_SC_SH_EUlSV_E_NS1_11comp_targetILNS1_3genE2ELNS1_11target_archE906ELNS1_3gpuE6ELNS1_3repE0EEENS1_47radix_sort_onesweep_sort_config_static_selectorELNS0_4arch9wavefront6targetE1EEEvSC_, .Lfunc_end379-_ZN7rocprim17ROCPRIM_400000_NS6detail17trampoline_kernelINS0_14default_configENS1_35radix_sort_onesweep_config_selectorIiiEEZZNS1_29radix_sort_onesweep_iterationIS3_Lb0EPiS7_S7_S7_jNS0_19identity_decomposerENS1_16block_id_wrapperIjLb0EEEEE10hipError_tT1_PNSt15iterator_traitsISC_E10value_typeET2_T3_PNSD_ISI_E10value_typeET4_T5_PSN_SO_PNS1_23onesweep_lookback_stateEbbT6_jjT7_P12ihipStream_tbENKUlT_T0_SC_SH_E_clIS7_S7_S7_S7_EEDaSV_SW_SC_SH_EUlSV_E_NS1_11comp_targetILNS1_3genE2ELNS1_11target_archE906ELNS1_3gpuE6ELNS1_3repE0EEENS1_47radix_sort_onesweep_sort_config_static_selectorELNS0_4arch9wavefront6targetE1EEEvSC_
                                        ; -- End function
	.section	.AMDGPU.csdata,"",@progbits
; Kernel info:
; codeLenInByte = 0
; NumSgprs: 4
; NumVgprs: 0
; NumAgprs: 0
; TotalNumVgprs: 0
; ScratchSize: 0
; MemoryBound: 0
; FloatMode: 240
; IeeeMode: 1
; LDSByteSize: 0 bytes/workgroup (compile time only)
; SGPRBlocks: 0
; VGPRBlocks: 0
; NumSGPRsForWavesPerEU: 4
; NumVGPRsForWavesPerEU: 1
; AccumOffset: 4
; Occupancy: 8
; WaveLimiterHint : 0
; COMPUTE_PGM_RSRC2:SCRATCH_EN: 0
; COMPUTE_PGM_RSRC2:USER_SGPR: 6
; COMPUTE_PGM_RSRC2:TRAP_HANDLER: 0
; COMPUTE_PGM_RSRC2:TGID_X_EN: 1
; COMPUTE_PGM_RSRC2:TGID_Y_EN: 0
; COMPUTE_PGM_RSRC2:TGID_Z_EN: 0
; COMPUTE_PGM_RSRC2:TIDIG_COMP_CNT: 0
; COMPUTE_PGM_RSRC3_GFX90A:ACCUM_OFFSET: 0
; COMPUTE_PGM_RSRC3_GFX90A:TG_SPLIT: 0
	.section	.text._ZN7rocprim17ROCPRIM_400000_NS6detail17trampoline_kernelINS0_14default_configENS1_35radix_sort_onesweep_config_selectorIiiEEZZNS1_29radix_sort_onesweep_iterationIS3_Lb0EPiS7_S7_S7_jNS0_19identity_decomposerENS1_16block_id_wrapperIjLb0EEEEE10hipError_tT1_PNSt15iterator_traitsISC_E10value_typeET2_T3_PNSD_ISI_E10value_typeET4_T5_PSN_SO_PNS1_23onesweep_lookback_stateEbbT6_jjT7_P12ihipStream_tbENKUlT_T0_SC_SH_E_clIS7_S7_S7_S7_EEDaSV_SW_SC_SH_EUlSV_E_NS1_11comp_targetILNS1_3genE4ELNS1_11target_archE910ELNS1_3gpuE8ELNS1_3repE0EEENS1_47radix_sort_onesweep_sort_config_static_selectorELNS0_4arch9wavefront6targetE1EEEvSC_,"axG",@progbits,_ZN7rocprim17ROCPRIM_400000_NS6detail17trampoline_kernelINS0_14default_configENS1_35radix_sort_onesweep_config_selectorIiiEEZZNS1_29radix_sort_onesweep_iterationIS3_Lb0EPiS7_S7_S7_jNS0_19identity_decomposerENS1_16block_id_wrapperIjLb0EEEEE10hipError_tT1_PNSt15iterator_traitsISC_E10value_typeET2_T3_PNSD_ISI_E10value_typeET4_T5_PSN_SO_PNS1_23onesweep_lookback_stateEbbT6_jjT7_P12ihipStream_tbENKUlT_T0_SC_SH_E_clIS7_S7_S7_S7_EEDaSV_SW_SC_SH_EUlSV_E_NS1_11comp_targetILNS1_3genE4ELNS1_11target_archE910ELNS1_3gpuE8ELNS1_3repE0EEENS1_47radix_sort_onesweep_sort_config_static_selectorELNS0_4arch9wavefront6targetE1EEEvSC_,comdat
	.protected	_ZN7rocprim17ROCPRIM_400000_NS6detail17trampoline_kernelINS0_14default_configENS1_35radix_sort_onesweep_config_selectorIiiEEZZNS1_29radix_sort_onesweep_iterationIS3_Lb0EPiS7_S7_S7_jNS0_19identity_decomposerENS1_16block_id_wrapperIjLb0EEEEE10hipError_tT1_PNSt15iterator_traitsISC_E10value_typeET2_T3_PNSD_ISI_E10value_typeET4_T5_PSN_SO_PNS1_23onesweep_lookback_stateEbbT6_jjT7_P12ihipStream_tbENKUlT_T0_SC_SH_E_clIS7_S7_S7_S7_EEDaSV_SW_SC_SH_EUlSV_E_NS1_11comp_targetILNS1_3genE4ELNS1_11target_archE910ELNS1_3gpuE8ELNS1_3repE0EEENS1_47radix_sort_onesweep_sort_config_static_selectorELNS0_4arch9wavefront6targetE1EEEvSC_ ; -- Begin function _ZN7rocprim17ROCPRIM_400000_NS6detail17trampoline_kernelINS0_14default_configENS1_35radix_sort_onesweep_config_selectorIiiEEZZNS1_29radix_sort_onesweep_iterationIS3_Lb0EPiS7_S7_S7_jNS0_19identity_decomposerENS1_16block_id_wrapperIjLb0EEEEE10hipError_tT1_PNSt15iterator_traitsISC_E10value_typeET2_T3_PNSD_ISI_E10value_typeET4_T5_PSN_SO_PNS1_23onesweep_lookback_stateEbbT6_jjT7_P12ihipStream_tbENKUlT_T0_SC_SH_E_clIS7_S7_S7_S7_EEDaSV_SW_SC_SH_EUlSV_E_NS1_11comp_targetILNS1_3genE4ELNS1_11target_archE910ELNS1_3gpuE8ELNS1_3repE0EEENS1_47radix_sort_onesweep_sort_config_static_selectorELNS0_4arch9wavefront6targetE1EEEvSC_
	.globl	_ZN7rocprim17ROCPRIM_400000_NS6detail17trampoline_kernelINS0_14default_configENS1_35radix_sort_onesweep_config_selectorIiiEEZZNS1_29radix_sort_onesweep_iterationIS3_Lb0EPiS7_S7_S7_jNS0_19identity_decomposerENS1_16block_id_wrapperIjLb0EEEEE10hipError_tT1_PNSt15iterator_traitsISC_E10value_typeET2_T3_PNSD_ISI_E10value_typeET4_T5_PSN_SO_PNS1_23onesweep_lookback_stateEbbT6_jjT7_P12ihipStream_tbENKUlT_T0_SC_SH_E_clIS7_S7_S7_S7_EEDaSV_SW_SC_SH_EUlSV_E_NS1_11comp_targetILNS1_3genE4ELNS1_11target_archE910ELNS1_3gpuE8ELNS1_3repE0EEENS1_47radix_sort_onesweep_sort_config_static_selectorELNS0_4arch9wavefront6targetE1EEEvSC_
	.p2align	8
	.type	_ZN7rocprim17ROCPRIM_400000_NS6detail17trampoline_kernelINS0_14default_configENS1_35radix_sort_onesweep_config_selectorIiiEEZZNS1_29radix_sort_onesweep_iterationIS3_Lb0EPiS7_S7_S7_jNS0_19identity_decomposerENS1_16block_id_wrapperIjLb0EEEEE10hipError_tT1_PNSt15iterator_traitsISC_E10value_typeET2_T3_PNSD_ISI_E10value_typeET4_T5_PSN_SO_PNS1_23onesweep_lookback_stateEbbT6_jjT7_P12ihipStream_tbENKUlT_T0_SC_SH_E_clIS7_S7_S7_S7_EEDaSV_SW_SC_SH_EUlSV_E_NS1_11comp_targetILNS1_3genE4ELNS1_11target_archE910ELNS1_3gpuE8ELNS1_3repE0EEENS1_47radix_sort_onesweep_sort_config_static_selectorELNS0_4arch9wavefront6targetE1EEEvSC_,@function
_ZN7rocprim17ROCPRIM_400000_NS6detail17trampoline_kernelINS0_14default_configENS1_35radix_sort_onesweep_config_selectorIiiEEZZNS1_29radix_sort_onesweep_iterationIS3_Lb0EPiS7_S7_S7_jNS0_19identity_decomposerENS1_16block_id_wrapperIjLb0EEEEE10hipError_tT1_PNSt15iterator_traitsISC_E10value_typeET2_T3_PNSD_ISI_E10value_typeET4_T5_PSN_SO_PNS1_23onesweep_lookback_stateEbbT6_jjT7_P12ihipStream_tbENKUlT_T0_SC_SH_E_clIS7_S7_S7_S7_EEDaSV_SW_SC_SH_EUlSV_E_NS1_11comp_targetILNS1_3genE4ELNS1_11target_archE910ELNS1_3gpuE8ELNS1_3repE0EEENS1_47radix_sort_onesweep_sort_config_static_selectorELNS0_4arch9wavefront6targetE1EEEvSC_: ; @_ZN7rocprim17ROCPRIM_400000_NS6detail17trampoline_kernelINS0_14default_configENS1_35radix_sort_onesweep_config_selectorIiiEEZZNS1_29radix_sort_onesweep_iterationIS3_Lb0EPiS7_S7_S7_jNS0_19identity_decomposerENS1_16block_id_wrapperIjLb0EEEEE10hipError_tT1_PNSt15iterator_traitsISC_E10value_typeET2_T3_PNSD_ISI_E10value_typeET4_T5_PSN_SO_PNS1_23onesweep_lookback_stateEbbT6_jjT7_P12ihipStream_tbENKUlT_T0_SC_SH_E_clIS7_S7_S7_S7_EEDaSV_SW_SC_SH_EUlSV_E_NS1_11comp_targetILNS1_3genE4ELNS1_11target_archE910ELNS1_3gpuE8ELNS1_3repE0EEENS1_47radix_sort_onesweep_sort_config_static_selectorELNS0_4arch9wavefront6targetE1EEEvSC_
; %bb.0:
	s_load_dwordx8 s[40:47], s[4:5], 0x0
	s_load_dwordx4 s[52:55], s[4:5], 0x44
	s_load_dwordx4 s[48:51], s[4:5], 0x28
	s_load_dwordx2 s[56:57], s[4:5], 0x38
	v_mbcnt_lo_u32_b32 v1, -1, 0
	s_waitcnt lgkmcnt(0)
	s_cmp_ge_u32 s6, s54
	s_cbranch_scc0 .LBB380_95
; %bb.1:
	s_load_dword s2, s[4:5], 0x20
	s_lshl_b32 s3, s54, 13
	s_lshl_b32 s0, s6, 13
	s_mov_b32 s1, 0
	s_lshl_b64 s[54:55], s[0:1], 2
	s_waitcnt lgkmcnt(0)
	s_sub_i32 s7, s2, s3
	v_mbcnt_hi_u32_b32 v6, -1, v1
	v_and_b32_e32 v18, 0x3ff, v0
	s_add_u32 s0, s40, s54
	v_and_b32_e32 v4, 63, v6
	s_addc_u32 s1, s41, s55
	v_lshlrev_b32_e32 v2, 4, v18
	v_lshlrev_b32_e32 v19, 2, v4
	v_and_b32_e32 v5, 0x1c00, v2
	v_mov_b32_e32 v2, s1
	v_add_co_u32_e32 v3, vcc, s0, v19
	v_addc_co_u32_e32 v7, vcc, 0, v2, vcc
	v_lshlrev_b32_e32 v22, 2, v5
	v_add_co_u32_e32 v2, vcc, v3, v22
	v_addc_co_u32_e32 v3, vcc, 0, v7, vcc
	v_or_b32_e32 v5, v4, v5
	v_cmp_gt_u32_e32 vcc, s7, v5
	v_bfrev_b32_e32 v9, -2
	v_bfrev_b32_e32 v4, -2
	s_and_saveexec_b64 s[0:1], vcc
	s_cbranch_execz .LBB380_3
; %bb.2:
	global_load_dword v4, v[2:3], off
.LBB380_3:
	s_or_b64 exec, exec, s[0:1]
	v_or_b32_e32 v7, 64, v5
	v_cmp_gt_u32_e64 s[0:1], s7, v7
	s_and_saveexec_b64 s[2:3], s[0:1]
	s_cbranch_execz .LBB380_5
; %bb.4:
	global_load_dword v9, v[2:3], off offset:256
.LBB380_5:
	s_or_b64 exec, exec, s[2:3]
	v_or_b32_e32 v7, 0x80, v5
	v_cmp_gt_u32_e64 s[2:3], s7, v7
	v_bfrev_b32_e32 v16, -2
	v_bfrev_b32_e32 v11, -2
	s_and_saveexec_b64 s[8:9], s[2:3]
	s_cbranch_execz .LBB380_7
; %bb.6:
	global_load_dword v11, v[2:3], off offset:512
.LBB380_7:
	s_or_b64 exec, exec, s[8:9]
	v_or_b32_e32 v7, 0xc0, v5
	v_cmp_gt_u32_e64 s[36:37], s7, v7
	s_and_saveexec_b64 s[8:9], s[36:37]
	s_cbranch_execz .LBB380_9
; %bb.8:
	global_load_dword v16, v[2:3], off offset:768
.LBB380_9:
	s_or_b64 exec, exec, s[8:9]
	v_or_b32_e32 v7, 0x100, v5
	v_cmp_gt_u32_e64 s[8:9], s7, v7
	v_bfrev_b32_e32 v28, -2
	v_bfrev_b32_e32 v27, -2
	s_and_saveexec_b64 s[10:11], s[8:9]
	s_cbranch_execz .LBB380_11
; %bb.10:
	global_load_dword v27, v[2:3], off offset:1024
.LBB380_11:
	s_or_b64 exec, exec, s[10:11]
	v_or_b32_e32 v7, 0x140, v5
	v_cmp_gt_u32_e64 s[10:11], s7, v7
	s_and_saveexec_b64 s[12:13], s[10:11]
	s_cbranch_execz .LBB380_13
; %bb.12:
	global_load_dword v28, v[2:3], off offset:1280
.LBB380_13:
	s_or_b64 exec, exec, s[12:13]
	v_or_b32_e32 v7, 0x180, v5
	v_cmp_gt_u32_e64 s[12:13], s7, v7
	v_bfrev_b32_e32 v33, -2
	v_bfrev_b32_e32 v29, -2
	s_and_saveexec_b64 s[14:15], s[12:13]
	s_cbranch_execz .LBB380_15
; %bb.14:
	global_load_dword v29, v[2:3], off offset:1536
.LBB380_15:
	s_or_b64 exec, exec, s[14:15]
	v_or_b32_e32 v7, 0x1c0, v5
	v_cmp_gt_u32_e64 s[14:15], s7, v7
	s_and_saveexec_b64 s[16:17], s[14:15]
	s_cbranch_execz .LBB380_17
; %bb.16:
	global_load_dword v33, v[2:3], off offset:1792
.LBB380_17:
	s_or_b64 exec, exec, s[16:17]
	v_or_b32_e32 v7, 0x200, v5
	v_cmp_gt_u32_e64 s[16:17], s7, v7
	v_bfrev_b32_e32 v43, -2
	v_bfrev_b32_e32 v38, -2
	s_and_saveexec_b64 s[18:19], s[16:17]
	s_cbranch_execz .LBB380_19
; %bb.18:
	global_load_dword v38, v[2:3], off offset:2048
.LBB380_19:
	s_or_b64 exec, exec, s[18:19]
	v_or_b32_e32 v7, 0x240, v5
	v_cmp_gt_u32_e64 s[18:19], s7, v7
	s_and_saveexec_b64 s[20:21], s[18:19]
	s_cbranch_execz .LBB380_21
; %bb.20:
	global_load_dword v43, v[2:3], off offset:2304
.LBB380_21:
	s_or_b64 exec, exec, s[20:21]
	v_or_b32_e32 v7, 0x280, v5
	v_cmp_gt_u32_e64 s[20:21], s7, v7
	v_bfrev_b32_e32 v42, -2
	v_bfrev_b32_e32 v47, -2
	s_and_saveexec_b64 s[22:23], s[20:21]
	s_cbranch_execz .LBB380_23
; %bb.22:
	global_load_dword v47, v[2:3], off offset:2560
.LBB380_23:
	s_or_b64 exec, exec, s[22:23]
	v_or_b32_e32 v7, 0x2c0, v5
	v_cmp_gt_u32_e64 s[22:23], s7, v7
	s_and_saveexec_b64 s[24:25], s[22:23]
	s_cbranch_execz .LBB380_25
; %bb.24:
	global_load_dword v42, v[2:3], off offset:2816
.LBB380_25:
	s_or_b64 exec, exec, s[24:25]
	v_or_b32_e32 v7, 0x300, v5
	v_cmp_gt_u32_e64 s[24:25], s7, v7
	v_bfrev_b32_e32 v32, -2
	v_bfrev_b32_e32 v37, -2
	s_and_saveexec_b64 s[26:27], s[24:25]
	s_cbranch_execz .LBB380_27
; %bb.26:
	global_load_dword v37, v[2:3], off offset:3072
.LBB380_27:
	s_or_b64 exec, exec, s[26:27]
	v_or_b32_e32 v7, 0x340, v5
	v_cmp_gt_u32_e64 s[26:27], s7, v7
	s_and_saveexec_b64 s[28:29], s[26:27]
	s_cbranch_execz .LBB380_29
; %bb.28:
	global_load_dword v32, v[2:3], off offset:3328
.LBB380_29:
	s_or_b64 exec, exec, s[28:29]
	v_or_b32_e32 v7, 0x380, v5
	v_cmp_gt_u32_e64 s[28:29], s7, v7
	v_bfrev_b32_e32 v15, -2
	v_bfrev_b32_e32 v21, -2
	s_and_saveexec_b64 s[30:31], s[28:29]
	s_cbranch_execz .LBB380_31
; %bb.30:
	global_load_dword v21, v[2:3], off offset:3584
.LBB380_31:
	s_or_b64 exec, exec, s[30:31]
	v_or_b32_e32 v5, 0x3c0, v5
	v_cmp_gt_u32_e64 s[30:31], s7, v5
	s_and_saveexec_b64 s[34:35], s[30:31]
	s_cbranch_execz .LBB380_33
; %bb.32:
	global_load_dword v15, v[2:3], off offset:3840
.LBB380_33:
	s_or_b64 exec, exec, s[34:35]
	s_load_dword s34, s[4:5], 0x64
	s_load_dword s33, s[4:5], 0x58
	s_add_u32 s35, s4, 0x58
	s_addc_u32 s38, s5, 0
	v_mov_b32_e32 v2, 0
	s_waitcnt lgkmcnt(0)
	s_lshr_b32 s39, s34, 16
	s_cmp_lt_u32 s6, s33
	s_cselect_b32 s34, 12, 18
	s_add_u32 s34, s35, s34
	s_addc_u32 s35, s38, 0
	global_load_ushort v5, v2, s[34:35]
	s_waitcnt vmcnt(1)
	v_xor_b32_e32 v23, 0x80000000, v4
	s_lshl_b32 s34, -1, s53
	v_lshrrev_b32_e32 v8, s52, v23
	s_not_b32 s66, s34
	v_and_b32_e32 v8, s66, v8
	v_and_b32_e32 v12, 1, v8
	v_bfe_u32 v3, v0, 10, 10
	v_bfe_u32 v4, v0, 20, 10
	v_add_co_u32_e64 v13, s[34:35], -1, v12
	v_mad_u32_u24 v4, v4, s39, v3
	v_lshlrev_b32_e32 v3, 30, v8
	v_addc_co_u32_e64 v14, s[34:35], 0, -1, s[34:35]
	v_cmp_ne_u32_e64 s[34:35], 0, v12
	v_cmp_gt_i64_e64 s[38:39], 0, v[2:3]
	v_not_b32_e32 v12, v3
	v_lshlrev_b32_e32 v3, 29, v8
	v_xor_b32_e32 v14, s35, v14
	v_xor_b32_e32 v13, s34, v13
	v_ashrrev_i32_e32 v12, 31, v12
	v_cmp_gt_i64_e64 s[34:35], 0, v[2:3]
	v_not_b32_e32 v17, v3
	v_lshlrev_b32_e32 v3, 28, v8
	v_and_b32_e32 v14, exec_hi, v14
	v_and_b32_e32 v13, exec_lo, v13
	v_xor_b32_e32 v20, s39, v12
	v_xor_b32_e32 v12, s38, v12
	v_ashrrev_i32_e32 v17, 31, v17
	v_cmp_gt_i64_e64 s[38:39], 0, v[2:3]
	v_not_b32_e32 v24, v3
	v_lshlrev_b32_e32 v3, 27, v8
	v_and_b32_e32 v14, v14, v20
	v_and_b32_e32 v12, v13, v12
	v_xor_b32_e32 v13, s35, v17
	v_xor_b32_e32 v17, s34, v17
	v_ashrrev_i32_e32 v20, 31, v24
	v_cmp_gt_i64_e64 s[34:35], 0, v[2:3]
	v_not_b32_e32 v24, v3
	v_lshlrev_b32_e32 v3, 26, v8
	v_and_b32_e32 v13, v14, v13
	v_and_b32_e32 v12, v12, v17
	;; [unrolled: 8-line block ×3, first 2 shown]
	v_xor_b32_e32 v14, s35, v20
	v_xor_b32_e32 v17, s34, v20
	v_ashrrev_i32_e32 v20, 31, v24
	v_cmp_gt_i64_e64 s[34:35], 0, v[2:3]
	v_not_b32_e32 v24, v3
	v_lshlrev_b32_e32 v3, 24, v8
	v_lshl_add_u32 v10, v8, 3, v8
	v_and_b32_e32 v8, v13, v14
	v_and_b32_e32 v12, v12, v17
	v_xor_b32_e32 v13, s39, v20
	v_xor_b32_e32 v14, s38, v20
	v_ashrrev_i32_e32 v17, 31, v24
	v_cmp_gt_i64_e64 s[38:39], 0, v[2:3]
	v_not_b32_e32 v3, v3
	v_and_b32_e32 v8, v8, v13
	v_and_b32_e32 v12, v12, v14
	v_xor_b32_e32 v13, s35, v17
	v_xor_b32_e32 v14, s34, v17
	v_ashrrev_i32_e32 v3, 31, v3
	v_and_b32_e32 v8, v8, v13
	v_and_b32_e32 v13, v12, v14
	v_mul_u32_u24_e32 v7, 5, v18
	v_lshlrev_b32_e32 v7, 2, v7
	ds_write2_b32 v7, v2, v2 offset0:8 offset1:9
	ds_write2_b32 v7, v2, v2 offset0:10 offset1:11
	ds_write_b32 v7, v2 offset:48
	s_waitcnt lgkmcnt(0)
	s_barrier
	s_waitcnt lgkmcnt(0)
	; wave barrier
	s_waitcnt vmcnt(0)
	v_mad_u64_u32 v[4:5], s[34:35], v4, v5, v[18:19]
	v_lshrrev_b32_e32 v31, 6, v4
	v_xor_b32_e32 v4, s39, v3
	v_xor_b32_e32 v3, s38, v3
	v_and_b32_e32 v5, v8, v4
	v_and_b32_e32 v4, v13, v3
	v_mbcnt_lo_u32_b32 v3, v4, 0
	v_mbcnt_hi_u32_b32 v8, v5, v3
	v_cmp_eq_u32_e64 s[34:35], 0, v8
	v_cmp_ne_u64_e64 s[38:39], 0, v[4:5]
	v_add_lshl_u32 v12, v31, v10, 2
	s_and_b64 s[38:39], s[38:39], s[34:35]
	s_and_saveexec_b64 s[34:35], s[38:39]
	s_cbranch_execz .LBB380_35
; %bb.34:
	v_bcnt_u32_b32 v3, v4, 0
	v_bcnt_u32_b32 v3, v5, v3
	ds_write_b32 v12, v3 offset:32
.LBB380_35:
	s_or_b64 exec, exec, s[34:35]
	v_xor_b32_e32 v24, 0x80000000, v9
	v_lshrrev_b32_e32 v3, s52, v24
	v_and_b32_e32 v4, s66, v3
	v_lshl_add_u32 v3, v4, 3, v4
	v_add_lshl_u32 v13, v31, v3, 2
	v_and_b32_e32 v3, 1, v4
	v_add_co_u32_e64 v5, s[34:35], -1, v3
	v_addc_co_u32_e64 v10, s[34:35], 0, -1, s[34:35]
	v_cmp_ne_u32_e64 s[34:35], 0, v3
	v_xor_b32_e32 v3, s35, v10
	v_and_b32_e32 v10, exec_hi, v3
	v_lshlrev_b32_e32 v3, 30, v4
	v_xor_b32_e32 v5, s34, v5
	v_cmp_gt_i64_e64 s[34:35], 0, v[2:3]
	v_not_b32_e32 v3, v3
	v_ashrrev_i32_e32 v3, 31, v3
	v_and_b32_e32 v5, exec_lo, v5
	v_xor_b32_e32 v14, s35, v3
	v_xor_b32_e32 v3, s34, v3
	v_and_b32_e32 v5, v5, v3
	v_lshlrev_b32_e32 v3, 29, v4
	v_cmp_gt_i64_e64 s[34:35], 0, v[2:3]
	v_not_b32_e32 v3, v3
	v_ashrrev_i32_e32 v3, 31, v3
	v_and_b32_e32 v10, v10, v14
	v_xor_b32_e32 v14, s35, v3
	v_xor_b32_e32 v3, s34, v3
	v_and_b32_e32 v5, v5, v3
	v_lshlrev_b32_e32 v3, 28, v4
	v_cmp_gt_i64_e64 s[34:35], 0, v[2:3]
	v_not_b32_e32 v3, v3
	v_ashrrev_i32_e32 v3, 31, v3
	v_and_b32_e32 v10, v10, v14
	v_xor_b32_e32 v14, s35, v3
	v_xor_b32_e32 v3, s34, v3
	v_and_b32_e32 v5, v5, v3
	v_lshlrev_b32_e32 v3, 27, v4
	v_cmp_gt_i64_e64 s[34:35], 0, v[2:3]
	v_not_b32_e32 v3, v3
	v_ashrrev_i32_e32 v3, 31, v3
	v_and_b32_e32 v10, v10, v14
	v_xor_b32_e32 v14, s35, v3
	v_xor_b32_e32 v3, s34, v3
	v_and_b32_e32 v5, v5, v3
	v_lshlrev_b32_e32 v3, 26, v4
	v_cmp_gt_i64_e64 s[34:35], 0, v[2:3]
	v_not_b32_e32 v3, v3
	v_ashrrev_i32_e32 v3, 31, v3
	v_and_b32_e32 v10, v10, v14
	v_xor_b32_e32 v14, s35, v3
	v_xor_b32_e32 v3, s34, v3
	v_and_b32_e32 v5, v5, v3
	v_lshlrev_b32_e32 v3, 25, v4
	v_cmp_gt_i64_e64 s[34:35], 0, v[2:3]
	v_not_b32_e32 v3, v3
	v_ashrrev_i32_e32 v3, 31, v3
	v_and_b32_e32 v10, v10, v14
	v_xor_b32_e32 v14, s35, v3
	v_xor_b32_e32 v3, s34, v3
	v_and_b32_e32 v5, v5, v3
	v_lshlrev_b32_e32 v3, 24, v4
	v_cmp_gt_i64_e64 s[34:35], 0, v[2:3]
	v_not_b32_e32 v2, v3
	v_ashrrev_i32_e32 v2, 31, v2
	v_xor_b32_e32 v3, s35, v2
	v_xor_b32_e32 v2, s34, v2
	; wave barrier
	ds_read_b32 v9, v13 offset:32
	v_and_b32_e32 v10, v10, v14
	v_and_b32_e32 v2, v5, v2
	;; [unrolled: 1-line block ×3, first 2 shown]
	v_mbcnt_lo_u32_b32 v4, v2, 0
	v_mbcnt_hi_u32_b32 v10, v3, v4
	v_cmp_eq_u32_e64 s[34:35], 0, v10
	v_cmp_ne_u64_e64 s[38:39], 0, v[2:3]
	s_and_b64 s[38:39], s[38:39], s[34:35]
	; wave barrier
	s_and_saveexec_b64 s[34:35], s[38:39]
	s_cbranch_execz .LBB380_37
; %bb.36:
	v_bcnt_u32_b32 v2, v2, 0
	v_bcnt_u32_b32 v2, v3, v2
	s_waitcnt lgkmcnt(0)
	v_add_u32_e32 v2, v9, v2
	ds_write_b32 v13, v2 offset:32
.LBB380_37:
	s_or_b64 exec, exec, s[34:35]
	v_xor_b32_e32 v25, 0x80000000, v11
	v_lshrrev_b32_e32 v2, s52, v25
	v_and_b32_e32 v4, s66, v2
	v_and_b32_e32 v3, 1, v4
	v_add_co_u32_e64 v5, s[34:35], -1, v3
	v_addc_co_u32_e64 v14, s[34:35], 0, -1, s[34:35]
	v_cmp_ne_u32_e64 s[34:35], 0, v3
	v_lshl_add_u32 v2, v4, 3, v4
	v_xor_b32_e32 v3, s35, v14
	v_add_lshl_u32 v17, v31, v2, 2
	v_mov_b32_e32 v2, 0
	v_and_b32_e32 v14, exec_hi, v3
	v_lshlrev_b32_e32 v3, 30, v4
	v_xor_b32_e32 v5, s34, v5
	v_cmp_gt_i64_e64 s[34:35], 0, v[2:3]
	v_not_b32_e32 v3, v3
	v_ashrrev_i32_e32 v3, 31, v3
	v_and_b32_e32 v5, exec_lo, v5
	v_xor_b32_e32 v20, s35, v3
	v_xor_b32_e32 v3, s34, v3
	v_and_b32_e32 v5, v5, v3
	v_lshlrev_b32_e32 v3, 29, v4
	v_cmp_gt_i64_e64 s[34:35], 0, v[2:3]
	v_not_b32_e32 v3, v3
	v_ashrrev_i32_e32 v3, 31, v3
	v_and_b32_e32 v14, v14, v20
	v_xor_b32_e32 v20, s35, v3
	v_xor_b32_e32 v3, s34, v3
	v_and_b32_e32 v5, v5, v3
	v_lshlrev_b32_e32 v3, 28, v4
	v_cmp_gt_i64_e64 s[34:35], 0, v[2:3]
	v_not_b32_e32 v3, v3
	v_ashrrev_i32_e32 v3, 31, v3
	v_and_b32_e32 v14, v14, v20
	;; [unrolled: 8-line block ×5, first 2 shown]
	v_xor_b32_e32 v20, s35, v3
	v_xor_b32_e32 v3, s34, v3
	v_and_b32_e32 v14, v14, v20
	v_and_b32_e32 v20, v5, v3
	v_lshlrev_b32_e32 v3, 24, v4
	v_cmp_gt_i64_e64 s[34:35], 0, v[2:3]
	v_not_b32_e32 v3, v3
	v_ashrrev_i32_e32 v3, 31, v3
	v_xor_b32_e32 v4, s35, v3
	v_xor_b32_e32 v3, s34, v3
	; wave barrier
	ds_read_b32 v11, v17 offset:32
	v_and_b32_e32 v5, v14, v4
	v_and_b32_e32 v4, v20, v3
	v_mbcnt_lo_u32_b32 v3, v4, 0
	v_mbcnt_hi_u32_b32 v14, v5, v3
	v_cmp_eq_u32_e64 s[34:35], 0, v14
	v_cmp_ne_u64_e64 s[38:39], 0, v[4:5]
	s_and_b64 s[38:39], s[38:39], s[34:35]
	; wave barrier
	s_and_saveexec_b64 s[34:35], s[38:39]
	s_cbranch_execz .LBB380_39
; %bb.38:
	v_bcnt_u32_b32 v3, v4, 0
	v_bcnt_u32_b32 v3, v5, v3
	s_waitcnt lgkmcnt(0)
	v_add_u32_e32 v3, v11, v3
	ds_write_b32 v17, v3 offset:32
.LBB380_39:
	s_or_b64 exec, exec, s[34:35]
	v_xor_b32_e32 v26, 0x80000000, v16
	v_lshrrev_b32_e32 v3, s52, v26
	v_and_b32_e32 v4, s66, v3
	v_lshl_add_u32 v3, v4, 3, v4
	v_add_lshl_u32 v34, v31, v3, 2
	v_and_b32_e32 v3, 1, v4
	v_add_co_u32_e64 v5, s[34:35], -1, v3
	v_addc_co_u32_e64 v20, s[34:35], 0, -1, s[34:35]
	v_cmp_ne_u32_e64 s[34:35], 0, v3
	v_xor_b32_e32 v3, s35, v20
	v_and_b32_e32 v20, exec_hi, v3
	v_lshlrev_b32_e32 v3, 30, v4
	v_xor_b32_e32 v5, s34, v5
	v_cmp_gt_i64_e64 s[34:35], 0, v[2:3]
	v_not_b32_e32 v3, v3
	v_ashrrev_i32_e32 v3, 31, v3
	v_and_b32_e32 v5, exec_lo, v5
	v_xor_b32_e32 v30, s35, v3
	v_xor_b32_e32 v3, s34, v3
	v_and_b32_e32 v5, v5, v3
	v_lshlrev_b32_e32 v3, 29, v4
	v_cmp_gt_i64_e64 s[34:35], 0, v[2:3]
	v_not_b32_e32 v3, v3
	v_ashrrev_i32_e32 v3, 31, v3
	v_and_b32_e32 v20, v20, v30
	v_xor_b32_e32 v30, s35, v3
	v_xor_b32_e32 v3, s34, v3
	v_and_b32_e32 v5, v5, v3
	v_lshlrev_b32_e32 v3, 28, v4
	v_cmp_gt_i64_e64 s[34:35], 0, v[2:3]
	v_not_b32_e32 v3, v3
	v_ashrrev_i32_e32 v3, 31, v3
	v_and_b32_e32 v20, v20, v30
	;; [unrolled: 8-line block ×5, first 2 shown]
	v_xor_b32_e32 v30, s35, v3
	v_xor_b32_e32 v3, s34, v3
	v_and_b32_e32 v5, v5, v3
	v_lshlrev_b32_e32 v3, 24, v4
	v_cmp_gt_i64_e64 s[34:35], 0, v[2:3]
	v_not_b32_e32 v2, v3
	v_ashrrev_i32_e32 v2, 31, v2
	v_xor_b32_e32 v3, s35, v2
	v_xor_b32_e32 v2, s34, v2
	; wave barrier
	ds_read_b32 v16, v34 offset:32
	v_and_b32_e32 v20, v20, v30
	v_and_b32_e32 v2, v5, v2
	;; [unrolled: 1-line block ×3, first 2 shown]
	v_mbcnt_lo_u32_b32 v4, v2, 0
	v_mbcnt_hi_u32_b32 v20, v3, v4
	v_cmp_eq_u32_e64 s[34:35], 0, v20
	v_cmp_ne_u64_e64 s[38:39], 0, v[2:3]
	s_and_b64 s[38:39], s[38:39], s[34:35]
	; wave barrier
	s_and_saveexec_b64 s[34:35], s[38:39]
	s_cbranch_execz .LBB380_41
; %bb.40:
	v_bcnt_u32_b32 v2, v2, 0
	v_bcnt_u32_b32 v2, v3, v2
	s_waitcnt lgkmcnt(0)
	v_add_u32_e32 v2, v16, v2
	ds_write_b32 v34, v2 offset:32
.LBB380_41:
	s_or_b64 exec, exec, s[34:35]
	v_xor_b32_e32 v27, 0x80000000, v27
	v_lshrrev_b32_e32 v2, s52, v27
	v_and_b32_e32 v4, s66, v2
	v_and_b32_e32 v3, 1, v4
	v_add_co_u32_e64 v5, s[34:35], -1, v3
	v_addc_co_u32_e64 v35, s[34:35], 0, -1, s[34:35]
	v_cmp_ne_u32_e64 s[34:35], 0, v3
	v_lshl_add_u32 v2, v4, 3, v4
	v_xor_b32_e32 v3, s35, v35
	v_add_lshl_u32 v39, v31, v2, 2
	v_mov_b32_e32 v2, 0
	v_and_b32_e32 v35, exec_hi, v3
	v_lshlrev_b32_e32 v3, 30, v4
	v_xor_b32_e32 v5, s34, v5
	v_cmp_gt_i64_e64 s[34:35], 0, v[2:3]
	v_not_b32_e32 v3, v3
	v_ashrrev_i32_e32 v3, 31, v3
	v_and_b32_e32 v5, exec_lo, v5
	v_xor_b32_e32 v36, s35, v3
	v_xor_b32_e32 v3, s34, v3
	v_and_b32_e32 v5, v5, v3
	v_lshlrev_b32_e32 v3, 29, v4
	v_cmp_gt_i64_e64 s[34:35], 0, v[2:3]
	v_not_b32_e32 v3, v3
	v_ashrrev_i32_e32 v3, 31, v3
	v_and_b32_e32 v35, v35, v36
	v_xor_b32_e32 v36, s35, v3
	v_xor_b32_e32 v3, s34, v3
	v_and_b32_e32 v5, v5, v3
	v_lshlrev_b32_e32 v3, 28, v4
	v_cmp_gt_i64_e64 s[34:35], 0, v[2:3]
	v_not_b32_e32 v3, v3
	v_ashrrev_i32_e32 v3, 31, v3
	v_and_b32_e32 v35, v35, v36
	;; [unrolled: 8-line block ×5, first 2 shown]
	v_xor_b32_e32 v36, s35, v3
	v_xor_b32_e32 v3, s34, v3
	v_and_b32_e32 v35, v35, v36
	v_and_b32_e32 v36, v5, v3
	v_lshlrev_b32_e32 v3, 24, v4
	v_cmp_gt_i64_e64 s[34:35], 0, v[2:3]
	v_not_b32_e32 v3, v3
	v_ashrrev_i32_e32 v3, 31, v3
	v_xor_b32_e32 v4, s35, v3
	v_xor_b32_e32 v3, s34, v3
	; wave barrier
	ds_read_b32 v30, v39 offset:32
	v_and_b32_e32 v5, v35, v4
	v_and_b32_e32 v4, v36, v3
	v_mbcnt_lo_u32_b32 v3, v4, 0
	v_mbcnt_hi_u32_b32 v35, v5, v3
	v_cmp_eq_u32_e64 s[34:35], 0, v35
	v_cmp_ne_u64_e64 s[38:39], 0, v[4:5]
	s_and_b64 s[38:39], s[38:39], s[34:35]
	; wave barrier
	s_and_saveexec_b64 s[34:35], s[38:39]
	s_cbranch_execz .LBB380_43
; %bb.42:
	v_bcnt_u32_b32 v3, v4, 0
	v_bcnt_u32_b32 v3, v5, v3
	s_waitcnt lgkmcnt(0)
	v_add_u32_e32 v3, v30, v3
	ds_write_b32 v39, v3 offset:32
.LBB380_43:
	s_or_b64 exec, exec, s[34:35]
	v_xor_b32_e32 v28, 0x80000000, v28
	v_lshrrev_b32_e32 v3, s52, v28
	v_and_b32_e32 v4, s66, v3
	v_lshl_add_u32 v3, v4, 3, v4
	v_add_lshl_u32 v44, v31, v3, 2
	v_and_b32_e32 v3, 1, v4
	v_add_co_u32_e64 v5, s[34:35], -1, v3
	v_addc_co_u32_e64 v40, s[34:35], 0, -1, s[34:35]
	v_cmp_ne_u32_e64 s[34:35], 0, v3
	v_xor_b32_e32 v3, s35, v40
	v_and_b32_e32 v40, exec_hi, v3
	v_lshlrev_b32_e32 v3, 30, v4
	v_xor_b32_e32 v5, s34, v5
	v_cmp_gt_i64_e64 s[34:35], 0, v[2:3]
	v_not_b32_e32 v3, v3
	v_ashrrev_i32_e32 v3, 31, v3
	v_and_b32_e32 v5, exec_lo, v5
	v_xor_b32_e32 v41, s35, v3
	v_xor_b32_e32 v3, s34, v3
	v_and_b32_e32 v5, v5, v3
	v_lshlrev_b32_e32 v3, 29, v4
	v_cmp_gt_i64_e64 s[34:35], 0, v[2:3]
	v_not_b32_e32 v3, v3
	v_ashrrev_i32_e32 v3, 31, v3
	v_and_b32_e32 v40, v40, v41
	v_xor_b32_e32 v41, s35, v3
	v_xor_b32_e32 v3, s34, v3
	v_and_b32_e32 v5, v5, v3
	v_lshlrev_b32_e32 v3, 28, v4
	v_cmp_gt_i64_e64 s[34:35], 0, v[2:3]
	v_not_b32_e32 v3, v3
	v_ashrrev_i32_e32 v3, 31, v3
	v_and_b32_e32 v40, v40, v41
	;; [unrolled: 8-line block ×5, first 2 shown]
	v_xor_b32_e32 v41, s35, v3
	v_xor_b32_e32 v3, s34, v3
	v_and_b32_e32 v5, v5, v3
	v_lshlrev_b32_e32 v3, 24, v4
	v_cmp_gt_i64_e64 s[34:35], 0, v[2:3]
	v_not_b32_e32 v2, v3
	v_ashrrev_i32_e32 v2, 31, v2
	v_xor_b32_e32 v3, s35, v2
	v_xor_b32_e32 v2, s34, v2
	; wave barrier
	ds_read_b32 v36, v44 offset:32
	v_and_b32_e32 v40, v40, v41
	v_and_b32_e32 v2, v5, v2
	v_and_b32_e32 v3, v40, v3
	v_mbcnt_lo_u32_b32 v4, v2, 0
	v_mbcnt_hi_u32_b32 v40, v3, v4
	v_cmp_eq_u32_e64 s[34:35], 0, v40
	v_cmp_ne_u64_e64 s[38:39], 0, v[2:3]
	s_and_b64 s[38:39], s[38:39], s[34:35]
	; wave barrier
	s_and_saveexec_b64 s[34:35], s[38:39]
	s_cbranch_execz .LBB380_45
; %bb.44:
	v_bcnt_u32_b32 v2, v2, 0
	v_bcnt_u32_b32 v2, v3, v2
	s_waitcnt lgkmcnt(0)
	v_add_u32_e32 v2, v36, v2
	ds_write_b32 v44, v2 offset:32
.LBB380_45:
	s_or_b64 exec, exec, s[34:35]
	v_xor_b32_e32 v29, 0x80000000, v29
	v_lshrrev_b32_e32 v2, s52, v29
	v_and_b32_e32 v4, s66, v2
	v_and_b32_e32 v3, 1, v4
	v_add_co_u32_e64 v5, s[34:35], -1, v3
	v_addc_co_u32_e64 v45, s[34:35], 0, -1, s[34:35]
	v_cmp_ne_u32_e64 s[34:35], 0, v3
	v_lshl_add_u32 v2, v4, 3, v4
	v_xor_b32_e32 v3, s35, v45
	v_add_lshl_u32 v48, v31, v2, 2
	v_mov_b32_e32 v2, 0
	v_and_b32_e32 v45, exec_hi, v3
	v_lshlrev_b32_e32 v3, 30, v4
	v_xor_b32_e32 v5, s34, v5
	v_cmp_gt_i64_e64 s[34:35], 0, v[2:3]
	v_not_b32_e32 v3, v3
	v_ashrrev_i32_e32 v3, 31, v3
	v_and_b32_e32 v5, exec_lo, v5
	v_xor_b32_e32 v46, s35, v3
	v_xor_b32_e32 v3, s34, v3
	v_and_b32_e32 v5, v5, v3
	v_lshlrev_b32_e32 v3, 29, v4
	v_cmp_gt_i64_e64 s[34:35], 0, v[2:3]
	v_not_b32_e32 v3, v3
	v_ashrrev_i32_e32 v3, 31, v3
	v_and_b32_e32 v45, v45, v46
	v_xor_b32_e32 v46, s35, v3
	v_xor_b32_e32 v3, s34, v3
	v_and_b32_e32 v5, v5, v3
	v_lshlrev_b32_e32 v3, 28, v4
	v_cmp_gt_i64_e64 s[34:35], 0, v[2:3]
	v_not_b32_e32 v3, v3
	v_ashrrev_i32_e32 v3, 31, v3
	v_and_b32_e32 v45, v45, v46
	;; [unrolled: 8-line block ×5, first 2 shown]
	v_xor_b32_e32 v46, s35, v3
	v_xor_b32_e32 v3, s34, v3
	v_and_b32_e32 v45, v45, v46
	v_and_b32_e32 v46, v5, v3
	v_lshlrev_b32_e32 v3, 24, v4
	v_cmp_gt_i64_e64 s[34:35], 0, v[2:3]
	v_not_b32_e32 v3, v3
	v_ashrrev_i32_e32 v3, 31, v3
	v_xor_b32_e32 v4, s35, v3
	v_xor_b32_e32 v3, s34, v3
	; wave barrier
	ds_read_b32 v41, v48 offset:32
	v_and_b32_e32 v5, v45, v4
	v_and_b32_e32 v4, v46, v3
	v_mbcnt_lo_u32_b32 v3, v4, 0
	v_mbcnt_hi_u32_b32 v45, v5, v3
	v_cmp_eq_u32_e64 s[34:35], 0, v45
	v_cmp_ne_u64_e64 s[38:39], 0, v[4:5]
	s_and_b64 s[38:39], s[38:39], s[34:35]
	; wave barrier
	s_and_saveexec_b64 s[34:35], s[38:39]
	s_cbranch_execz .LBB380_47
; %bb.46:
	v_bcnt_u32_b32 v3, v4, 0
	v_bcnt_u32_b32 v3, v5, v3
	s_waitcnt lgkmcnt(0)
	v_add_u32_e32 v3, v41, v3
	ds_write_b32 v48, v3 offset:32
.LBB380_47:
	s_or_b64 exec, exec, s[34:35]
	v_xor_b32_e32 v33, 0x80000000, v33
	v_lshrrev_b32_e32 v3, s52, v33
	v_and_b32_e32 v4, s66, v3
	v_lshl_add_u32 v3, v4, 3, v4
	v_add_lshl_u32 v51, v31, v3, 2
	v_and_b32_e32 v3, 1, v4
	v_add_co_u32_e64 v5, s[34:35], -1, v3
	v_addc_co_u32_e64 v49, s[34:35], 0, -1, s[34:35]
	v_cmp_ne_u32_e64 s[34:35], 0, v3
	v_xor_b32_e32 v3, s35, v49
	v_and_b32_e32 v49, exec_hi, v3
	v_lshlrev_b32_e32 v3, 30, v4
	v_xor_b32_e32 v5, s34, v5
	v_cmp_gt_i64_e64 s[34:35], 0, v[2:3]
	v_not_b32_e32 v3, v3
	v_ashrrev_i32_e32 v3, 31, v3
	v_and_b32_e32 v5, exec_lo, v5
	v_xor_b32_e32 v50, s35, v3
	v_xor_b32_e32 v3, s34, v3
	v_and_b32_e32 v5, v5, v3
	v_lshlrev_b32_e32 v3, 29, v4
	v_cmp_gt_i64_e64 s[34:35], 0, v[2:3]
	v_not_b32_e32 v3, v3
	v_ashrrev_i32_e32 v3, 31, v3
	v_and_b32_e32 v49, v49, v50
	v_xor_b32_e32 v50, s35, v3
	v_xor_b32_e32 v3, s34, v3
	v_and_b32_e32 v5, v5, v3
	v_lshlrev_b32_e32 v3, 28, v4
	v_cmp_gt_i64_e64 s[34:35], 0, v[2:3]
	v_not_b32_e32 v3, v3
	v_ashrrev_i32_e32 v3, 31, v3
	v_and_b32_e32 v49, v49, v50
	;; [unrolled: 8-line block ×5, first 2 shown]
	v_xor_b32_e32 v50, s35, v3
	v_xor_b32_e32 v3, s34, v3
	v_and_b32_e32 v5, v5, v3
	v_lshlrev_b32_e32 v3, 24, v4
	v_cmp_gt_i64_e64 s[34:35], 0, v[2:3]
	v_not_b32_e32 v2, v3
	v_ashrrev_i32_e32 v2, 31, v2
	v_xor_b32_e32 v3, s35, v2
	v_xor_b32_e32 v2, s34, v2
	; wave barrier
	ds_read_b32 v46, v51 offset:32
	v_and_b32_e32 v49, v49, v50
	v_and_b32_e32 v2, v5, v2
	;; [unrolled: 1-line block ×3, first 2 shown]
	v_mbcnt_lo_u32_b32 v4, v2, 0
	v_mbcnt_hi_u32_b32 v49, v3, v4
	v_cmp_eq_u32_e64 s[34:35], 0, v49
	v_cmp_ne_u64_e64 s[38:39], 0, v[2:3]
	s_and_b64 s[38:39], s[38:39], s[34:35]
	; wave barrier
	s_and_saveexec_b64 s[34:35], s[38:39]
	s_cbranch_execz .LBB380_49
; %bb.48:
	v_bcnt_u32_b32 v2, v2, 0
	v_bcnt_u32_b32 v2, v3, v2
	s_waitcnt lgkmcnt(0)
	v_add_u32_e32 v2, v46, v2
	ds_write_b32 v51, v2 offset:32
.LBB380_49:
	s_or_b64 exec, exec, s[34:35]
	v_xor_b32_e32 v38, 0x80000000, v38
	v_lshrrev_b32_e32 v2, s52, v38
	v_and_b32_e32 v4, s66, v2
	v_and_b32_e32 v3, 1, v4
	v_add_co_u32_e64 v5, s[34:35], -1, v3
	v_addc_co_u32_e64 v52, s[34:35], 0, -1, s[34:35]
	v_cmp_ne_u32_e64 s[34:35], 0, v3
	v_lshl_add_u32 v2, v4, 3, v4
	v_xor_b32_e32 v3, s35, v52
	v_add_lshl_u32 v54, v31, v2, 2
	v_mov_b32_e32 v2, 0
	v_and_b32_e32 v52, exec_hi, v3
	v_lshlrev_b32_e32 v3, 30, v4
	v_xor_b32_e32 v5, s34, v5
	v_cmp_gt_i64_e64 s[34:35], 0, v[2:3]
	v_not_b32_e32 v3, v3
	v_ashrrev_i32_e32 v3, 31, v3
	v_and_b32_e32 v5, exec_lo, v5
	v_xor_b32_e32 v53, s35, v3
	v_xor_b32_e32 v3, s34, v3
	v_and_b32_e32 v5, v5, v3
	v_lshlrev_b32_e32 v3, 29, v4
	v_cmp_gt_i64_e64 s[34:35], 0, v[2:3]
	v_not_b32_e32 v3, v3
	v_ashrrev_i32_e32 v3, 31, v3
	v_and_b32_e32 v52, v52, v53
	v_xor_b32_e32 v53, s35, v3
	v_xor_b32_e32 v3, s34, v3
	v_and_b32_e32 v5, v5, v3
	v_lshlrev_b32_e32 v3, 28, v4
	v_cmp_gt_i64_e64 s[34:35], 0, v[2:3]
	v_not_b32_e32 v3, v3
	v_ashrrev_i32_e32 v3, 31, v3
	v_and_b32_e32 v52, v52, v53
	;; [unrolled: 8-line block ×5, first 2 shown]
	v_xor_b32_e32 v53, s35, v3
	v_xor_b32_e32 v3, s34, v3
	v_and_b32_e32 v52, v52, v53
	v_and_b32_e32 v53, v5, v3
	v_lshlrev_b32_e32 v3, 24, v4
	v_cmp_gt_i64_e64 s[34:35], 0, v[2:3]
	v_not_b32_e32 v3, v3
	v_ashrrev_i32_e32 v3, 31, v3
	v_xor_b32_e32 v4, s35, v3
	v_xor_b32_e32 v3, s34, v3
	; wave barrier
	ds_read_b32 v50, v54 offset:32
	v_and_b32_e32 v5, v52, v4
	v_and_b32_e32 v4, v53, v3
	v_mbcnt_lo_u32_b32 v3, v4, 0
	v_mbcnt_hi_u32_b32 v52, v5, v3
	v_cmp_eq_u32_e64 s[34:35], 0, v52
	v_cmp_ne_u64_e64 s[38:39], 0, v[4:5]
	s_and_b64 s[38:39], s[38:39], s[34:35]
	; wave barrier
	s_and_saveexec_b64 s[34:35], s[38:39]
	s_cbranch_execz .LBB380_51
; %bb.50:
	v_bcnt_u32_b32 v3, v4, 0
	v_bcnt_u32_b32 v3, v5, v3
	s_waitcnt lgkmcnt(0)
	v_add_u32_e32 v3, v50, v3
	ds_write_b32 v54, v3 offset:32
.LBB380_51:
	s_or_b64 exec, exec, s[34:35]
	v_xor_b32_e32 v43, 0x80000000, v43
	v_lshrrev_b32_e32 v3, s52, v43
	v_and_b32_e32 v4, s66, v3
	v_lshl_add_u32 v3, v4, 3, v4
	v_add_lshl_u32 v57, v31, v3, 2
	v_and_b32_e32 v3, 1, v4
	v_add_co_u32_e64 v5, s[34:35], -1, v3
	v_addc_co_u32_e64 v55, s[34:35], 0, -1, s[34:35]
	v_cmp_ne_u32_e64 s[34:35], 0, v3
	v_xor_b32_e32 v3, s35, v55
	v_and_b32_e32 v55, exec_hi, v3
	v_lshlrev_b32_e32 v3, 30, v4
	v_xor_b32_e32 v5, s34, v5
	v_cmp_gt_i64_e64 s[34:35], 0, v[2:3]
	v_not_b32_e32 v3, v3
	v_ashrrev_i32_e32 v3, 31, v3
	v_and_b32_e32 v5, exec_lo, v5
	v_xor_b32_e32 v56, s35, v3
	v_xor_b32_e32 v3, s34, v3
	v_and_b32_e32 v5, v5, v3
	v_lshlrev_b32_e32 v3, 29, v4
	v_cmp_gt_i64_e64 s[34:35], 0, v[2:3]
	v_not_b32_e32 v3, v3
	v_ashrrev_i32_e32 v3, 31, v3
	v_and_b32_e32 v55, v55, v56
	v_xor_b32_e32 v56, s35, v3
	v_xor_b32_e32 v3, s34, v3
	v_and_b32_e32 v5, v5, v3
	v_lshlrev_b32_e32 v3, 28, v4
	v_cmp_gt_i64_e64 s[34:35], 0, v[2:3]
	v_not_b32_e32 v3, v3
	v_ashrrev_i32_e32 v3, 31, v3
	v_and_b32_e32 v55, v55, v56
	;; [unrolled: 8-line block ×5, first 2 shown]
	v_xor_b32_e32 v56, s35, v3
	v_xor_b32_e32 v3, s34, v3
	v_and_b32_e32 v5, v5, v3
	v_lshlrev_b32_e32 v3, 24, v4
	v_cmp_gt_i64_e64 s[34:35], 0, v[2:3]
	v_not_b32_e32 v2, v3
	v_ashrrev_i32_e32 v2, 31, v2
	v_xor_b32_e32 v3, s35, v2
	v_xor_b32_e32 v2, s34, v2
	; wave barrier
	ds_read_b32 v53, v57 offset:32
	v_and_b32_e32 v55, v55, v56
	v_and_b32_e32 v2, v5, v2
	;; [unrolled: 1-line block ×3, first 2 shown]
	v_mbcnt_lo_u32_b32 v4, v2, 0
	v_mbcnt_hi_u32_b32 v55, v3, v4
	v_cmp_eq_u32_e64 s[34:35], 0, v55
	v_cmp_ne_u64_e64 s[38:39], 0, v[2:3]
	s_and_b64 s[38:39], s[38:39], s[34:35]
	; wave barrier
	s_and_saveexec_b64 s[34:35], s[38:39]
	s_cbranch_execz .LBB380_53
; %bb.52:
	v_bcnt_u32_b32 v2, v2, 0
	v_bcnt_u32_b32 v2, v3, v2
	s_waitcnt lgkmcnt(0)
	v_add_u32_e32 v2, v53, v2
	ds_write_b32 v57, v2 offset:32
.LBB380_53:
	s_or_b64 exec, exec, s[34:35]
	v_xor_b32_e32 v47, 0x80000000, v47
	v_lshrrev_b32_e32 v2, s52, v47
	v_and_b32_e32 v4, s66, v2
	v_and_b32_e32 v3, 1, v4
	v_add_co_u32_e64 v5, s[34:35], -1, v3
	v_addc_co_u32_e64 v58, s[34:35], 0, -1, s[34:35]
	v_cmp_ne_u32_e64 s[34:35], 0, v3
	v_lshl_add_u32 v2, v4, 3, v4
	v_xor_b32_e32 v3, s35, v58
	v_add_lshl_u32 v60, v31, v2, 2
	v_mov_b32_e32 v2, 0
	v_and_b32_e32 v58, exec_hi, v3
	v_lshlrev_b32_e32 v3, 30, v4
	v_xor_b32_e32 v5, s34, v5
	v_cmp_gt_i64_e64 s[34:35], 0, v[2:3]
	v_not_b32_e32 v3, v3
	v_ashrrev_i32_e32 v3, 31, v3
	v_and_b32_e32 v5, exec_lo, v5
	v_xor_b32_e32 v59, s35, v3
	v_xor_b32_e32 v3, s34, v3
	v_and_b32_e32 v5, v5, v3
	v_lshlrev_b32_e32 v3, 29, v4
	v_cmp_gt_i64_e64 s[34:35], 0, v[2:3]
	v_not_b32_e32 v3, v3
	v_ashrrev_i32_e32 v3, 31, v3
	v_and_b32_e32 v58, v58, v59
	v_xor_b32_e32 v59, s35, v3
	v_xor_b32_e32 v3, s34, v3
	v_and_b32_e32 v5, v5, v3
	v_lshlrev_b32_e32 v3, 28, v4
	v_cmp_gt_i64_e64 s[34:35], 0, v[2:3]
	v_not_b32_e32 v3, v3
	v_ashrrev_i32_e32 v3, 31, v3
	v_and_b32_e32 v58, v58, v59
	v_xor_b32_e32 v59, s35, v3
	v_xor_b32_e32 v3, s34, v3
	v_and_b32_e32 v5, v5, v3
	v_lshlrev_b32_e32 v3, 27, v4
	v_cmp_gt_i64_e64 s[34:35], 0, v[2:3]
	v_not_b32_e32 v3, v3
	v_ashrrev_i32_e32 v3, 31, v3
	v_and_b32_e32 v58, v58, v59
	v_xor_b32_e32 v59, s35, v3
	v_xor_b32_e32 v3, s34, v3
	v_and_b32_e32 v5, v5, v3
	v_lshlrev_b32_e32 v3, 26, v4
	v_cmp_gt_i64_e64 s[34:35], 0, v[2:3]
	v_not_b32_e32 v3, v3
	v_ashrrev_i32_e32 v3, 31, v3
	v_and_b32_e32 v58, v58, v59
	v_xor_b32_e32 v59, s35, v3
	v_xor_b32_e32 v3, s34, v3
	v_and_b32_e32 v5, v5, v3
	v_lshlrev_b32_e32 v3, 25, v4
	v_cmp_gt_i64_e64 s[34:35], 0, v[2:3]
	v_not_b32_e32 v3, v3
	v_ashrrev_i32_e32 v3, 31, v3
	v_and_b32_e32 v58, v58, v59
	v_xor_b32_e32 v59, s35, v3
	v_xor_b32_e32 v3, s34, v3
	v_and_b32_e32 v58, v58, v59
	v_and_b32_e32 v59, v5, v3
	v_lshlrev_b32_e32 v3, 24, v4
	v_cmp_gt_i64_e64 s[34:35], 0, v[2:3]
	v_not_b32_e32 v3, v3
	v_ashrrev_i32_e32 v3, 31, v3
	v_xor_b32_e32 v4, s35, v3
	v_xor_b32_e32 v3, s34, v3
	; wave barrier
	ds_read_b32 v56, v60 offset:32
	v_and_b32_e32 v5, v58, v4
	v_and_b32_e32 v4, v59, v3
	v_mbcnt_lo_u32_b32 v3, v4, 0
	v_mbcnt_hi_u32_b32 v58, v5, v3
	v_cmp_eq_u32_e64 s[34:35], 0, v58
	v_cmp_ne_u64_e64 s[38:39], 0, v[4:5]
	s_and_b64 s[38:39], s[38:39], s[34:35]
	; wave barrier
	s_and_saveexec_b64 s[34:35], s[38:39]
	s_cbranch_execz .LBB380_55
; %bb.54:
	v_bcnt_u32_b32 v3, v4, 0
	v_bcnt_u32_b32 v3, v5, v3
	s_waitcnt lgkmcnt(0)
	v_add_u32_e32 v3, v56, v3
	ds_write_b32 v60, v3 offset:32
.LBB380_55:
	s_or_b64 exec, exec, s[34:35]
	v_xor_b32_e32 v42, 0x80000000, v42
	v_lshrrev_b32_e32 v3, s52, v42
	v_and_b32_e32 v4, s66, v3
	v_lshl_add_u32 v3, v4, 3, v4
	v_add_lshl_u32 v64, v31, v3, 2
	v_and_b32_e32 v3, 1, v4
	v_add_co_u32_e64 v5, s[34:35], -1, v3
	v_addc_co_u32_e64 v61, s[34:35], 0, -1, s[34:35]
	v_cmp_ne_u32_e64 s[34:35], 0, v3
	v_xor_b32_e32 v3, s35, v61
	v_and_b32_e32 v61, exec_hi, v3
	v_lshlrev_b32_e32 v3, 30, v4
	v_xor_b32_e32 v5, s34, v5
	v_cmp_gt_i64_e64 s[34:35], 0, v[2:3]
	v_not_b32_e32 v3, v3
	v_ashrrev_i32_e32 v3, 31, v3
	v_and_b32_e32 v5, exec_lo, v5
	v_xor_b32_e32 v62, s35, v3
	v_xor_b32_e32 v3, s34, v3
	v_and_b32_e32 v5, v5, v3
	v_lshlrev_b32_e32 v3, 29, v4
	v_cmp_gt_i64_e64 s[34:35], 0, v[2:3]
	v_not_b32_e32 v3, v3
	v_ashrrev_i32_e32 v3, 31, v3
	v_and_b32_e32 v61, v61, v62
	v_xor_b32_e32 v62, s35, v3
	v_xor_b32_e32 v3, s34, v3
	v_and_b32_e32 v5, v5, v3
	v_lshlrev_b32_e32 v3, 28, v4
	v_cmp_gt_i64_e64 s[34:35], 0, v[2:3]
	v_not_b32_e32 v3, v3
	v_ashrrev_i32_e32 v3, 31, v3
	v_and_b32_e32 v61, v61, v62
	v_xor_b32_e32 v62, s35, v3
	v_xor_b32_e32 v3, s34, v3
	v_and_b32_e32 v5, v5, v3
	v_lshlrev_b32_e32 v3, 27, v4
	v_cmp_gt_i64_e64 s[34:35], 0, v[2:3]
	v_not_b32_e32 v3, v3
	v_ashrrev_i32_e32 v3, 31, v3
	v_and_b32_e32 v61, v61, v62
	v_xor_b32_e32 v62, s35, v3
	v_xor_b32_e32 v3, s34, v3
	v_and_b32_e32 v5, v5, v3
	v_lshlrev_b32_e32 v3, 26, v4
	v_cmp_gt_i64_e64 s[34:35], 0, v[2:3]
	v_not_b32_e32 v3, v3
	v_ashrrev_i32_e32 v3, 31, v3
	v_and_b32_e32 v61, v61, v62
	v_xor_b32_e32 v62, s35, v3
	v_xor_b32_e32 v3, s34, v3
	v_and_b32_e32 v5, v5, v3
	v_lshlrev_b32_e32 v3, 25, v4
	v_cmp_gt_i64_e64 s[34:35], 0, v[2:3]
	v_not_b32_e32 v3, v3
	v_ashrrev_i32_e32 v3, 31, v3
	v_and_b32_e32 v61, v61, v62
	v_xor_b32_e32 v62, s35, v3
	v_xor_b32_e32 v3, s34, v3
	v_and_b32_e32 v5, v5, v3
	v_lshlrev_b32_e32 v3, 24, v4
	v_cmp_gt_i64_e64 s[34:35], 0, v[2:3]
	v_not_b32_e32 v2, v3
	v_ashrrev_i32_e32 v2, 31, v2
	v_xor_b32_e32 v3, s35, v2
	v_xor_b32_e32 v2, s34, v2
	; wave barrier
	ds_read_b32 v59, v64 offset:32
	v_and_b32_e32 v61, v61, v62
	v_and_b32_e32 v2, v5, v2
	;; [unrolled: 1-line block ×3, first 2 shown]
	v_mbcnt_lo_u32_b32 v4, v2, 0
	v_mbcnt_hi_u32_b32 v62, v3, v4
	v_cmp_eq_u32_e64 s[34:35], 0, v62
	v_cmp_ne_u64_e64 s[38:39], 0, v[2:3]
	s_and_b64 s[38:39], s[38:39], s[34:35]
	; wave barrier
	s_and_saveexec_b64 s[34:35], s[38:39]
	s_cbranch_execz .LBB380_57
; %bb.56:
	v_bcnt_u32_b32 v2, v2, 0
	v_bcnt_u32_b32 v2, v3, v2
	s_waitcnt lgkmcnt(0)
	v_add_u32_e32 v2, v59, v2
	ds_write_b32 v64, v2 offset:32
.LBB380_57:
	s_or_b64 exec, exec, s[34:35]
	v_xor_b32_e32 v37, 0x80000000, v37
	v_lshrrev_b32_e32 v2, s52, v37
	v_and_b32_e32 v4, s66, v2
	v_and_b32_e32 v3, 1, v4
	v_add_co_u32_e64 v5, s[34:35], -1, v3
	v_addc_co_u32_e64 v61, s[34:35], 0, -1, s[34:35]
	v_cmp_ne_u32_e64 s[34:35], 0, v3
	v_lshl_add_u32 v2, v4, 3, v4
	v_xor_b32_e32 v3, s35, v61
	v_add_lshl_u32 v68, v31, v2, 2
	v_mov_b32_e32 v2, 0
	v_and_b32_e32 v61, exec_hi, v3
	v_lshlrev_b32_e32 v3, 30, v4
	v_xor_b32_e32 v5, s34, v5
	v_cmp_gt_i64_e64 s[34:35], 0, v[2:3]
	v_not_b32_e32 v3, v3
	v_ashrrev_i32_e32 v3, 31, v3
	v_and_b32_e32 v5, exec_lo, v5
	v_xor_b32_e32 v65, s35, v3
	v_xor_b32_e32 v3, s34, v3
	v_and_b32_e32 v5, v5, v3
	v_lshlrev_b32_e32 v3, 29, v4
	v_cmp_gt_i64_e64 s[34:35], 0, v[2:3]
	v_not_b32_e32 v3, v3
	v_ashrrev_i32_e32 v3, 31, v3
	v_and_b32_e32 v61, v61, v65
	v_xor_b32_e32 v65, s35, v3
	v_xor_b32_e32 v3, s34, v3
	v_and_b32_e32 v5, v5, v3
	v_lshlrev_b32_e32 v3, 28, v4
	v_cmp_gt_i64_e64 s[34:35], 0, v[2:3]
	v_not_b32_e32 v3, v3
	v_ashrrev_i32_e32 v3, 31, v3
	v_and_b32_e32 v61, v61, v65
	;; [unrolled: 8-line block ×5, first 2 shown]
	v_xor_b32_e32 v65, s35, v3
	v_xor_b32_e32 v3, s34, v3
	v_and_b32_e32 v61, v61, v65
	v_and_b32_e32 v65, v5, v3
	v_lshlrev_b32_e32 v3, 24, v4
	v_cmp_gt_i64_e64 s[34:35], 0, v[2:3]
	v_not_b32_e32 v3, v3
	v_ashrrev_i32_e32 v3, 31, v3
	v_xor_b32_e32 v4, s35, v3
	v_xor_b32_e32 v3, s34, v3
	; wave barrier
	ds_read_b32 v63, v68 offset:32
	v_and_b32_e32 v5, v61, v4
	v_and_b32_e32 v4, v65, v3
	v_mbcnt_lo_u32_b32 v3, v4, 0
	v_mbcnt_hi_u32_b32 v66, v5, v3
	v_cmp_eq_u32_e64 s[34:35], 0, v66
	v_cmp_ne_u64_e64 s[38:39], 0, v[4:5]
	s_and_b64 s[38:39], s[38:39], s[34:35]
	; wave barrier
	s_and_saveexec_b64 s[34:35], s[38:39]
	s_cbranch_execz .LBB380_59
; %bb.58:
	v_bcnt_u32_b32 v3, v4, 0
	v_bcnt_u32_b32 v3, v5, v3
	s_waitcnt lgkmcnt(0)
	v_add_u32_e32 v3, v63, v3
	ds_write_b32 v68, v3 offset:32
.LBB380_59:
	s_or_b64 exec, exec, s[34:35]
	v_xor_b32_e32 v32, 0x80000000, v32
	v_lshrrev_b32_e32 v3, s52, v32
	v_and_b32_e32 v4, s66, v3
	v_lshl_add_u32 v3, v4, 3, v4
	v_add_lshl_u32 v70, v31, v3, 2
	v_and_b32_e32 v3, 1, v4
	v_add_co_u32_e64 v5, s[34:35], -1, v3
	v_addc_co_u32_e64 v61, s[34:35], 0, -1, s[34:35]
	v_cmp_ne_u32_e64 s[34:35], 0, v3
	v_xor_b32_e32 v3, s35, v61
	v_and_b32_e32 v61, exec_hi, v3
	v_lshlrev_b32_e32 v3, 30, v4
	v_xor_b32_e32 v5, s34, v5
	v_cmp_gt_i64_e64 s[34:35], 0, v[2:3]
	v_not_b32_e32 v3, v3
	v_ashrrev_i32_e32 v3, 31, v3
	v_and_b32_e32 v5, exec_lo, v5
	v_xor_b32_e32 v65, s35, v3
	v_xor_b32_e32 v3, s34, v3
	v_and_b32_e32 v5, v5, v3
	v_lshlrev_b32_e32 v3, 29, v4
	v_cmp_gt_i64_e64 s[34:35], 0, v[2:3]
	v_not_b32_e32 v3, v3
	v_ashrrev_i32_e32 v3, 31, v3
	v_and_b32_e32 v61, v61, v65
	v_xor_b32_e32 v65, s35, v3
	v_xor_b32_e32 v3, s34, v3
	v_and_b32_e32 v5, v5, v3
	v_lshlrev_b32_e32 v3, 28, v4
	v_cmp_gt_i64_e64 s[34:35], 0, v[2:3]
	v_not_b32_e32 v3, v3
	v_ashrrev_i32_e32 v3, 31, v3
	v_and_b32_e32 v61, v61, v65
	;; [unrolled: 8-line block ×5, first 2 shown]
	v_xor_b32_e32 v65, s35, v3
	v_xor_b32_e32 v3, s34, v3
	v_and_b32_e32 v5, v5, v3
	v_lshlrev_b32_e32 v3, 24, v4
	v_cmp_gt_i64_e64 s[34:35], 0, v[2:3]
	v_not_b32_e32 v2, v3
	v_ashrrev_i32_e32 v2, 31, v2
	v_xor_b32_e32 v3, s35, v2
	v_xor_b32_e32 v2, s34, v2
	; wave barrier
	ds_read_b32 v67, v70 offset:32
	v_and_b32_e32 v61, v61, v65
	v_and_b32_e32 v2, v5, v2
	;; [unrolled: 1-line block ×3, first 2 shown]
	v_mbcnt_lo_u32_b32 v4, v2, 0
	v_mbcnt_hi_u32_b32 v69, v3, v4
	v_cmp_eq_u32_e64 s[34:35], 0, v69
	v_cmp_ne_u64_e64 s[38:39], 0, v[2:3]
	s_and_b64 s[38:39], s[38:39], s[34:35]
	; wave barrier
	s_and_saveexec_b64 s[34:35], s[38:39]
	s_cbranch_execz .LBB380_61
; %bb.60:
	v_bcnt_u32_b32 v2, v2, 0
	v_bcnt_u32_b32 v2, v3, v2
	s_waitcnt lgkmcnt(0)
	v_add_u32_e32 v2, v67, v2
	ds_write_b32 v70, v2 offset:32
.LBB380_61:
	s_or_b64 exec, exec, s[34:35]
	v_xor_b32_e32 v61, 0x80000000, v21
	v_lshrrev_b32_e32 v2, s52, v61
	v_and_b32_e32 v4, s66, v2
	v_and_b32_e32 v3, 1, v4
	v_add_co_u32_e64 v5, s[34:35], -1, v3
	v_addc_co_u32_e64 v65, s[34:35], 0, -1, s[34:35]
	v_cmp_ne_u32_e64 s[34:35], 0, v3
	v_lshl_add_u32 v2, v4, 3, v4
	v_xor_b32_e32 v3, s35, v65
	v_add_lshl_u32 v72, v31, v2, 2
	v_mov_b32_e32 v2, 0
	v_and_b32_e32 v65, exec_hi, v3
	v_lshlrev_b32_e32 v3, 30, v4
	v_xor_b32_e32 v5, s34, v5
	v_cmp_gt_i64_e64 s[34:35], 0, v[2:3]
	v_not_b32_e32 v3, v3
	v_ashrrev_i32_e32 v3, 31, v3
	v_and_b32_e32 v5, exec_lo, v5
	v_xor_b32_e32 v71, s35, v3
	v_xor_b32_e32 v3, s34, v3
	v_and_b32_e32 v5, v5, v3
	v_lshlrev_b32_e32 v3, 29, v4
	v_cmp_gt_i64_e64 s[34:35], 0, v[2:3]
	v_not_b32_e32 v3, v3
	v_ashrrev_i32_e32 v3, 31, v3
	v_and_b32_e32 v65, v65, v71
	v_xor_b32_e32 v71, s35, v3
	v_xor_b32_e32 v3, s34, v3
	v_and_b32_e32 v5, v5, v3
	v_lshlrev_b32_e32 v3, 28, v4
	v_cmp_gt_i64_e64 s[34:35], 0, v[2:3]
	v_not_b32_e32 v3, v3
	v_ashrrev_i32_e32 v3, 31, v3
	v_and_b32_e32 v65, v65, v71
	;; [unrolled: 8-line block ×5, first 2 shown]
	v_xor_b32_e32 v71, s35, v3
	v_xor_b32_e32 v3, s34, v3
	v_and_b32_e32 v65, v65, v71
	v_and_b32_e32 v71, v5, v3
	v_lshlrev_b32_e32 v3, 24, v4
	v_cmp_gt_i64_e64 s[34:35], 0, v[2:3]
	v_not_b32_e32 v3, v3
	v_ashrrev_i32_e32 v3, 31, v3
	v_xor_b32_e32 v4, s35, v3
	v_xor_b32_e32 v3, s34, v3
	; wave barrier
	ds_read_b32 v21, v72 offset:32
	v_and_b32_e32 v5, v65, v4
	v_and_b32_e32 v4, v71, v3
	v_mbcnt_lo_u32_b32 v3, v4, 0
	v_mbcnt_hi_u32_b32 v71, v5, v3
	v_cmp_eq_u32_e64 s[34:35], 0, v71
	v_cmp_ne_u64_e64 s[38:39], 0, v[4:5]
	s_and_b64 s[38:39], s[38:39], s[34:35]
	; wave barrier
	s_and_saveexec_b64 s[34:35], s[38:39]
	s_cbranch_execz .LBB380_63
; %bb.62:
	v_bcnt_u32_b32 v3, v4, 0
	v_bcnt_u32_b32 v3, v5, v3
	s_waitcnt lgkmcnt(0)
	v_add_u32_e32 v3, v21, v3
	ds_write_b32 v72, v3 offset:32
.LBB380_63:
	s_or_b64 exec, exec, s[34:35]
	v_xor_b32_e32 v65, 0x80000000, v15
	v_lshrrev_b32_e32 v3, s52, v65
	v_and_b32_e32 v4, s66, v3
	v_lshl_add_u32 v3, v4, 3, v4
	v_add_lshl_u32 v74, v31, v3, 2
	v_and_b32_e32 v3, 1, v4
	v_add_co_u32_e64 v5, s[34:35], -1, v3
	v_addc_co_u32_e64 v31, s[34:35], 0, -1, s[34:35]
	v_cmp_ne_u32_e64 s[34:35], 0, v3
	v_xor_b32_e32 v3, s35, v31
	v_and_b32_e32 v31, exec_hi, v3
	v_lshlrev_b32_e32 v3, 30, v4
	v_xor_b32_e32 v5, s34, v5
	v_cmp_gt_i64_e64 s[34:35], 0, v[2:3]
	v_not_b32_e32 v3, v3
	v_ashrrev_i32_e32 v3, 31, v3
	v_and_b32_e32 v5, exec_lo, v5
	v_xor_b32_e32 v73, s35, v3
	v_xor_b32_e32 v3, s34, v3
	v_and_b32_e32 v5, v5, v3
	v_lshlrev_b32_e32 v3, 29, v4
	v_cmp_gt_i64_e64 s[34:35], 0, v[2:3]
	v_not_b32_e32 v3, v3
	v_ashrrev_i32_e32 v3, 31, v3
	v_and_b32_e32 v31, v31, v73
	v_xor_b32_e32 v73, s35, v3
	v_xor_b32_e32 v3, s34, v3
	v_and_b32_e32 v5, v5, v3
	v_lshlrev_b32_e32 v3, 28, v4
	v_cmp_gt_i64_e64 s[34:35], 0, v[2:3]
	v_not_b32_e32 v3, v3
	v_ashrrev_i32_e32 v3, 31, v3
	v_and_b32_e32 v31, v31, v73
	;; [unrolled: 8-line block ×5, first 2 shown]
	v_xor_b32_e32 v73, s35, v3
	v_xor_b32_e32 v3, s34, v3
	v_and_b32_e32 v5, v5, v3
	v_lshlrev_b32_e32 v3, 24, v4
	v_cmp_gt_i64_e64 s[34:35], 0, v[2:3]
	v_not_b32_e32 v2, v3
	v_ashrrev_i32_e32 v2, 31, v2
	v_xor_b32_e32 v3, s35, v2
	v_xor_b32_e32 v2, s34, v2
	; wave barrier
	ds_read_b32 v15, v74 offset:32
	v_and_b32_e32 v31, v31, v73
	v_and_b32_e32 v2, v5, v2
	;; [unrolled: 1-line block ×3, first 2 shown]
	v_mbcnt_lo_u32_b32 v4, v2, 0
	v_mbcnt_hi_u32_b32 v73, v3, v4
	v_cmp_eq_u32_e64 s[34:35], 0, v73
	v_cmp_ne_u64_e64 s[38:39], 0, v[2:3]
	v_add_u32_e32 v75, 32, v7
	s_and_b64 s[38:39], s[38:39], s[34:35]
	; wave barrier
	s_and_saveexec_b64 s[34:35], s[38:39]
	s_cbranch_execz .LBB380_65
; %bb.64:
	v_bcnt_u32_b32 v2, v2, 0
	v_bcnt_u32_b32 v2, v3, v2
	s_waitcnt lgkmcnt(0)
	v_add_u32_e32 v2, v15, v2
	ds_write_b32 v74, v2 offset:32
.LBB380_65:
	s_or_b64 exec, exec, s[34:35]
	; wave barrier
	s_waitcnt lgkmcnt(0)
	s_barrier
	ds_read2_b32 v[4:5], v7 offset0:8 offset1:9
	ds_read2_b32 v[2:3], v75 offset0:2 offset1:3
	ds_read_b32 v31, v75 offset:16
	s_waitcnt lgkmcnt(1)
	v_add3_u32 v76, v5, v4, v2
	s_waitcnt lgkmcnt(0)
	v_add3_u32 v31, v76, v3, v31
	v_and_b32_e32 v76, 15, v6
	v_cmp_ne_u32_e64 s[34:35], 0, v76
	v_mov_b32_dpp v77, v31 row_shr:1 row_mask:0xf bank_mask:0xf
	v_cndmask_b32_e64 v77, 0, v77, s[34:35]
	v_add_u32_e32 v31, v77, v31
	v_cmp_lt_u32_e64 s[34:35], 1, v76
	s_nop 0
	v_mov_b32_dpp v77, v31 row_shr:2 row_mask:0xf bank_mask:0xf
	v_cndmask_b32_e64 v77, 0, v77, s[34:35]
	v_add_u32_e32 v31, v31, v77
	v_cmp_lt_u32_e64 s[34:35], 3, v76
	s_nop 0
	;; [unrolled: 5-line block ×3, first 2 shown]
	v_mov_b32_dpp v77, v31 row_shr:8 row_mask:0xf bank_mask:0xf
	v_cndmask_b32_e64 v76, 0, v77, s[34:35]
	v_add_u32_e32 v31, v31, v76
	v_bfe_i32 v77, v6, 4, 1
	v_cmp_lt_u32_e64 s[34:35], 31, v6
	v_mov_b32_dpp v76, v31 row_bcast:15 row_mask:0xf bank_mask:0xf
	v_and_b32_e32 v76, v77, v76
	v_add_u32_e32 v31, v31, v76
	v_lshrrev_b32_e32 v77, 6, v18
	s_nop 0
	v_mov_b32_dpp v76, v31 row_bcast:31 row_mask:0xf bank_mask:0xf
	v_cndmask_b32_e64 v76, 0, v76, s[34:35]
	v_add_u32_e32 v76, v31, v76
	v_and_b32_e32 v31, 0x3c0, v18
	v_min_u32_e32 v31, 0x1c0, v31
	v_or_b32_e32 v31, 63, v31
	v_cmp_eq_u32_e64 s[34:35], v31, v18
	s_and_saveexec_b64 s[38:39], s[34:35]
	s_cbranch_execz .LBB380_67
; %bb.66:
	v_lshlrev_b32_e32 v31, 2, v77
	ds_write_b32 v31, v76
.LBB380_67:
	s_or_b64 exec, exec, s[38:39]
	v_cmp_gt_u32_e64 s[34:35], 8, v18
	v_lshlrev_b32_e32 v31, 2, v18
	s_waitcnt lgkmcnt(0)
	s_barrier
	s_and_saveexec_b64 s[38:39], s[34:35]
	s_cbranch_execz .LBB380_69
; %bb.68:
	ds_read_b32 v78, v31
	v_and_b32_e32 v79, 7, v6
	v_cmp_ne_u32_e64 s[34:35], 0, v79
	s_waitcnt lgkmcnt(0)
	v_mov_b32_dpp v80, v78 row_shr:1 row_mask:0xf bank_mask:0xf
	v_cndmask_b32_e64 v80, 0, v80, s[34:35]
	v_add_u32_e32 v78, v80, v78
	v_cmp_lt_u32_e64 s[34:35], 1, v79
	s_nop 0
	v_mov_b32_dpp v80, v78 row_shr:2 row_mask:0xf bank_mask:0xf
	v_cndmask_b32_e64 v80, 0, v80, s[34:35]
	v_add_u32_e32 v78, v78, v80
	v_cmp_lt_u32_e64 s[34:35], 3, v79
	s_nop 0
	v_mov_b32_dpp v80, v78 row_shr:4 row_mask:0xf bank_mask:0xf
	v_cndmask_b32_e64 v79, 0, v80, s[34:35]
	v_add_u32_e32 v78, v78, v79
	ds_write_b32 v31, v78
.LBB380_69:
	s_or_b64 exec, exec, s[38:39]
	v_cmp_lt_u32_e64 s[34:35], 63, v18
	v_mov_b32_e32 v78, 0
	s_waitcnt lgkmcnt(0)
	s_barrier
	s_and_saveexec_b64 s[38:39], s[34:35]
	s_cbranch_execz .LBB380_71
; %bb.70:
	v_lshl_add_u32 v77, v77, 2, -4
	ds_read_b32 v78, v77
.LBB380_71:
	s_or_b64 exec, exec, s[38:39]
	v_add_u32_e32 v77, -1, v6
	v_and_b32_e32 v79, 64, v6
	v_cmp_lt_i32_e64 s[34:35], v77, v79
	v_cndmask_b32_e64 v77, v77, v6, s[34:35]
	s_waitcnt lgkmcnt(0)
	v_add_u32_e32 v76, v78, v76
	v_lshlrev_b32_e32 v77, 2, v77
	ds_bpermute_b32 v76, v77, v76
	v_cmp_eq_u32_e64 s[34:35], 0, v6
	s_waitcnt lgkmcnt(0)
	v_cndmask_b32_e64 v6, v76, v78, s[34:35]
	v_cmp_ne_u32_e64 s[34:35], 0, v18
	v_cndmask_b32_e64 v6, 0, v6, s[34:35]
	v_add_u32_e32 v4, v6, v4
	v_add_u32_e32 v5, v4, v5
	;; [unrolled: 1-line block ×4, first 2 shown]
	ds_write2_b32 v7, v6, v4 offset0:8 offset1:9
	ds_write2_b32 v75, v5, v2 offset0:2 offset1:3
	ds_write_b32 v75, v3 offset:16
	s_waitcnt lgkmcnt(0)
	s_barrier
	ds_read_b32 v80, v12 offset:32
	ds_read_b32 v12, v13 offset:32
	;; [unrolled: 1-line block ×16, first 2 shown]
	s_movk_i32 s34, 0x100
	v_cmp_gt_u32_e64 s[34:35], s34, v18
                                        ; implicit-def: $vgpr34
                                        ; implicit-def: $vgpr39
	s_and_saveexec_b64 s[58:59], s[34:35]
	s_cbranch_execz .LBB380_75
; %bb.72:
	v_mul_u32_u24_e32 v2, 9, v18
	v_lshlrev_b32_e32 v3, 2, v2
	ds_read_b32 v34, v3 offset:32
	s_movk_i32 s38, 0xff
	v_cmp_ne_u32_e64 s[38:39], s38, v18
	v_mov_b32_e32 v2, 0x2000
	s_and_saveexec_b64 s[60:61], s[38:39]
	s_cbranch_execz .LBB380_74
; %bb.73:
	ds_read_b32 v2, v3 offset:68
.LBB380_74:
	s_or_b64 exec, exec, s[60:61]
	s_waitcnt lgkmcnt(0)
	v_sub_u32_e32 v39, v2, v34
.LBB380_75:
	s_or_b64 exec, exec, s[58:59]
	s_waitcnt lgkmcnt(0)
	s_barrier
	s_and_saveexec_b64 s[58:59], s[34:35]
	s_cbranch_execz .LBB380_85
; %bb.76:
	v_lshl_or_b32 v2, s6, 8, v18
	v_mov_b32_e32 v3, 0
	v_lshlrev_b64 v[4:5], 2, v[2:3]
	v_mov_b32_e32 v44, s57
	v_add_co_u32_e64 v4, s[38:39], s56, v4
	v_addc_co_u32_e64 v5, s[38:39], v44, v5, s[38:39]
	v_or_b32_e32 v2, 2.0, v39
	s_mov_b64 s[60:61], 0
	s_brev_b32 s67, 1
	s_mov_b32 s68, s6
	v_mov_b32_e32 v48, 0
	global_store_dword v[4:5], v2, off
                                        ; implicit-def: $sgpr38_sgpr39
	s_branch .LBB380_78
.LBB380_77:                             ;   in Loop: Header=BB380_78 Depth=1
	s_or_b64 exec, exec, s[62:63]
	v_and_b32_e32 v6, 0x3fffffff, v68
	v_add_u32_e32 v48, v6, v48
	v_cmp_eq_u32_e64 s[38:39], s67, v2
	s_and_b64 s[62:63], exec, s[38:39]
	s_or_b64 s[60:61], s[62:63], s[60:61]
	s_andn2_b64 exec, exec, s[60:61]
	s_cbranch_execz .LBB380_84
.LBB380_78:                             ; =>This Loop Header: Depth=1
                                        ;     Child Loop BB380_81 Depth 2
	s_or_b64 s[38:39], s[38:39], exec
	s_cmp_eq_u32 s68, 0
	s_cbranch_scc1 .LBB380_83
; %bb.79:                               ;   in Loop: Header=BB380_78 Depth=1
	s_add_i32 s68, s68, -1
	v_lshl_or_b32 v2, s68, 8, v18
	v_lshlrev_b64 v[6:7], 2, v[2:3]
	v_add_co_u32_e64 v6, s[38:39], s56, v6
	v_addc_co_u32_e64 v7, s[38:39], v44, v7, s[38:39]
	global_load_dword v68, v[6:7], off glc
	s_waitcnt vmcnt(0)
	v_and_b32_e32 v2, -2.0, v68
	v_cmp_eq_u32_e64 s[38:39], 0, v2
	s_and_saveexec_b64 s[62:63], s[38:39]
	s_cbranch_execz .LBB380_77
; %bb.80:                               ;   in Loop: Header=BB380_78 Depth=1
	s_mov_b64 s[64:65], 0
.LBB380_81:                             ;   Parent Loop BB380_78 Depth=1
                                        ; =>  This Inner Loop Header: Depth=2
	global_load_dword v68, v[6:7], off glc
	s_waitcnt vmcnt(0)
	v_and_b32_e32 v2, -2.0, v68
	v_cmp_ne_u32_e64 s[38:39], 0, v2
	s_or_b64 s[64:65], s[38:39], s[64:65]
	s_andn2_b64 exec, exec, s[64:65]
	s_cbranch_execnz .LBB380_81
; %bb.82:                               ;   in Loop: Header=BB380_78 Depth=1
	s_or_b64 exec, exec, s[64:65]
	s_branch .LBB380_77
.LBB380_83:                             ;   in Loop: Header=BB380_78 Depth=1
                                        ; implicit-def: $sgpr68
	s_and_b64 s[62:63], exec, s[38:39]
	s_or_b64 s[60:61], s[62:63], s[60:61]
	s_andn2_b64 exec, exec, s[60:61]
	s_cbranch_execnz .LBB380_78
.LBB380_84:
	s_or_b64 exec, exec, s[60:61]
	v_add_u32_e32 v2, v48, v39
	v_or_b32_e32 v2, 0x80000000, v2
	global_store_dword v[4:5], v2, off
	global_load_dword v2, v31, s[48:49]
	v_sub_u32_e32 v3, v48, v34
	s_waitcnt vmcnt(0)
	v_add_u32_e32 v2, v3, v2
	ds_write_b32 v31, v2
.LBB380_85:
	s_or_b64 exec, exec, s[58:59]
	v_add_u32_e32 v44, v80, v8
	s_movk_i32 s60, 0x400
	v_add_u32_e32 v48, 0x400, v31
	v_add3_u32 v51, v73, v51, v15
	v_add3_u32 v54, v71, v54, v21
	;; [unrolled: 1-line block ×15, first 2 shown]
	s_mov_b32 s61, 0
	v_mov_b32_e32 v21, 0
	s_movk_i32 s62, 0x200
	s_movk_i32 s63, 0x600
	s_mov_b32 s64, 0
	s_mov_b32 s65, 0
                                        ; implicit-def: $vgpr2_vgpr3_vgpr4_vgpr5_vgpr6_vgpr7_vgpr8_vgpr9_vgpr10_vgpr11_vgpr12_vgpr13_vgpr14_vgpr15_vgpr16_vgpr17
	s_branch .LBB380_87
.LBB380_86:                             ;   in Loop: Header=BB380_87 Depth=1
	s_or_b64 exec, exec, s[58:59]
	s_addk_i32 s65, 0x800
	s_addk_i32 s64, 0xf800
	s_add_i32 s61, s61, 4
	s_cmpk_eq_i32 s64, 0xe000
	s_barrier
	s_cbranch_scc1 .LBB380_96
.LBB380_87:                             ; =>This Inner Loop Header: Depth=1
	v_add_u32_e32 v20, s64, v44
	v_min_u32_e32 v20, 0x800, v20
	v_lshlrev_b32_e32 v20, 2, v20
	ds_write_b32 v20, v23 offset:1024
	v_add_u32_e32 v20, s64, v45
	v_min_u32_e32 v20, 0x800, v20
	v_lshlrev_b32_e32 v20, 2, v20
	ds_write_b32 v20, v24 offset:1024
	;; [unrolled: 4-line block ×15, first 2 shown]
	v_add_u32_e32 v20, s64, v51
	v_min_u32_e32 v20, 0x800, v20
	v_add_u32_e32 v49, s65, v18
	v_lshlrev_b32_e32 v20, 2, v20
	v_cmp_gt_u32_e64 s[38:39], s7, v49
	ds_write_b32 v20, v65 offset:1024
	s_waitcnt lgkmcnt(0)
	s_barrier
	s_and_saveexec_b64 s[58:59], s[38:39]
	s_cbranch_execz .LBB380_89
; %bb.88:                               ;   in Loop: Header=BB380_87 Depth=1
	ds_read_b32 v20, v31 offset:1024
	v_mov_b32_e32 v58, s43
	s_waitcnt lgkmcnt(0)
	v_lshrrev_b32_e32 v52, s52, v20
	v_and_b32_e32 v52, s66, v52
	v_lshlrev_b32_e32 v55, 2, v52
	ds_read_b32 v55, v55
	v_xor_b32_e32 v64, 0x80000000, v20
	s_waitcnt lgkmcnt(0)
	v_add_u32_e32 v20, v49, v55
	v_lshlrev_b64 v[62:63], 2, v[20:21]
	v_add_co_u32_e64 v62, s[38:39], s42, v62
	v_addc_co_u32_e64 v63, s[38:39], v58, v63, s[38:39]
	global_store_dword v[62:63], v64, off
	s_set_gpr_idx_on s61, gpr_idx(DST)
	v_mov_b32_e32 v2, v52
	s_set_gpr_idx_off
.LBB380_89:                             ;   in Loop: Header=BB380_87 Depth=1
	s_or_b64 exec, exec, s[58:59]
	v_add_u32_e32 v20, 0x200, v49
	v_cmp_gt_u32_e64 s[38:39], s7, v20
	s_and_saveexec_b64 s[58:59], s[38:39]
	s_cbranch_execz .LBB380_91
; %bb.90:                               ;   in Loop: Header=BB380_87 Depth=1
	ds_read_b32 v20, v48 offset:2048
	v_mov_b32_e32 v58, s43
	s_add_i32 s67, s61, 1
	s_waitcnt lgkmcnt(0)
	v_lshrrev_b32_e32 v52, s52, v20
	v_and_b32_e32 v52, s66, v52
	v_lshlrev_b32_e32 v55, 2, v52
	ds_read_b32 v55, v55
	v_xor_b32_e32 v64, 0x80000000, v20
	s_waitcnt lgkmcnt(0)
	v_add3_u32 v20, v49, v55, s62
	v_lshlrev_b64 v[62:63], 2, v[20:21]
	v_add_co_u32_e64 v62, s[38:39], s42, v62
	v_addc_co_u32_e64 v63, s[38:39], v58, v63, s[38:39]
	global_store_dword v[62:63], v64, off
	s_set_gpr_idx_on s67, gpr_idx(DST)
	v_mov_b32_e32 v2, v52
	s_set_gpr_idx_off
.LBB380_91:                             ;   in Loop: Header=BB380_87 Depth=1
	s_or_b64 exec, exec, s[58:59]
	v_add_u32_e32 v20, 0x400, v49
	v_cmp_gt_u32_e64 s[38:39], s7, v20
	s_and_saveexec_b64 s[58:59], s[38:39]
	s_cbranch_execz .LBB380_93
; %bb.92:                               ;   in Loop: Header=BB380_87 Depth=1
	ds_read_b32 v20, v48 offset:4096
	v_mov_b32_e32 v58, s43
	s_add_i32 s67, s61, 2
	s_waitcnt lgkmcnt(0)
	v_lshrrev_b32_e32 v52, s52, v20
	v_and_b32_e32 v52, s66, v52
	v_lshlrev_b32_e32 v55, 2, v52
	ds_read_b32 v55, v55
	v_xor_b32_e32 v64, 0x80000000, v20
	s_waitcnt lgkmcnt(0)
	v_add3_u32 v20, v49, v55, s60
	v_lshlrev_b64 v[62:63], 2, v[20:21]
	v_add_co_u32_e64 v62, s[38:39], s42, v62
	v_addc_co_u32_e64 v63, s[38:39], v58, v63, s[38:39]
	global_store_dword v[62:63], v64, off
	s_set_gpr_idx_on s67, gpr_idx(DST)
	v_mov_b32_e32 v2, v52
	s_set_gpr_idx_off
.LBB380_93:                             ;   in Loop: Header=BB380_87 Depth=1
	s_or_b64 exec, exec, s[58:59]
	v_add_u32_e32 v20, 0x600, v49
	v_cmp_gt_u32_e64 s[38:39], s7, v20
	s_and_saveexec_b64 s[58:59], s[38:39]
	s_cbranch_execz .LBB380_86
; %bb.94:                               ;   in Loop: Header=BB380_87 Depth=1
	ds_read_b32 v20, v48 offset:6144
	v_mov_b32_e32 v58, s43
	s_add_i32 s67, s61, 3
	s_waitcnt lgkmcnt(0)
	v_lshrrev_b32_e32 v52, s52, v20
	v_and_b32_e32 v52, s66, v52
	v_lshlrev_b32_e32 v55, 2, v52
	ds_read_b32 v55, v55
	v_xor_b32_e32 v64, 0x80000000, v20
	s_waitcnt lgkmcnt(0)
	v_add3_u32 v20, v49, v55, s63
	v_lshlrev_b64 v[62:63], 2, v[20:21]
	v_add_co_u32_e64 v62, s[38:39], s42, v62
	v_addc_co_u32_e64 v63, s[38:39], v58, v63, s[38:39]
	global_store_dword v[62:63], v64, off
	s_set_gpr_idx_on s67, gpr_idx(DST)
	v_mov_b32_e32 v2, v52
	s_set_gpr_idx_off
	s_branch .LBB380_86
.LBB380_95:
	s_mov_b64 s[2:3], 0
                                        ; implicit-def: $vgpr2
                                        ; implicit-def: $vgpr18
	s_cbranch_execnz .LBB380_126
	s_branch .LBB380_185
.LBB380_96:
	s_add_u32 s38, s44, s54
	s_addc_u32 s39, s45, s55
	v_mov_b32_e32 v20, s39
	v_add_co_u32_e64 v19, s[38:39], s38, v19
	v_addc_co_u32_e64 v21, s[38:39], 0, v20, s[38:39]
	v_add_co_u32_e64 v20, s[38:39], v19, v22
	v_addc_co_u32_e64 v21, s[38:39], 0, v21, s[38:39]
                                        ; implicit-def: $vgpr19
	s_and_saveexec_b64 s[38:39], vcc
	s_cbranch_execnz .LBB380_188
; %bb.97:
	s_or_b64 exec, exec, s[38:39]
                                        ; implicit-def: $vgpr22
	s_and_saveexec_b64 s[38:39], s[0:1]
	s_cbranch_execnz .LBB380_189
.LBB380_98:
	s_or_b64 exec, exec, s[38:39]
                                        ; implicit-def: $vgpr23
	s_and_saveexec_b64 s[0:1], s[2:3]
	s_cbranch_execnz .LBB380_190
.LBB380_99:
	s_or_b64 exec, exec, s[0:1]
                                        ; implicit-def: $vgpr24
	s_and_saveexec_b64 s[0:1], s[36:37]
	s_cbranch_execnz .LBB380_191
.LBB380_100:
	s_or_b64 exec, exec, s[0:1]
                                        ; implicit-def: $vgpr25
	s_and_saveexec_b64 s[0:1], s[8:9]
	s_cbranch_execnz .LBB380_192
.LBB380_101:
	s_or_b64 exec, exec, s[0:1]
                                        ; implicit-def: $vgpr26
	s_and_saveexec_b64 s[0:1], s[10:11]
	s_cbranch_execnz .LBB380_193
.LBB380_102:
	s_or_b64 exec, exec, s[0:1]
                                        ; implicit-def: $vgpr27
	s_and_saveexec_b64 s[0:1], s[12:13]
	s_cbranch_execnz .LBB380_194
.LBB380_103:
	s_or_b64 exec, exec, s[0:1]
                                        ; implicit-def: $vgpr28
	s_and_saveexec_b64 s[0:1], s[14:15]
	s_cbranch_execnz .LBB380_195
.LBB380_104:
	s_or_b64 exec, exec, s[0:1]
                                        ; implicit-def: $vgpr29
	s_and_saveexec_b64 s[0:1], s[16:17]
	s_cbranch_execnz .LBB380_196
.LBB380_105:
	s_or_b64 exec, exec, s[0:1]
                                        ; implicit-def: $vgpr32
	s_and_saveexec_b64 s[0:1], s[18:19]
	s_cbranch_execnz .LBB380_197
.LBB380_106:
	s_or_b64 exec, exec, s[0:1]
                                        ; implicit-def: $vgpr33
	s_and_saveexec_b64 s[0:1], s[20:21]
	s_cbranch_execnz .LBB380_198
.LBB380_107:
	s_or_b64 exec, exec, s[0:1]
                                        ; implicit-def: $vgpr37
	s_and_saveexec_b64 s[0:1], s[22:23]
	s_cbranch_execnz .LBB380_199
.LBB380_108:
	s_or_b64 exec, exec, s[0:1]
                                        ; implicit-def: $vgpr38
	s_and_saveexec_b64 s[0:1], s[24:25]
	s_cbranch_execnz .LBB380_200
.LBB380_109:
	s_or_b64 exec, exec, s[0:1]
                                        ; implicit-def: $vgpr42
	s_and_saveexec_b64 s[0:1], s[26:27]
	s_cbranch_execnz .LBB380_201
.LBB380_110:
	s_or_b64 exec, exec, s[0:1]
                                        ; implicit-def: $vgpr43
	s_and_saveexec_b64 s[0:1], s[28:29]
	s_cbranch_execnz .LBB380_202
.LBB380_111:
	s_or_b64 exec, exec, s[0:1]
                                        ; implicit-def: $vgpr47
	s_and_saveexec_b64 s[0:1], s[30:31]
	s_cbranch_execz .LBB380_113
.LBB380_112:
	global_load_dword v47, v[20:21], off offset:3840
.LBB380_113:
	s_or_b64 exec, exec, s[0:1]
	s_mov_b32 s2, 0
	v_mov_b32_e32 v21, 0
	s_movk_i32 s3, 0x200
	s_movk_i32 s8, 0x400
	;; [unrolled: 1-line block ×3, first 2 shown]
	s_mov_b32 s10, 0
	s_mov_b32 s11, 0
	s_waitcnt vmcnt(0)
	s_branch .LBB380_115
.LBB380_114:                            ;   in Loop: Header=BB380_115 Depth=1
	s_or_b64 exec, exec, s[0:1]
	s_addk_i32 s11, 0x800
	s_addk_i32 s10, 0xf800
	s_add_i32 s2, s2, 4
	s_cmpk_eq_i32 s10, 0xe000
	s_barrier
	s_cbranch_scc1 .LBB380_123
.LBB380_115:                            ; =>This Inner Loop Header: Depth=1
	v_add_u32_e32 v20, s10, v44
	v_min_u32_e32 v20, 0x800, v20
	v_lshlrev_b32_e32 v20, 2, v20
	ds_write_b32 v20, v19 offset:1024
	v_add_u32_e32 v20, s10, v45
	v_min_u32_e32 v20, 0x800, v20
	v_lshlrev_b32_e32 v20, 2, v20
	ds_write_b32 v20, v22 offset:1024
	;; [unrolled: 4-line block ×15, first 2 shown]
	v_add_u32_e32 v20, s10, v51
	v_min_u32_e32 v20, 0x800, v20
	v_add_u32_e32 v49, s11, v18
	v_lshlrev_b32_e32 v20, 2, v20
	v_cmp_gt_u32_e32 vcc, s7, v49
	ds_write_b32 v20, v47 offset:1024
	s_waitcnt lgkmcnt(0)
	s_barrier
	s_and_saveexec_b64 s[0:1], vcc
	s_cbranch_execz .LBB380_117
; %bb.116:                              ;   in Loop: Header=BB380_115 Depth=1
	ds_read_b32 v52, v31 offset:1024
	s_set_gpr_idx_on s2, gpr_idx(SRC0)
	v_mov_b32_e32 v20, v2
	s_set_gpr_idx_off
	v_lshlrev_b32_e32 v20, 2, v20
	ds_read_b32 v20, v20
	v_mov_b32_e32 v55, s47
	s_waitcnt lgkmcnt(0)
	v_add_u32_e32 v20, v49, v20
	v_lshlrev_b64 v[62:63], 2, v[20:21]
	v_add_co_u32_e32 v62, vcc, s46, v62
	v_addc_co_u32_e32 v63, vcc, v55, v63, vcc
	global_store_dword v[62:63], v52, off
.LBB380_117:                            ;   in Loop: Header=BB380_115 Depth=1
	s_or_b64 exec, exec, s[0:1]
	v_add_u32_e32 v20, 0x200, v49
	v_cmp_gt_u32_e32 vcc, s7, v20
	s_and_saveexec_b64 s[0:1], vcc
	s_cbranch_execz .LBB380_119
; %bb.118:                              ;   in Loop: Header=BB380_115 Depth=1
	s_add_i32 s12, s2, 1
	ds_read_b32 v52, v48 offset:2048
	s_set_gpr_idx_on s12, gpr_idx(SRC0)
	v_mov_b32_e32 v20, v2
	s_set_gpr_idx_off
	v_lshlrev_b32_e32 v20, 2, v20
	ds_read_b32 v20, v20
	v_mov_b32_e32 v55, s47
	s_waitcnt lgkmcnt(0)
	v_add3_u32 v20, v49, v20, s3
	v_lshlrev_b64 v[62:63], 2, v[20:21]
	v_add_co_u32_e32 v62, vcc, s46, v62
	v_addc_co_u32_e32 v63, vcc, v55, v63, vcc
	global_store_dword v[62:63], v52, off
.LBB380_119:                            ;   in Loop: Header=BB380_115 Depth=1
	s_or_b64 exec, exec, s[0:1]
	v_add_u32_e32 v20, 0x400, v49
	v_cmp_gt_u32_e32 vcc, s7, v20
	s_and_saveexec_b64 s[0:1], vcc
	s_cbranch_execz .LBB380_121
; %bb.120:                              ;   in Loop: Header=BB380_115 Depth=1
	s_add_i32 s12, s2, 2
	ds_read_b32 v52, v48 offset:4096
	s_set_gpr_idx_on s12, gpr_idx(SRC0)
	v_mov_b32_e32 v20, v2
	s_set_gpr_idx_off
	v_lshlrev_b32_e32 v20, 2, v20
	ds_read_b32 v20, v20
	v_mov_b32_e32 v55, s47
	s_waitcnt lgkmcnt(0)
	v_add3_u32 v20, v49, v20, s8
	v_lshlrev_b64 v[62:63], 2, v[20:21]
	v_add_co_u32_e32 v62, vcc, s46, v62
	v_addc_co_u32_e32 v63, vcc, v55, v63, vcc
	global_store_dword v[62:63], v52, off
.LBB380_121:                            ;   in Loop: Header=BB380_115 Depth=1
	s_or_b64 exec, exec, s[0:1]
	v_add_u32_e32 v20, 0x600, v49
	v_cmp_gt_u32_e32 vcc, s7, v20
	s_and_saveexec_b64 s[0:1], vcc
	s_cbranch_execz .LBB380_114
; %bb.122:                              ;   in Loop: Header=BB380_115 Depth=1
	s_add_i32 s12, s2, 3
	ds_read_b32 v52, v48 offset:6144
	s_set_gpr_idx_on s12, gpr_idx(SRC0)
	v_mov_b32_e32 v20, v2
	s_set_gpr_idx_off
	v_lshlrev_b32_e32 v20, 2, v20
	ds_read_b32 v20, v20
	v_mov_b32_e32 v55, s47
	s_waitcnt lgkmcnt(0)
	v_add3_u32 v20, v49, v20, s9
	v_lshlrev_b64 v[62:63], 2, v[20:21]
	v_add_co_u32_e32 v62, vcc, s46, v62
	v_addc_co_u32_e32 v63, vcc, v55, v63, vcc
	global_store_dword v[62:63], v52, off
	s_branch .LBB380_114
.LBB380_123:
	s_add_i32 s33, s33, -1
	s_cmp_eq_u32 s33, s6
	s_cselect_b64 s[0:1], -1, 0
	s_and_b64 s[8:9], s[34:35], s[0:1]
	s_mov_b64 s[0:1], 0
	s_mov_b64 s[2:3], 0
                                        ; implicit-def: $vgpr2
	s_and_saveexec_b64 s[10:11], s[8:9]
	s_xor_b64 s[8:9], exec, s[10:11]
; %bb.124:
	s_mov_b64 s[2:3], exec
	v_add_u32_e32 v2, v34, v39
; %bb.125:
	s_or_b64 exec, exec, s[8:9]
	s_and_b64 vcc, exec, s[0:1]
	s_cbranch_vccz .LBB380_185
.LBB380_126:
	s_lshl_b32 s0, s6, 13
	s_mov_b32 s1, 0
	v_mbcnt_hi_u32_b32 v4, -1, v1
	s_lshl_b64 s[8:9], s[0:1], 2
	v_and_b32_e32 v1, 63, v4
	s_add_u32 s0, s40, s8
	v_lshlrev_b32_e32 v19, 2, v1
	v_add_co_u32_e32 v5, vcc, s0, v19
	s_load_dword s7, s[4:5], 0x58
	s_load_dword s0, s[4:5], 0x64
	v_and_b32_e32 v18, 0x3ff, v0
	s_addc_u32 s1, s41, s9
	v_lshlrev_b32_e32 v3, 4, v18
	v_and_b32_e32 v3, 0x1c00, v3
	v_mov_b32_e32 v1, s1
	v_addc_co_u32_e32 v1, vcc, 0, v1, vcc
	v_lshlrev_b32_e32 v20, 2, v3
	s_add_u32 s1, s4, 0x58
	v_add_co_u32_e32 v8, vcc, v5, v20
	s_addc_u32 s4, s5, 0
	s_waitcnt lgkmcnt(0)
	s_lshr_b32 s5, s0, 16
	v_addc_co_u32_e32 v9, vcc, 0, v1, vcc
	s_cmp_lt_u32 s6, s7
	global_load_dword v1, v[8:9], off
	s_cselect_b32 s0, 12, 18
	s_add_u32 s0, s1, s0
	v_mov_b32_e32 v2, 0
	s_addc_u32 s1, s4, 0
	global_load_ushort v3, v2, s[0:1]
	v_mul_u32_u24_e32 v5, 5, v18
	v_lshlrev_b32_e32 v5, 2, v5
	ds_write2_b32 v5, v2, v2 offset0:8 offset1:9
	ds_write2_b32 v5, v2, v2 offset0:10 offset1:11
	ds_write_b32 v5, v2 offset:48
	global_load_dword v7, v[8:9], off offset:256
	global_load_dword v10, v[8:9], off offset:512
	;; [unrolled: 1-line block ×15, first 2 shown]
	s_lshl_b32 s0, -1, s53
	v_bfe_u32 v6, v0, 10, 10
	v_bfe_u32 v0, v0, 20, 10
	s_not_b32 s16, s0
	v_mad_u32_u24 v0, v0, s5, v6
	s_waitcnt lgkmcnt(0)
	s_barrier
	s_waitcnt lgkmcnt(0)
	; wave barrier
	s_waitcnt vmcnt(16)
	v_xor_b32_e32 v21, 0x80000000, v1
	v_lshrrev_b32_e32 v1, s52, v21
	v_and_b32_e32 v6, s16, v1
	v_and_b32_e32 v8, 1, v6
	s_waitcnt vmcnt(15)
	v_mad_u64_u32 v[0:1], s[0:1], v0, v3, v[18:19]
	v_lshrrev_b32_e32 v15, 6, v0
	v_add_co_u32_e32 v0, vcc, -1, v8
	v_lshlrev_b32_e32 v3, 30, v6
	v_addc_co_u32_e64 v11, s[0:1], 0, -1, vcc
	v_lshl_add_u32 v1, v6, 3, v6
	v_cmp_ne_u32_e32 vcc, 0, v8
	v_cmp_gt_i64_e64 s[0:1], 0, v[2:3]
	v_not_b32_e32 v8, v3
	v_lshlrev_b32_e32 v3, 29, v6
	v_add_lshl_u32 v9, v15, v1, 2
	v_xor_b32_e32 v1, vcc_hi, v11
	v_xor_b32_e32 v0, vcc_lo, v0
	v_ashrrev_i32_e32 v8, 31, v8
	v_not_b32_e32 v11, v3
	v_cmp_gt_i64_e32 vcc, 0, v[2:3]
	v_lshlrev_b32_e32 v3, 28, v6
	v_and_b32_e32 v0, exec_lo, v0
	v_xor_b32_e32 v12, s1, v8
	v_xor_b32_e32 v8, s0, v8
	v_ashrrev_i32_e32 v11, 31, v11
	v_and_b32_e32 v1, exec_hi, v1
	v_and_b32_e32 v0, v0, v8
	v_xor_b32_e32 v8, vcc_hi, v11
	v_xor_b32_e32 v11, vcc_lo, v11
	v_cmp_gt_i64_e32 vcc, 0, v[2:3]
	v_not_b32_e32 v3, v3
	v_and_b32_e32 v1, v1, v12
	v_ashrrev_i32_e32 v3, 31, v3
	v_and_b32_e32 v1, v1, v8
	v_and_b32_e32 v0, v0, v11
	v_xor_b32_e32 v8, vcc_hi, v3
	v_xor_b32_e32 v3, vcc_lo, v3
	v_and_b32_e32 v0, v0, v3
	v_lshlrev_b32_e32 v3, 27, v6
	v_cmp_gt_i64_e32 vcc, 0, v[2:3]
	v_not_b32_e32 v3, v3
	v_ashrrev_i32_e32 v3, 31, v3
	v_and_b32_e32 v1, v1, v8
	v_xor_b32_e32 v8, vcc_hi, v3
	v_xor_b32_e32 v3, vcc_lo, v3
	v_and_b32_e32 v0, v0, v3
	v_lshlrev_b32_e32 v3, 26, v6
	v_cmp_gt_i64_e32 vcc, 0, v[2:3]
	v_not_b32_e32 v3, v3
	v_ashrrev_i32_e32 v3, 31, v3
	;; [unrolled: 8-line block ×4, first 2 shown]
	v_xor_b32_e32 v6, vcc_hi, v3
	v_xor_b32_e32 v3, vcc_lo, v3
	v_and_b32_e32 v1, v1, v8
	v_and_b32_e32 v0, v0, v3
	;; [unrolled: 1-line block ×3, first 2 shown]
	v_mbcnt_lo_u32_b32 v3, v0, 0
	v_mbcnt_hi_u32_b32 v6, v1, v3
	v_cmp_eq_u32_e32 vcc, 0, v6
	v_cmp_ne_u64_e64 s[0:1], 0, v[0:1]
	s_and_b64 s[4:5], s[0:1], vcc
	s_and_saveexec_b64 s[0:1], s[4:5]
	s_cbranch_execz .LBB380_128
; %bb.127:
	v_bcnt_u32_b32 v0, v0, 0
	v_bcnt_u32_b32 v0, v1, v0
	ds_write_b32 v9, v0 offset:32
.LBB380_128:
	s_or_b64 exec, exec, s[0:1]
	s_waitcnt vmcnt(14)
	v_xor_b32_e32 v22, 0x80000000, v7
	v_lshrrev_b32_e32 v0, s52, v22
	v_and_b32_e32 v0, s16, v0
	v_lshl_add_u32 v1, v0, 3, v0
	v_add_lshl_u32 v11, v15, v1, 2
	v_and_b32_e32 v1, 1, v0
	v_add_co_u32_e32 v3, vcc, -1, v1
	v_addc_co_u32_e64 v8, s[0:1], 0, -1, vcc
	v_cmp_ne_u32_e32 vcc, 0, v1
	v_xor_b32_e32 v3, vcc_lo, v3
	v_xor_b32_e32 v1, vcc_hi, v8
	v_and_b32_e32 v8, exec_lo, v3
	v_lshlrev_b32_e32 v3, 30, v0
	v_cmp_gt_i64_e32 vcc, 0, v[2:3]
	v_not_b32_e32 v3, v3
	v_ashrrev_i32_e32 v3, 31, v3
	v_xor_b32_e32 v12, vcc_hi, v3
	v_xor_b32_e32 v3, vcc_lo, v3
	v_and_b32_e32 v8, v8, v3
	v_lshlrev_b32_e32 v3, 29, v0
	v_cmp_gt_i64_e32 vcc, 0, v[2:3]
	v_not_b32_e32 v3, v3
	v_and_b32_e32 v1, exec_hi, v1
	v_ashrrev_i32_e32 v3, 31, v3
	v_and_b32_e32 v1, v1, v12
	v_xor_b32_e32 v12, vcc_hi, v3
	v_xor_b32_e32 v3, vcc_lo, v3
	v_and_b32_e32 v8, v8, v3
	v_lshlrev_b32_e32 v3, 28, v0
	v_cmp_gt_i64_e32 vcc, 0, v[2:3]
	v_not_b32_e32 v3, v3
	v_ashrrev_i32_e32 v3, 31, v3
	v_and_b32_e32 v1, v1, v12
	v_xor_b32_e32 v12, vcc_hi, v3
	v_xor_b32_e32 v3, vcc_lo, v3
	v_and_b32_e32 v8, v8, v3
	v_lshlrev_b32_e32 v3, 27, v0
	v_cmp_gt_i64_e32 vcc, 0, v[2:3]
	v_not_b32_e32 v3, v3
	;; [unrolled: 8-line block ×4, first 2 shown]
	v_ashrrev_i32_e32 v3, 31, v3
	v_and_b32_e32 v1, v1, v12
	v_xor_b32_e32 v12, vcc_hi, v3
	v_xor_b32_e32 v3, vcc_lo, v3
	v_and_b32_e32 v8, v8, v3
	v_lshlrev_b32_e32 v3, 24, v0
	v_not_b32_e32 v0, v3
	v_cmp_gt_i64_e32 vcc, 0, v[2:3]
	v_ashrrev_i32_e32 v0, 31, v0
	v_xor_b32_e32 v2, vcc_hi, v0
	v_xor_b32_e32 v0, vcc_lo, v0
	; wave barrier
	ds_read_b32 v7, v11 offset:32
	v_and_b32_e32 v1, v1, v12
	v_and_b32_e32 v0, v8, v0
	;; [unrolled: 1-line block ×3, first 2 shown]
	v_mbcnt_lo_u32_b32 v2, v0, 0
	v_mbcnt_hi_u32_b32 v8, v1, v2
	v_cmp_eq_u32_e32 vcc, 0, v8
	v_cmp_ne_u64_e64 s[0:1], 0, v[0:1]
	s_and_b64 s[4:5], s[0:1], vcc
	; wave barrier
	s_and_saveexec_b64 s[0:1], s[4:5]
	s_cbranch_execz .LBB380_130
; %bb.129:
	v_bcnt_u32_b32 v0, v0, 0
	v_bcnt_u32_b32 v0, v1, v0
	s_waitcnt lgkmcnt(0)
	v_add_u32_e32 v0, v7, v0
	ds_write_b32 v11, v0 offset:32
.LBB380_130:
	s_or_b64 exec, exec, s[0:1]
	s_waitcnt vmcnt(13)
	v_xor_b32_e32 v23, 0x80000000, v10
	v_lshrrev_b32_e32 v0, s52, v23
	v_and_b32_e32 v2, s16, v0
	v_and_b32_e32 v1, 1, v2
	v_add_co_u32_e32 v3, vcc, -1, v1
	v_addc_co_u32_e64 v12, s[0:1], 0, -1, vcc
	v_cmp_ne_u32_e32 vcc, 0, v1
	v_lshl_add_u32 v0, v2, 3, v2
	v_xor_b32_e32 v1, vcc_hi, v12
	v_add_lshl_u32 v16, v15, v0, 2
	v_mov_b32_e32 v0, 0
	v_and_b32_e32 v12, exec_hi, v1
	v_lshlrev_b32_e32 v1, 30, v2
	v_xor_b32_e32 v3, vcc_lo, v3
	v_cmp_gt_i64_e32 vcc, 0, v[0:1]
	v_not_b32_e32 v1, v1
	v_ashrrev_i32_e32 v1, 31, v1
	v_and_b32_e32 v3, exec_lo, v3
	v_xor_b32_e32 v17, vcc_hi, v1
	v_xor_b32_e32 v1, vcc_lo, v1
	v_and_b32_e32 v3, v3, v1
	v_lshlrev_b32_e32 v1, 29, v2
	v_cmp_gt_i64_e32 vcc, 0, v[0:1]
	v_not_b32_e32 v1, v1
	v_ashrrev_i32_e32 v1, 31, v1
	v_and_b32_e32 v12, v12, v17
	v_xor_b32_e32 v17, vcc_hi, v1
	v_xor_b32_e32 v1, vcc_lo, v1
	v_and_b32_e32 v3, v3, v1
	v_lshlrev_b32_e32 v1, 28, v2
	v_cmp_gt_i64_e32 vcc, 0, v[0:1]
	v_not_b32_e32 v1, v1
	v_ashrrev_i32_e32 v1, 31, v1
	v_and_b32_e32 v12, v12, v17
	;; [unrolled: 8-line block ×5, first 2 shown]
	v_xor_b32_e32 v17, vcc_hi, v1
	v_xor_b32_e32 v1, vcc_lo, v1
	v_and_b32_e32 v12, v12, v17
	v_and_b32_e32 v17, v3, v1
	v_lshlrev_b32_e32 v1, 24, v2
	v_cmp_gt_i64_e32 vcc, 0, v[0:1]
	v_not_b32_e32 v1, v1
	v_ashrrev_i32_e32 v1, 31, v1
	v_xor_b32_e32 v2, vcc_hi, v1
	v_xor_b32_e32 v1, vcc_lo, v1
	; wave barrier
	ds_read_b32 v10, v16 offset:32
	v_and_b32_e32 v3, v12, v2
	v_and_b32_e32 v2, v17, v1
	v_mbcnt_lo_u32_b32 v1, v2, 0
	v_mbcnt_hi_u32_b32 v12, v3, v1
	v_cmp_eq_u32_e32 vcc, 0, v12
	v_cmp_ne_u64_e64 s[0:1], 0, v[2:3]
	s_and_b64 s[4:5], s[0:1], vcc
	; wave barrier
	s_and_saveexec_b64 s[0:1], s[4:5]
	s_cbranch_execz .LBB380_132
; %bb.131:
	v_bcnt_u32_b32 v1, v2, 0
	v_bcnt_u32_b32 v1, v3, v1
	s_waitcnt lgkmcnt(0)
	v_add_u32_e32 v1, v10, v1
	ds_write_b32 v16, v1 offset:32
.LBB380_132:
	s_or_b64 exec, exec, s[0:1]
	s_waitcnt vmcnt(12)
	v_xor_b32_e32 v24, 0x80000000, v13
	v_lshrrev_b32_e32 v1, s52, v24
	v_and_b32_e32 v2, s16, v1
	v_lshl_add_u32 v1, v2, 3, v2
	v_add_lshl_u32 v31, v15, v1, 2
	v_and_b32_e32 v1, 1, v2
	v_add_co_u32_e32 v3, vcc, -1, v1
	v_addc_co_u32_e64 v17, s[0:1], 0, -1, vcc
	v_cmp_ne_u32_e32 vcc, 0, v1
	v_xor_b32_e32 v1, vcc_hi, v17
	v_and_b32_e32 v17, exec_hi, v1
	v_lshlrev_b32_e32 v1, 30, v2
	v_xor_b32_e32 v3, vcc_lo, v3
	v_cmp_gt_i64_e32 vcc, 0, v[0:1]
	v_not_b32_e32 v1, v1
	v_ashrrev_i32_e32 v1, 31, v1
	v_and_b32_e32 v3, exec_lo, v3
	v_xor_b32_e32 v29, vcc_hi, v1
	v_xor_b32_e32 v1, vcc_lo, v1
	v_and_b32_e32 v3, v3, v1
	v_lshlrev_b32_e32 v1, 29, v2
	v_cmp_gt_i64_e32 vcc, 0, v[0:1]
	v_not_b32_e32 v1, v1
	v_ashrrev_i32_e32 v1, 31, v1
	v_and_b32_e32 v17, v17, v29
	v_xor_b32_e32 v29, vcc_hi, v1
	v_xor_b32_e32 v1, vcc_lo, v1
	v_and_b32_e32 v3, v3, v1
	v_lshlrev_b32_e32 v1, 28, v2
	v_cmp_gt_i64_e32 vcc, 0, v[0:1]
	v_not_b32_e32 v1, v1
	v_ashrrev_i32_e32 v1, 31, v1
	v_and_b32_e32 v17, v17, v29
	;; [unrolled: 8-line block ×5, first 2 shown]
	v_xor_b32_e32 v29, vcc_hi, v1
	v_xor_b32_e32 v1, vcc_lo, v1
	v_and_b32_e32 v3, v3, v1
	v_lshlrev_b32_e32 v1, 24, v2
	v_cmp_gt_i64_e32 vcc, 0, v[0:1]
	v_not_b32_e32 v0, v1
	v_ashrrev_i32_e32 v0, 31, v0
	v_xor_b32_e32 v1, vcc_hi, v0
	v_xor_b32_e32 v0, vcc_lo, v0
	; wave barrier
	ds_read_b32 v13, v31 offset:32
	v_and_b32_e32 v17, v17, v29
	v_and_b32_e32 v0, v3, v0
	;; [unrolled: 1-line block ×3, first 2 shown]
	v_mbcnt_lo_u32_b32 v2, v0, 0
	v_mbcnt_hi_u32_b32 v17, v1, v2
	v_cmp_eq_u32_e32 vcc, 0, v17
	v_cmp_ne_u64_e64 s[0:1], 0, v[0:1]
	s_and_b64 s[4:5], s[0:1], vcc
	; wave barrier
	s_and_saveexec_b64 s[0:1], s[4:5]
	s_cbranch_execz .LBB380_134
; %bb.133:
	v_bcnt_u32_b32 v0, v0, 0
	v_bcnt_u32_b32 v0, v1, v0
	s_waitcnt lgkmcnt(0)
	v_add_u32_e32 v0, v13, v0
	ds_write_b32 v31, v0 offset:32
.LBB380_134:
	s_or_b64 exec, exec, s[0:1]
	s_waitcnt vmcnt(11)
	v_xor_b32_e32 v25, 0x80000000, v25
	v_lshrrev_b32_e32 v0, s52, v25
	v_and_b32_e32 v2, s16, v0
	v_and_b32_e32 v1, 1, v2
	v_add_co_u32_e32 v3, vcc, -1, v1
	v_addc_co_u32_e64 v33, s[0:1], 0, -1, vcc
	v_cmp_ne_u32_e32 vcc, 0, v1
	v_lshl_add_u32 v0, v2, 3, v2
	v_xor_b32_e32 v1, vcc_hi, v33
	v_add_lshl_u32 v36, v15, v0, 2
	v_mov_b32_e32 v0, 0
	v_and_b32_e32 v33, exec_hi, v1
	v_lshlrev_b32_e32 v1, 30, v2
	v_xor_b32_e32 v3, vcc_lo, v3
	v_cmp_gt_i64_e32 vcc, 0, v[0:1]
	v_not_b32_e32 v1, v1
	v_ashrrev_i32_e32 v1, 31, v1
	v_and_b32_e32 v3, exec_lo, v3
	v_xor_b32_e32 v34, vcc_hi, v1
	v_xor_b32_e32 v1, vcc_lo, v1
	v_and_b32_e32 v3, v3, v1
	v_lshlrev_b32_e32 v1, 29, v2
	v_cmp_gt_i64_e32 vcc, 0, v[0:1]
	v_not_b32_e32 v1, v1
	v_ashrrev_i32_e32 v1, 31, v1
	v_and_b32_e32 v33, v33, v34
	v_xor_b32_e32 v34, vcc_hi, v1
	v_xor_b32_e32 v1, vcc_lo, v1
	v_and_b32_e32 v3, v3, v1
	v_lshlrev_b32_e32 v1, 28, v2
	v_cmp_gt_i64_e32 vcc, 0, v[0:1]
	v_not_b32_e32 v1, v1
	v_ashrrev_i32_e32 v1, 31, v1
	v_and_b32_e32 v33, v33, v34
	;; [unrolled: 8-line block ×5, first 2 shown]
	v_xor_b32_e32 v34, vcc_hi, v1
	v_xor_b32_e32 v1, vcc_lo, v1
	v_and_b32_e32 v33, v33, v34
	v_and_b32_e32 v34, v3, v1
	v_lshlrev_b32_e32 v1, 24, v2
	v_cmp_gt_i64_e32 vcc, 0, v[0:1]
	v_not_b32_e32 v1, v1
	v_ashrrev_i32_e32 v1, 31, v1
	v_xor_b32_e32 v2, vcc_hi, v1
	v_xor_b32_e32 v1, vcc_lo, v1
	; wave barrier
	ds_read_b32 v29, v36 offset:32
	v_and_b32_e32 v3, v33, v2
	v_and_b32_e32 v2, v34, v1
	v_mbcnt_lo_u32_b32 v1, v2, 0
	v_mbcnt_hi_u32_b32 v33, v3, v1
	v_cmp_eq_u32_e32 vcc, 0, v33
	v_cmp_ne_u64_e64 s[0:1], 0, v[2:3]
	s_and_b64 s[4:5], s[0:1], vcc
	; wave barrier
	s_and_saveexec_b64 s[0:1], s[4:5]
	s_cbranch_execz .LBB380_136
; %bb.135:
	v_bcnt_u32_b32 v1, v2, 0
	v_bcnt_u32_b32 v1, v3, v1
	s_waitcnt lgkmcnt(0)
	v_add_u32_e32 v1, v29, v1
	ds_write_b32 v36, v1 offset:32
.LBB380_136:
	s_or_b64 exec, exec, s[0:1]
	s_waitcnt vmcnt(10)
	v_xor_b32_e32 v26, 0x80000000, v26
	v_lshrrev_b32_e32 v1, s52, v26
	v_and_b32_e32 v2, s16, v1
	v_lshl_add_u32 v1, v2, 3, v2
	v_add_lshl_u32 v41, v15, v1, 2
	v_and_b32_e32 v1, 1, v2
	v_add_co_u32_e32 v3, vcc, -1, v1
	v_addc_co_u32_e64 v38, s[0:1], 0, -1, vcc
	v_cmp_ne_u32_e32 vcc, 0, v1
	v_xor_b32_e32 v1, vcc_hi, v38
	v_and_b32_e32 v38, exec_hi, v1
	v_lshlrev_b32_e32 v1, 30, v2
	v_xor_b32_e32 v3, vcc_lo, v3
	v_cmp_gt_i64_e32 vcc, 0, v[0:1]
	v_not_b32_e32 v1, v1
	v_ashrrev_i32_e32 v1, 31, v1
	v_and_b32_e32 v3, exec_lo, v3
	v_xor_b32_e32 v39, vcc_hi, v1
	v_xor_b32_e32 v1, vcc_lo, v1
	v_and_b32_e32 v3, v3, v1
	v_lshlrev_b32_e32 v1, 29, v2
	v_cmp_gt_i64_e32 vcc, 0, v[0:1]
	v_not_b32_e32 v1, v1
	v_ashrrev_i32_e32 v1, 31, v1
	v_and_b32_e32 v38, v38, v39
	v_xor_b32_e32 v39, vcc_hi, v1
	v_xor_b32_e32 v1, vcc_lo, v1
	v_and_b32_e32 v3, v3, v1
	v_lshlrev_b32_e32 v1, 28, v2
	v_cmp_gt_i64_e32 vcc, 0, v[0:1]
	v_not_b32_e32 v1, v1
	v_ashrrev_i32_e32 v1, 31, v1
	v_and_b32_e32 v38, v38, v39
	;; [unrolled: 8-line block ×5, first 2 shown]
	v_xor_b32_e32 v39, vcc_hi, v1
	v_xor_b32_e32 v1, vcc_lo, v1
	v_and_b32_e32 v3, v3, v1
	v_lshlrev_b32_e32 v1, 24, v2
	v_cmp_gt_i64_e32 vcc, 0, v[0:1]
	v_not_b32_e32 v0, v1
	v_ashrrev_i32_e32 v0, 31, v0
	v_xor_b32_e32 v1, vcc_hi, v0
	v_xor_b32_e32 v0, vcc_lo, v0
	; wave barrier
	ds_read_b32 v34, v41 offset:32
	v_and_b32_e32 v38, v38, v39
	v_and_b32_e32 v0, v3, v0
	;; [unrolled: 1-line block ×3, first 2 shown]
	v_mbcnt_lo_u32_b32 v2, v0, 0
	v_mbcnt_hi_u32_b32 v38, v1, v2
	v_cmp_eq_u32_e32 vcc, 0, v38
	v_cmp_ne_u64_e64 s[0:1], 0, v[0:1]
	s_and_b64 s[4:5], s[0:1], vcc
	; wave barrier
	s_and_saveexec_b64 s[0:1], s[4:5]
	s_cbranch_execz .LBB380_138
; %bb.137:
	v_bcnt_u32_b32 v0, v0, 0
	v_bcnt_u32_b32 v0, v1, v0
	s_waitcnt lgkmcnt(0)
	v_add_u32_e32 v0, v34, v0
	ds_write_b32 v41, v0 offset:32
.LBB380_138:
	s_or_b64 exec, exec, s[0:1]
	s_waitcnt vmcnt(9)
	v_xor_b32_e32 v27, 0x80000000, v27
	v_lshrrev_b32_e32 v0, s52, v27
	v_and_b32_e32 v2, s16, v0
	v_and_b32_e32 v1, 1, v2
	v_add_co_u32_e32 v3, vcc, -1, v1
	v_addc_co_u32_e64 v43, s[0:1], 0, -1, vcc
	v_cmp_ne_u32_e32 vcc, 0, v1
	v_lshl_add_u32 v0, v2, 3, v2
	v_xor_b32_e32 v1, vcc_hi, v43
	v_add_lshl_u32 v46, v15, v0, 2
	v_mov_b32_e32 v0, 0
	v_and_b32_e32 v43, exec_hi, v1
	v_lshlrev_b32_e32 v1, 30, v2
	v_xor_b32_e32 v3, vcc_lo, v3
	v_cmp_gt_i64_e32 vcc, 0, v[0:1]
	v_not_b32_e32 v1, v1
	v_ashrrev_i32_e32 v1, 31, v1
	v_and_b32_e32 v3, exec_lo, v3
	v_xor_b32_e32 v44, vcc_hi, v1
	v_xor_b32_e32 v1, vcc_lo, v1
	v_and_b32_e32 v3, v3, v1
	v_lshlrev_b32_e32 v1, 29, v2
	v_cmp_gt_i64_e32 vcc, 0, v[0:1]
	v_not_b32_e32 v1, v1
	v_ashrrev_i32_e32 v1, 31, v1
	v_and_b32_e32 v43, v43, v44
	v_xor_b32_e32 v44, vcc_hi, v1
	v_xor_b32_e32 v1, vcc_lo, v1
	v_and_b32_e32 v3, v3, v1
	v_lshlrev_b32_e32 v1, 28, v2
	v_cmp_gt_i64_e32 vcc, 0, v[0:1]
	v_not_b32_e32 v1, v1
	v_ashrrev_i32_e32 v1, 31, v1
	v_and_b32_e32 v43, v43, v44
	v_xor_b32_e32 v44, vcc_hi, v1
	v_xor_b32_e32 v1, vcc_lo, v1
	v_and_b32_e32 v3, v3, v1
	v_lshlrev_b32_e32 v1, 27, v2
	v_cmp_gt_i64_e32 vcc, 0, v[0:1]
	v_not_b32_e32 v1, v1
	v_ashrrev_i32_e32 v1, 31, v1
	v_and_b32_e32 v43, v43, v44
	v_xor_b32_e32 v44, vcc_hi, v1
	v_xor_b32_e32 v1, vcc_lo, v1
	v_and_b32_e32 v3, v3, v1
	v_lshlrev_b32_e32 v1, 26, v2
	v_cmp_gt_i64_e32 vcc, 0, v[0:1]
	v_not_b32_e32 v1, v1
	v_ashrrev_i32_e32 v1, 31, v1
	v_and_b32_e32 v43, v43, v44
	v_xor_b32_e32 v44, vcc_hi, v1
	v_xor_b32_e32 v1, vcc_lo, v1
	v_and_b32_e32 v3, v3, v1
	v_lshlrev_b32_e32 v1, 25, v2
	v_cmp_gt_i64_e32 vcc, 0, v[0:1]
	v_not_b32_e32 v1, v1
	v_ashrrev_i32_e32 v1, 31, v1
	v_and_b32_e32 v43, v43, v44
	v_xor_b32_e32 v44, vcc_hi, v1
	v_xor_b32_e32 v1, vcc_lo, v1
	v_and_b32_e32 v43, v43, v44
	v_and_b32_e32 v44, v3, v1
	v_lshlrev_b32_e32 v1, 24, v2
	v_cmp_gt_i64_e32 vcc, 0, v[0:1]
	v_not_b32_e32 v1, v1
	v_ashrrev_i32_e32 v1, 31, v1
	v_xor_b32_e32 v2, vcc_hi, v1
	v_xor_b32_e32 v1, vcc_lo, v1
	; wave barrier
	ds_read_b32 v39, v46 offset:32
	v_and_b32_e32 v3, v43, v2
	v_and_b32_e32 v2, v44, v1
	v_mbcnt_lo_u32_b32 v1, v2, 0
	v_mbcnt_hi_u32_b32 v43, v3, v1
	v_cmp_eq_u32_e32 vcc, 0, v43
	v_cmp_ne_u64_e64 s[0:1], 0, v[2:3]
	s_and_b64 s[4:5], s[0:1], vcc
	; wave barrier
	s_and_saveexec_b64 s[0:1], s[4:5]
	s_cbranch_execz .LBB380_140
; %bb.139:
	v_bcnt_u32_b32 v1, v2, 0
	v_bcnt_u32_b32 v1, v3, v1
	s_waitcnt lgkmcnt(0)
	v_add_u32_e32 v1, v39, v1
	ds_write_b32 v46, v1 offset:32
.LBB380_140:
	s_or_b64 exec, exec, s[0:1]
	s_waitcnt vmcnt(8)
	v_xor_b32_e32 v28, 0x80000000, v28
	v_lshrrev_b32_e32 v1, s52, v28
	v_and_b32_e32 v2, s16, v1
	v_lshl_add_u32 v1, v2, 3, v2
	v_add_lshl_u32 v49, v15, v1, 2
	v_and_b32_e32 v1, 1, v2
	v_add_co_u32_e32 v3, vcc, -1, v1
	v_addc_co_u32_e64 v47, s[0:1], 0, -1, vcc
	v_cmp_ne_u32_e32 vcc, 0, v1
	v_xor_b32_e32 v1, vcc_hi, v47
	v_and_b32_e32 v47, exec_hi, v1
	v_lshlrev_b32_e32 v1, 30, v2
	v_xor_b32_e32 v3, vcc_lo, v3
	v_cmp_gt_i64_e32 vcc, 0, v[0:1]
	v_not_b32_e32 v1, v1
	v_ashrrev_i32_e32 v1, 31, v1
	v_and_b32_e32 v3, exec_lo, v3
	v_xor_b32_e32 v48, vcc_hi, v1
	v_xor_b32_e32 v1, vcc_lo, v1
	v_and_b32_e32 v3, v3, v1
	v_lshlrev_b32_e32 v1, 29, v2
	v_cmp_gt_i64_e32 vcc, 0, v[0:1]
	v_not_b32_e32 v1, v1
	v_ashrrev_i32_e32 v1, 31, v1
	v_and_b32_e32 v47, v47, v48
	v_xor_b32_e32 v48, vcc_hi, v1
	v_xor_b32_e32 v1, vcc_lo, v1
	v_and_b32_e32 v3, v3, v1
	v_lshlrev_b32_e32 v1, 28, v2
	v_cmp_gt_i64_e32 vcc, 0, v[0:1]
	v_not_b32_e32 v1, v1
	v_ashrrev_i32_e32 v1, 31, v1
	v_and_b32_e32 v47, v47, v48
	v_xor_b32_e32 v48, vcc_hi, v1
	v_xor_b32_e32 v1, vcc_lo, v1
	v_and_b32_e32 v3, v3, v1
	v_lshlrev_b32_e32 v1, 27, v2
	v_cmp_gt_i64_e32 vcc, 0, v[0:1]
	v_not_b32_e32 v1, v1
	v_ashrrev_i32_e32 v1, 31, v1
	v_and_b32_e32 v47, v47, v48
	v_xor_b32_e32 v48, vcc_hi, v1
	v_xor_b32_e32 v1, vcc_lo, v1
	v_and_b32_e32 v3, v3, v1
	v_lshlrev_b32_e32 v1, 26, v2
	v_cmp_gt_i64_e32 vcc, 0, v[0:1]
	v_not_b32_e32 v1, v1
	v_ashrrev_i32_e32 v1, 31, v1
	v_and_b32_e32 v47, v47, v48
	v_xor_b32_e32 v48, vcc_hi, v1
	v_xor_b32_e32 v1, vcc_lo, v1
	v_and_b32_e32 v3, v3, v1
	v_lshlrev_b32_e32 v1, 25, v2
	v_cmp_gt_i64_e32 vcc, 0, v[0:1]
	v_not_b32_e32 v1, v1
	v_ashrrev_i32_e32 v1, 31, v1
	v_and_b32_e32 v47, v47, v48
	v_xor_b32_e32 v48, vcc_hi, v1
	v_xor_b32_e32 v1, vcc_lo, v1
	v_and_b32_e32 v3, v3, v1
	v_lshlrev_b32_e32 v1, 24, v2
	v_cmp_gt_i64_e32 vcc, 0, v[0:1]
	v_not_b32_e32 v0, v1
	v_ashrrev_i32_e32 v0, 31, v0
	v_xor_b32_e32 v1, vcc_hi, v0
	v_xor_b32_e32 v0, vcc_lo, v0
	; wave barrier
	ds_read_b32 v44, v49 offset:32
	v_and_b32_e32 v47, v47, v48
	v_and_b32_e32 v0, v3, v0
	v_and_b32_e32 v1, v47, v1
	v_mbcnt_lo_u32_b32 v2, v0, 0
	v_mbcnt_hi_u32_b32 v47, v1, v2
	v_cmp_eq_u32_e32 vcc, 0, v47
	v_cmp_ne_u64_e64 s[0:1], 0, v[0:1]
	s_and_b64 s[4:5], s[0:1], vcc
	; wave barrier
	s_and_saveexec_b64 s[0:1], s[4:5]
	s_cbranch_execz .LBB380_142
; %bb.141:
	v_bcnt_u32_b32 v0, v0, 0
	v_bcnt_u32_b32 v0, v1, v0
	s_waitcnt lgkmcnt(0)
	v_add_u32_e32 v0, v44, v0
	ds_write_b32 v49, v0 offset:32
.LBB380_142:
	s_or_b64 exec, exec, s[0:1]
	s_waitcnt vmcnt(7)
	v_xor_b32_e32 v32, 0x80000000, v32
	v_lshrrev_b32_e32 v0, s52, v32
	v_and_b32_e32 v2, s16, v0
	v_and_b32_e32 v1, 1, v2
	v_add_co_u32_e32 v3, vcc, -1, v1
	v_addc_co_u32_e64 v50, s[0:1], 0, -1, vcc
	v_cmp_ne_u32_e32 vcc, 0, v1
	v_lshl_add_u32 v0, v2, 3, v2
	v_xor_b32_e32 v1, vcc_hi, v50
	v_add_lshl_u32 v52, v15, v0, 2
	v_mov_b32_e32 v0, 0
	v_and_b32_e32 v50, exec_hi, v1
	v_lshlrev_b32_e32 v1, 30, v2
	v_xor_b32_e32 v3, vcc_lo, v3
	v_cmp_gt_i64_e32 vcc, 0, v[0:1]
	v_not_b32_e32 v1, v1
	v_ashrrev_i32_e32 v1, 31, v1
	v_and_b32_e32 v3, exec_lo, v3
	v_xor_b32_e32 v51, vcc_hi, v1
	v_xor_b32_e32 v1, vcc_lo, v1
	v_and_b32_e32 v3, v3, v1
	v_lshlrev_b32_e32 v1, 29, v2
	v_cmp_gt_i64_e32 vcc, 0, v[0:1]
	v_not_b32_e32 v1, v1
	v_ashrrev_i32_e32 v1, 31, v1
	v_and_b32_e32 v50, v50, v51
	v_xor_b32_e32 v51, vcc_hi, v1
	v_xor_b32_e32 v1, vcc_lo, v1
	v_and_b32_e32 v3, v3, v1
	v_lshlrev_b32_e32 v1, 28, v2
	v_cmp_gt_i64_e32 vcc, 0, v[0:1]
	v_not_b32_e32 v1, v1
	v_ashrrev_i32_e32 v1, 31, v1
	v_and_b32_e32 v50, v50, v51
	;; [unrolled: 8-line block ×5, first 2 shown]
	v_xor_b32_e32 v51, vcc_hi, v1
	v_xor_b32_e32 v1, vcc_lo, v1
	v_and_b32_e32 v50, v50, v51
	v_and_b32_e32 v51, v3, v1
	v_lshlrev_b32_e32 v1, 24, v2
	v_cmp_gt_i64_e32 vcc, 0, v[0:1]
	v_not_b32_e32 v1, v1
	v_ashrrev_i32_e32 v1, 31, v1
	v_xor_b32_e32 v2, vcc_hi, v1
	v_xor_b32_e32 v1, vcc_lo, v1
	; wave barrier
	ds_read_b32 v48, v52 offset:32
	v_and_b32_e32 v3, v50, v2
	v_and_b32_e32 v2, v51, v1
	v_mbcnt_lo_u32_b32 v1, v2, 0
	v_mbcnt_hi_u32_b32 v50, v3, v1
	v_cmp_eq_u32_e32 vcc, 0, v50
	v_cmp_ne_u64_e64 s[0:1], 0, v[2:3]
	s_and_b64 s[4:5], s[0:1], vcc
	; wave barrier
	s_and_saveexec_b64 s[0:1], s[4:5]
	s_cbranch_execz .LBB380_144
; %bb.143:
	v_bcnt_u32_b32 v1, v2, 0
	v_bcnt_u32_b32 v1, v3, v1
	s_waitcnt lgkmcnt(0)
	v_add_u32_e32 v1, v48, v1
	ds_write_b32 v52, v1 offset:32
.LBB380_144:
	s_or_b64 exec, exec, s[0:1]
	s_waitcnt vmcnt(6)
	v_xor_b32_e32 v37, 0x80000000, v37
	v_lshrrev_b32_e32 v1, s52, v37
	v_and_b32_e32 v2, s16, v1
	v_lshl_add_u32 v1, v2, 3, v2
	v_add_lshl_u32 v55, v15, v1, 2
	v_and_b32_e32 v1, 1, v2
	v_add_co_u32_e32 v3, vcc, -1, v1
	v_addc_co_u32_e64 v53, s[0:1], 0, -1, vcc
	v_cmp_ne_u32_e32 vcc, 0, v1
	v_xor_b32_e32 v1, vcc_hi, v53
	v_and_b32_e32 v53, exec_hi, v1
	v_lshlrev_b32_e32 v1, 30, v2
	v_xor_b32_e32 v3, vcc_lo, v3
	v_cmp_gt_i64_e32 vcc, 0, v[0:1]
	v_not_b32_e32 v1, v1
	v_ashrrev_i32_e32 v1, 31, v1
	v_and_b32_e32 v3, exec_lo, v3
	v_xor_b32_e32 v54, vcc_hi, v1
	v_xor_b32_e32 v1, vcc_lo, v1
	v_and_b32_e32 v3, v3, v1
	v_lshlrev_b32_e32 v1, 29, v2
	v_cmp_gt_i64_e32 vcc, 0, v[0:1]
	v_not_b32_e32 v1, v1
	v_ashrrev_i32_e32 v1, 31, v1
	v_and_b32_e32 v53, v53, v54
	v_xor_b32_e32 v54, vcc_hi, v1
	v_xor_b32_e32 v1, vcc_lo, v1
	v_and_b32_e32 v3, v3, v1
	v_lshlrev_b32_e32 v1, 28, v2
	v_cmp_gt_i64_e32 vcc, 0, v[0:1]
	v_not_b32_e32 v1, v1
	v_ashrrev_i32_e32 v1, 31, v1
	v_and_b32_e32 v53, v53, v54
	;; [unrolled: 8-line block ×5, first 2 shown]
	v_xor_b32_e32 v54, vcc_hi, v1
	v_xor_b32_e32 v1, vcc_lo, v1
	v_and_b32_e32 v3, v3, v1
	v_lshlrev_b32_e32 v1, 24, v2
	v_cmp_gt_i64_e32 vcc, 0, v[0:1]
	v_not_b32_e32 v0, v1
	v_ashrrev_i32_e32 v0, 31, v0
	v_xor_b32_e32 v1, vcc_hi, v0
	v_xor_b32_e32 v0, vcc_lo, v0
	; wave barrier
	ds_read_b32 v51, v55 offset:32
	v_and_b32_e32 v53, v53, v54
	v_and_b32_e32 v0, v3, v0
	;; [unrolled: 1-line block ×3, first 2 shown]
	v_mbcnt_lo_u32_b32 v2, v0, 0
	v_mbcnt_hi_u32_b32 v53, v1, v2
	v_cmp_eq_u32_e32 vcc, 0, v53
	v_cmp_ne_u64_e64 s[0:1], 0, v[0:1]
	s_and_b64 s[4:5], s[0:1], vcc
	; wave barrier
	s_and_saveexec_b64 s[0:1], s[4:5]
	s_cbranch_execz .LBB380_146
; %bb.145:
	v_bcnt_u32_b32 v0, v0, 0
	v_bcnt_u32_b32 v0, v1, v0
	s_waitcnt lgkmcnt(0)
	v_add_u32_e32 v0, v51, v0
	ds_write_b32 v55, v0 offset:32
.LBB380_146:
	s_or_b64 exec, exec, s[0:1]
	s_waitcnt vmcnt(5)
	v_xor_b32_e32 v42, 0x80000000, v42
	v_lshrrev_b32_e32 v0, s52, v42
	v_and_b32_e32 v2, s16, v0
	v_and_b32_e32 v1, 1, v2
	v_add_co_u32_e32 v3, vcc, -1, v1
	v_addc_co_u32_e64 v56, s[0:1], 0, -1, vcc
	v_cmp_ne_u32_e32 vcc, 0, v1
	v_lshl_add_u32 v0, v2, 3, v2
	v_xor_b32_e32 v1, vcc_hi, v56
	v_add_lshl_u32 v59, v15, v0, 2
	v_mov_b32_e32 v0, 0
	v_and_b32_e32 v56, exec_hi, v1
	v_lshlrev_b32_e32 v1, 30, v2
	v_xor_b32_e32 v3, vcc_lo, v3
	v_cmp_gt_i64_e32 vcc, 0, v[0:1]
	v_not_b32_e32 v1, v1
	v_ashrrev_i32_e32 v1, 31, v1
	v_and_b32_e32 v3, exec_lo, v3
	v_xor_b32_e32 v57, vcc_hi, v1
	v_xor_b32_e32 v1, vcc_lo, v1
	v_and_b32_e32 v3, v3, v1
	v_lshlrev_b32_e32 v1, 29, v2
	v_cmp_gt_i64_e32 vcc, 0, v[0:1]
	v_not_b32_e32 v1, v1
	v_ashrrev_i32_e32 v1, 31, v1
	v_and_b32_e32 v56, v56, v57
	v_xor_b32_e32 v57, vcc_hi, v1
	v_xor_b32_e32 v1, vcc_lo, v1
	v_and_b32_e32 v3, v3, v1
	v_lshlrev_b32_e32 v1, 28, v2
	v_cmp_gt_i64_e32 vcc, 0, v[0:1]
	v_not_b32_e32 v1, v1
	v_ashrrev_i32_e32 v1, 31, v1
	v_and_b32_e32 v56, v56, v57
	;; [unrolled: 8-line block ×5, first 2 shown]
	v_xor_b32_e32 v57, vcc_hi, v1
	v_xor_b32_e32 v1, vcc_lo, v1
	v_and_b32_e32 v56, v56, v57
	v_and_b32_e32 v57, v3, v1
	v_lshlrev_b32_e32 v1, 24, v2
	v_cmp_gt_i64_e32 vcc, 0, v[0:1]
	v_not_b32_e32 v1, v1
	v_ashrrev_i32_e32 v1, 31, v1
	v_xor_b32_e32 v2, vcc_hi, v1
	v_xor_b32_e32 v1, vcc_lo, v1
	; wave barrier
	ds_read_b32 v54, v59 offset:32
	v_and_b32_e32 v3, v56, v2
	v_and_b32_e32 v2, v57, v1
	v_mbcnt_lo_u32_b32 v1, v2, 0
	v_mbcnt_hi_u32_b32 v56, v3, v1
	v_cmp_eq_u32_e32 vcc, 0, v56
	v_cmp_ne_u64_e64 s[0:1], 0, v[2:3]
	s_and_b64 s[4:5], s[0:1], vcc
	; wave barrier
	s_and_saveexec_b64 s[0:1], s[4:5]
	s_cbranch_execz .LBB380_148
; %bb.147:
	v_bcnt_u32_b32 v1, v2, 0
	v_bcnt_u32_b32 v1, v3, v1
	s_waitcnt lgkmcnt(0)
	v_add_u32_e32 v1, v54, v1
	ds_write_b32 v59, v1 offset:32
.LBB380_148:
	s_or_b64 exec, exec, s[0:1]
	s_waitcnt vmcnt(4)
	v_xor_b32_e32 v45, 0x80000000, v45
	v_lshrrev_b32_e32 v1, s52, v45
	v_and_b32_e32 v2, s16, v1
	v_lshl_add_u32 v1, v2, 3, v2
	v_add_lshl_u32 v63, v15, v1, 2
	v_and_b32_e32 v1, 1, v2
	v_add_co_u32_e32 v3, vcc, -1, v1
	v_addc_co_u32_e64 v57, s[0:1], 0, -1, vcc
	v_cmp_ne_u32_e32 vcc, 0, v1
	v_xor_b32_e32 v1, vcc_hi, v57
	v_and_b32_e32 v57, exec_hi, v1
	v_lshlrev_b32_e32 v1, 30, v2
	v_xor_b32_e32 v3, vcc_lo, v3
	v_cmp_gt_i64_e32 vcc, 0, v[0:1]
	v_not_b32_e32 v1, v1
	v_ashrrev_i32_e32 v1, 31, v1
	v_and_b32_e32 v3, exec_lo, v3
	v_xor_b32_e32 v60, vcc_hi, v1
	v_xor_b32_e32 v1, vcc_lo, v1
	v_and_b32_e32 v3, v3, v1
	v_lshlrev_b32_e32 v1, 29, v2
	v_cmp_gt_i64_e32 vcc, 0, v[0:1]
	v_not_b32_e32 v1, v1
	v_ashrrev_i32_e32 v1, 31, v1
	v_and_b32_e32 v57, v57, v60
	v_xor_b32_e32 v60, vcc_hi, v1
	v_xor_b32_e32 v1, vcc_lo, v1
	v_and_b32_e32 v3, v3, v1
	v_lshlrev_b32_e32 v1, 28, v2
	v_cmp_gt_i64_e32 vcc, 0, v[0:1]
	v_not_b32_e32 v1, v1
	v_ashrrev_i32_e32 v1, 31, v1
	v_and_b32_e32 v57, v57, v60
	;; [unrolled: 8-line block ×5, first 2 shown]
	v_xor_b32_e32 v60, vcc_hi, v1
	v_xor_b32_e32 v1, vcc_lo, v1
	v_and_b32_e32 v3, v3, v1
	v_lshlrev_b32_e32 v1, 24, v2
	v_cmp_gt_i64_e32 vcc, 0, v[0:1]
	v_not_b32_e32 v0, v1
	v_ashrrev_i32_e32 v0, 31, v0
	v_xor_b32_e32 v1, vcc_hi, v0
	v_xor_b32_e32 v0, vcc_lo, v0
	; wave barrier
	ds_read_b32 v58, v63 offset:32
	v_and_b32_e32 v57, v57, v60
	v_and_b32_e32 v0, v3, v0
	;; [unrolled: 1-line block ×3, first 2 shown]
	v_mbcnt_lo_u32_b32 v2, v0, 0
	v_mbcnt_hi_u32_b32 v61, v1, v2
	v_cmp_eq_u32_e32 vcc, 0, v61
	v_cmp_ne_u64_e64 s[0:1], 0, v[0:1]
	s_and_b64 s[4:5], s[0:1], vcc
	; wave barrier
	s_and_saveexec_b64 s[0:1], s[4:5]
	s_cbranch_execz .LBB380_150
; %bb.149:
	v_bcnt_u32_b32 v0, v0, 0
	v_bcnt_u32_b32 v0, v1, v0
	s_waitcnt lgkmcnt(0)
	v_add_u32_e32 v0, v58, v0
	ds_write_b32 v63, v0 offset:32
.LBB380_150:
	s_or_b64 exec, exec, s[0:1]
	s_waitcnt vmcnt(3)
	v_xor_b32_e32 v40, 0x80000000, v40
	v_lshrrev_b32_e32 v0, s52, v40
	v_and_b32_e32 v2, s16, v0
	v_and_b32_e32 v1, 1, v2
	v_add_co_u32_e32 v3, vcc, -1, v1
	v_addc_co_u32_e64 v57, s[0:1], 0, -1, vcc
	v_cmp_ne_u32_e32 vcc, 0, v1
	v_lshl_add_u32 v0, v2, 3, v2
	v_xor_b32_e32 v1, vcc_hi, v57
	v_add_lshl_u32 v66, v15, v0, 2
	v_mov_b32_e32 v0, 0
	v_and_b32_e32 v57, exec_hi, v1
	v_lshlrev_b32_e32 v1, 30, v2
	v_xor_b32_e32 v3, vcc_lo, v3
	v_cmp_gt_i64_e32 vcc, 0, v[0:1]
	v_not_b32_e32 v1, v1
	v_ashrrev_i32_e32 v1, 31, v1
	v_and_b32_e32 v3, exec_lo, v3
	v_xor_b32_e32 v60, vcc_hi, v1
	v_xor_b32_e32 v1, vcc_lo, v1
	v_and_b32_e32 v3, v3, v1
	v_lshlrev_b32_e32 v1, 29, v2
	v_cmp_gt_i64_e32 vcc, 0, v[0:1]
	v_not_b32_e32 v1, v1
	v_ashrrev_i32_e32 v1, 31, v1
	v_and_b32_e32 v57, v57, v60
	v_xor_b32_e32 v60, vcc_hi, v1
	v_xor_b32_e32 v1, vcc_lo, v1
	v_and_b32_e32 v3, v3, v1
	v_lshlrev_b32_e32 v1, 28, v2
	v_cmp_gt_i64_e32 vcc, 0, v[0:1]
	v_not_b32_e32 v1, v1
	v_ashrrev_i32_e32 v1, 31, v1
	v_and_b32_e32 v57, v57, v60
	;; [unrolled: 8-line block ×5, first 2 shown]
	v_xor_b32_e32 v60, vcc_hi, v1
	v_xor_b32_e32 v1, vcc_lo, v1
	v_and_b32_e32 v57, v57, v60
	v_and_b32_e32 v60, v3, v1
	v_lshlrev_b32_e32 v1, 24, v2
	v_cmp_gt_i64_e32 vcc, 0, v[0:1]
	v_not_b32_e32 v1, v1
	v_ashrrev_i32_e32 v1, 31, v1
	v_xor_b32_e32 v2, vcc_hi, v1
	v_xor_b32_e32 v1, vcc_lo, v1
	; wave barrier
	ds_read_b32 v62, v66 offset:32
	v_and_b32_e32 v3, v57, v2
	v_and_b32_e32 v2, v60, v1
	v_mbcnt_lo_u32_b32 v1, v2, 0
	v_mbcnt_hi_u32_b32 v64, v3, v1
	v_cmp_eq_u32_e32 vcc, 0, v64
	v_cmp_ne_u64_e64 s[0:1], 0, v[2:3]
	s_and_b64 s[4:5], s[0:1], vcc
	; wave barrier
	s_and_saveexec_b64 s[0:1], s[4:5]
	s_cbranch_execz .LBB380_152
; %bb.151:
	v_bcnt_u32_b32 v1, v2, 0
	v_bcnt_u32_b32 v1, v3, v1
	s_waitcnt lgkmcnt(0)
	v_add_u32_e32 v1, v62, v1
	ds_write_b32 v66, v1 offset:32
.LBB380_152:
	s_or_b64 exec, exec, s[0:1]
	s_waitcnt vmcnt(2)
	v_xor_b32_e32 v35, 0x80000000, v35
	v_lshrrev_b32_e32 v1, s52, v35
	v_and_b32_e32 v2, s16, v1
	v_lshl_add_u32 v1, v2, 3, v2
	v_add_lshl_u32 v69, v15, v1, 2
	v_and_b32_e32 v1, 1, v2
	v_add_co_u32_e32 v3, vcc, -1, v1
	v_addc_co_u32_e64 v57, s[0:1], 0, -1, vcc
	v_cmp_ne_u32_e32 vcc, 0, v1
	v_xor_b32_e32 v1, vcc_hi, v57
	v_and_b32_e32 v57, exec_hi, v1
	v_lshlrev_b32_e32 v1, 30, v2
	v_xor_b32_e32 v3, vcc_lo, v3
	v_cmp_gt_i64_e32 vcc, 0, v[0:1]
	v_not_b32_e32 v1, v1
	v_ashrrev_i32_e32 v1, 31, v1
	v_and_b32_e32 v3, exec_lo, v3
	v_xor_b32_e32 v60, vcc_hi, v1
	v_xor_b32_e32 v1, vcc_lo, v1
	v_and_b32_e32 v3, v3, v1
	v_lshlrev_b32_e32 v1, 29, v2
	v_cmp_gt_i64_e32 vcc, 0, v[0:1]
	v_not_b32_e32 v1, v1
	v_ashrrev_i32_e32 v1, 31, v1
	v_and_b32_e32 v57, v57, v60
	v_xor_b32_e32 v60, vcc_hi, v1
	v_xor_b32_e32 v1, vcc_lo, v1
	v_and_b32_e32 v3, v3, v1
	v_lshlrev_b32_e32 v1, 28, v2
	v_cmp_gt_i64_e32 vcc, 0, v[0:1]
	v_not_b32_e32 v1, v1
	v_ashrrev_i32_e32 v1, 31, v1
	v_and_b32_e32 v57, v57, v60
	;; [unrolled: 8-line block ×5, first 2 shown]
	v_xor_b32_e32 v60, vcc_hi, v1
	v_xor_b32_e32 v1, vcc_lo, v1
	v_and_b32_e32 v3, v3, v1
	v_lshlrev_b32_e32 v1, 24, v2
	v_cmp_gt_i64_e32 vcc, 0, v[0:1]
	v_not_b32_e32 v0, v1
	v_ashrrev_i32_e32 v0, 31, v0
	v_xor_b32_e32 v1, vcc_hi, v0
	v_xor_b32_e32 v0, vcc_lo, v0
	; wave barrier
	ds_read_b32 v65, v69 offset:32
	v_and_b32_e32 v57, v57, v60
	v_and_b32_e32 v0, v3, v0
	;; [unrolled: 1-line block ×3, first 2 shown]
	v_mbcnt_lo_u32_b32 v2, v0, 0
	v_mbcnt_hi_u32_b32 v67, v1, v2
	v_cmp_eq_u32_e32 vcc, 0, v67
	v_cmp_ne_u64_e64 s[0:1], 0, v[0:1]
	s_and_b64 s[4:5], s[0:1], vcc
	; wave barrier
	s_and_saveexec_b64 s[0:1], s[4:5]
	s_cbranch_execz .LBB380_154
; %bb.153:
	v_bcnt_u32_b32 v0, v0, 0
	v_bcnt_u32_b32 v0, v1, v0
	s_waitcnt lgkmcnt(0)
	v_add_u32_e32 v0, v65, v0
	ds_write_b32 v69, v0 offset:32
.LBB380_154:
	s_or_b64 exec, exec, s[0:1]
	s_waitcnt vmcnt(1)
	v_xor_b32_e32 v30, 0x80000000, v30
	v_lshrrev_b32_e32 v0, s52, v30
	v_and_b32_e32 v2, s16, v0
	v_and_b32_e32 v1, 1, v2
	v_add_co_u32_e32 v3, vcc, -1, v1
	v_addc_co_u32_e64 v57, s[0:1], 0, -1, vcc
	v_cmp_ne_u32_e32 vcc, 0, v1
	v_lshl_add_u32 v0, v2, 3, v2
	v_xor_b32_e32 v1, vcc_hi, v57
	v_add_lshl_u32 v71, v15, v0, 2
	v_mov_b32_e32 v0, 0
	v_and_b32_e32 v57, exec_hi, v1
	v_lshlrev_b32_e32 v1, 30, v2
	v_xor_b32_e32 v3, vcc_lo, v3
	v_cmp_gt_i64_e32 vcc, 0, v[0:1]
	v_not_b32_e32 v1, v1
	v_ashrrev_i32_e32 v1, 31, v1
	v_and_b32_e32 v3, exec_lo, v3
	v_xor_b32_e32 v60, vcc_hi, v1
	v_xor_b32_e32 v1, vcc_lo, v1
	v_and_b32_e32 v3, v3, v1
	v_lshlrev_b32_e32 v1, 29, v2
	v_cmp_gt_i64_e32 vcc, 0, v[0:1]
	v_not_b32_e32 v1, v1
	v_ashrrev_i32_e32 v1, 31, v1
	v_and_b32_e32 v57, v57, v60
	v_xor_b32_e32 v60, vcc_hi, v1
	v_xor_b32_e32 v1, vcc_lo, v1
	v_and_b32_e32 v3, v3, v1
	v_lshlrev_b32_e32 v1, 28, v2
	v_cmp_gt_i64_e32 vcc, 0, v[0:1]
	v_not_b32_e32 v1, v1
	v_ashrrev_i32_e32 v1, 31, v1
	v_and_b32_e32 v57, v57, v60
	;; [unrolled: 8-line block ×5, first 2 shown]
	v_xor_b32_e32 v60, vcc_hi, v1
	v_xor_b32_e32 v1, vcc_lo, v1
	v_and_b32_e32 v57, v57, v60
	v_and_b32_e32 v60, v3, v1
	v_lshlrev_b32_e32 v1, 24, v2
	v_cmp_gt_i64_e32 vcc, 0, v[0:1]
	v_not_b32_e32 v1, v1
	v_ashrrev_i32_e32 v1, 31, v1
	v_xor_b32_e32 v2, vcc_hi, v1
	v_xor_b32_e32 v1, vcc_lo, v1
	; wave barrier
	ds_read_b32 v68, v71 offset:32
	v_and_b32_e32 v3, v57, v2
	v_and_b32_e32 v2, v60, v1
	v_mbcnt_lo_u32_b32 v1, v2, 0
	v_mbcnt_hi_u32_b32 v70, v3, v1
	v_cmp_eq_u32_e32 vcc, 0, v70
	v_cmp_ne_u64_e64 s[0:1], 0, v[2:3]
	s_and_b64 s[4:5], s[0:1], vcc
	; wave barrier
	s_and_saveexec_b64 s[0:1], s[4:5]
	s_cbranch_execz .LBB380_156
; %bb.155:
	v_bcnt_u32_b32 v1, v2, 0
	v_bcnt_u32_b32 v1, v3, v1
	s_waitcnt lgkmcnt(0)
	v_add_u32_e32 v1, v68, v1
	ds_write_b32 v71, v1 offset:32
.LBB380_156:
	s_or_b64 exec, exec, s[0:1]
	s_waitcnt vmcnt(0)
	v_xor_b32_e32 v60, 0x80000000, v14
	v_lshrrev_b32_e32 v1, s52, v60
	v_and_b32_e32 v2, s16, v1
	v_lshl_add_u32 v1, v2, 3, v2
	v_add_lshl_u32 v72, v15, v1, 2
	v_and_b32_e32 v1, 1, v2
	v_add_co_u32_e32 v3, vcc, -1, v1
	v_addc_co_u32_e64 v15, s[0:1], 0, -1, vcc
	v_cmp_ne_u32_e32 vcc, 0, v1
	v_xor_b32_e32 v1, vcc_hi, v15
	v_and_b32_e32 v15, exec_hi, v1
	v_lshlrev_b32_e32 v1, 30, v2
	v_xor_b32_e32 v3, vcc_lo, v3
	v_cmp_gt_i64_e32 vcc, 0, v[0:1]
	v_not_b32_e32 v1, v1
	v_ashrrev_i32_e32 v1, 31, v1
	v_and_b32_e32 v3, exec_lo, v3
	v_xor_b32_e32 v57, vcc_hi, v1
	v_xor_b32_e32 v1, vcc_lo, v1
	v_and_b32_e32 v3, v3, v1
	v_lshlrev_b32_e32 v1, 29, v2
	v_cmp_gt_i64_e32 vcc, 0, v[0:1]
	v_not_b32_e32 v1, v1
	v_ashrrev_i32_e32 v1, 31, v1
	v_and_b32_e32 v15, v15, v57
	v_xor_b32_e32 v57, vcc_hi, v1
	v_xor_b32_e32 v1, vcc_lo, v1
	v_and_b32_e32 v3, v3, v1
	v_lshlrev_b32_e32 v1, 28, v2
	v_cmp_gt_i64_e32 vcc, 0, v[0:1]
	v_not_b32_e32 v1, v1
	v_ashrrev_i32_e32 v1, 31, v1
	v_and_b32_e32 v15, v15, v57
	;; [unrolled: 8-line block ×5, first 2 shown]
	v_xor_b32_e32 v57, vcc_hi, v1
	v_xor_b32_e32 v1, vcc_lo, v1
	v_and_b32_e32 v3, v3, v1
	v_lshlrev_b32_e32 v1, 24, v2
	v_cmp_gt_i64_e32 vcc, 0, v[0:1]
	v_not_b32_e32 v0, v1
	v_ashrrev_i32_e32 v0, 31, v0
	v_xor_b32_e32 v1, vcc_hi, v0
	v_xor_b32_e32 v0, vcc_lo, v0
	; wave barrier
	ds_read_b32 v14, v72 offset:32
	v_and_b32_e32 v15, v15, v57
	v_and_b32_e32 v0, v3, v0
	;; [unrolled: 1-line block ×3, first 2 shown]
	v_mbcnt_lo_u32_b32 v2, v0, 0
	v_mbcnt_hi_u32_b32 v15, v1, v2
	v_cmp_eq_u32_e32 vcc, 0, v15
	v_cmp_ne_u64_e64 s[0:1], 0, v[0:1]
	v_add_u32_e32 v73, 32, v5
	s_and_b64 s[4:5], s[0:1], vcc
	; wave barrier
	s_and_saveexec_b64 s[0:1], s[4:5]
	s_cbranch_execz .LBB380_158
; %bb.157:
	v_bcnt_u32_b32 v0, v0, 0
	v_bcnt_u32_b32 v0, v1, v0
	s_waitcnt lgkmcnt(0)
	v_add_u32_e32 v0, v14, v0
	ds_write_b32 v72, v0 offset:32
.LBB380_158:
	s_or_b64 exec, exec, s[0:1]
	; wave barrier
	s_waitcnt lgkmcnt(0)
	s_barrier
	ds_read2_b32 v[2:3], v5 offset0:8 offset1:9
	ds_read2_b32 v[0:1], v73 offset0:2 offset1:3
	ds_read_b32 v57, v73 offset:16
	s_waitcnt lgkmcnt(1)
	v_add3_u32 v74, v3, v2, v0
	s_waitcnt lgkmcnt(0)
	v_add3_u32 v57, v74, v1, v57
	v_and_b32_e32 v74, 15, v4
	v_cmp_ne_u32_e32 vcc, 0, v74
	v_mov_b32_dpp v75, v57 row_shr:1 row_mask:0xf bank_mask:0xf
	v_cndmask_b32_e32 v75, 0, v75, vcc
	v_add_u32_e32 v57, v75, v57
	v_cmp_lt_u32_e32 vcc, 1, v74
	s_nop 0
	v_mov_b32_dpp v75, v57 row_shr:2 row_mask:0xf bank_mask:0xf
	v_cndmask_b32_e32 v75, 0, v75, vcc
	v_add_u32_e32 v57, v57, v75
	v_cmp_lt_u32_e32 vcc, 3, v74
	s_nop 0
	v_mov_b32_dpp v75, v57 row_shr:4 row_mask:0xf bank_mask:0xf
	v_cndmask_b32_e32 v75, 0, v75, vcc
	v_add_u32_e32 v57, v57, v75
	v_cmp_lt_u32_e32 vcc, 7, v74
	s_nop 0
	v_mov_b32_dpp v75, v57 row_shr:8 row_mask:0xf bank_mask:0xf
	v_cndmask_b32_e32 v74, 0, v75, vcc
	v_add_u32_e32 v57, v57, v74
	v_bfe_i32 v75, v4, 4, 1
	v_cmp_lt_u32_e32 vcc, 31, v4
	v_mov_b32_dpp v74, v57 row_bcast:15 row_mask:0xf bank_mask:0xf
	v_and_b32_e32 v74, v75, v74
	v_add_u32_e32 v57, v57, v74
	v_lshrrev_b32_e32 v75, 6, v18
	s_nop 0
	v_mov_b32_dpp v74, v57 row_bcast:31 row_mask:0xf bank_mask:0xf
	v_cndmask_b32_e32 v74, 0, v74, vcc
	v_add_u32_e32 v74, v57, v74
	v_and_b32_e32 v57, 0x3c0, v18
	v_min_u32_e32 v57, 0x1c0, v57
	v_or_b32_e32 v57, 63, v57
	v_cmp_eq_u32_e32 vcc, v57, v18
	s_and_saveexec_b64 s[0:1], vcc
	s_cbranch_execz .LBB380_160
; %bb.159:
	v_lshlrev_b32_e32 v57, 2, v75
	ds_write_b32 v57, v74
.LBB380_160:
	s_or_b64 exec, exec, s[0:1]
	v_cmp_gt_u32_e32 vcc, 8, v18
	v_lshlrev_b32_e32 v57, 2, v18
	s_waitcnt lgkmcnt(0)
	s_barrier
	s_and_saveexec_b64 s[0:1], vcc
	s_cbranch_execz .LBB380_162
; %bb.161:
	ds_read_b32 v76, v57
	v_and_b32_e32 v77, 7, v4
	v_cmp_ne_u32_e32 vcc, 0, v77
	s_waitcnt lgkmcnt(0)
	v_mov_b32_dpp v78, v76 row_shr:1 row_mask:0xf bank_mask:0xf
	v_cndmask_b32_e32 v78, 0, v78, vcc
	v_add_u32_e32 v76, v78, v76
	v_cmp_lt_u32_e32 vcc, 1, v77
	s_nop 0
	v_mov_b32_dpp v78, v76 row_shr:2 row_mask:0xf bank_mask:0xf
	v_cndmask_b32_e32 v78, 0, v78, vcc
	v_add_u32_e32 v76, v76, v78
	v_cmp_lt_u32_e32 vcc, 3, v77
	s_nop 0
	v_mov_b32_dpp v78, v76 row_shr:4 row_mask:0xf bank_mask:0xf
	v_cndmask_b32_e32 v77, 0, v78, vcc
	v_add_u32_e32 v76, v76, v77
	ds_write_b32 v57, v76
.LBB380_162:
	s_or_b64 exec, exec, s[0:1]
	v_cmp_lt_u32_e32 vcc, 63, v18
	v_mov_b32_e32 v76, 0
	s_waitcnt lgkmcnt(0)
	s_barrier
	s_and_saveexec_b64 s[0:1], vcc
	s_cbranch_execz .LBB380_164
; %bb.163:
	v_lshl_add_u32 v75, v75, 2, -4
	ds_read_b32 v76, v75
.LBB380_164:
	s_or_b64 exec, exec, s[0:1]
	v_add_u32_e32 v75, -1, v4
	v_and_b32_e32 v77, 64, v4
	v_cmp_lt_i32_e32 vcc, v75, v77
	v_cndmask_b32_e32 v75, v75, v4, vcc
	s_waitcnt lgkmcnt(0)
	v_add_u32_e32 v74, v76, v74
	v_lshlrev_b32_e32 v75, 2, v75
	ds_bpermute_b32 v74, v75, v74
	v_cmp_eq_u32_e32 vcc, 0, v4
	s_movk_i32 s0, 0x100
	s_waitcnt lgkmcnt(0)
	v_cndmask_b32_e32 v4, v74, v76, vcc
	v_cmp_ne_u32_e32 vcc, 0, v18
	v_cndmask_b32_e32 v4, 0, v4, vcc
	v_add_u32_e32 v2, v4, v2
	v_add_u32_e32 v3, v2, v3
	;; [unrolled: 1-line block ×4, first 2 shown]
	ds_write2_b32 v5, v4, v2 offset0:8 offset1:9
	ds_write2_b32 v73, v3, v0 offset0:2 offset1:3
	ds_write_b32 v73, v1 offset:16
	s_waitcnt lgkmcnt(0)
	s_barrier
	ds_read_b32 v78, v9 offset:32
	ds_read_b32 v9, v11 offset:32
	;; [unrolled: 1-line block ×16, first 2 shown]
	v_cmp_gt_u32_e32 vcc, s0, v18
                                        ; implicit-def: $vgpr31
                                        ; implicit-def: $vgpr36
	s_and_saveexec_b64 s[4:5], vcc
	s_cbranch_execz .LBB380_168
; %bb.165:
	v_mul_u32_u24_e32 v0, 9, v18
	v_lshlrev_b32_e32 v1, 2, v0
	ds_read_b32 v31, v1 offset:32
	s_movk_i32 s0, 0xff
	v_cmp_ne_u32_e64 s[0:1], s0, v18
	v_mov_b32_e32 v0, 0x2000
	s_and_saveexec_b64 s[10:11], s[0:1]
	s_cbranch_execz .LBB380_167
; %bb.166:
	ds_read_b32 v0, v1 offset:68
.LBB380_167:
	s_or_b64 exec, exec, s[10:11]
	s_waitcnt lgkmcnt(0)
	v_sub_u32_e32 v36, v0, v31
.LBB380_168:
	s_or_b64 exec, exec, s[4:5]
	s_waitcnt lgkmcnt(0)
	s_barrier
	s_and_saveexec_b64 s[4:5], vcc
	s_cbranch_execz .LBB380_178
; %bb.169:
	v_lshl_or_b32 v0, s6, 8, v18
	v_mov_b32_e32 v1, 0
	v_lshlrev_b64 v[2:3], 2, v[0:1]
	v_mov_b32_e32 v41, s57
	v_add_co_u32_e64 v2, s[0:1], s56, v2
	v_addc_co_u32_e64 v3, s[0:1], v41, v3, s[0:1]
	v_or_b32_e32 v0, 2.0, v36
	s_mov_b64 s[10:11], 0
	s_brev_b32 s17, 1
	s_mov_b32 s18, s6
	v_mov_b32_e32 v46, 0
	global_store_dword v[2:3], v0, off
                                        ; implicit-def: $sgpr0_sgpr1
	s_branch .LBB380_172
.LBB380_170:                            ;   in Loop: Header=BB380_172 Depth=1
	s_or_b64 exec, exec, s[14:15]
.LBB380_171:                            ;   in Loop: Header=BB380_172 Depth=1
	s_or_b64 exec, exec, s[12:13]
	v_and_b32_e32 v4, 0x3fffffff, v66
	v_add_u32_e32 v46, v4, v46
	v_cmp_eq_u32_e64 s[0:1], s17, v0
	s_and_b64 s[12:13], exec, s[0:1]
	s_or_b64 s[10:11], s[12:13], s[10:11]
	s_andn2_b64 exec, exec, s[10:11]
	s_cbranch_execz .LBB380_177
.LBB380_172:                            ; =>This Loop Header: Depth=1
                                        ;     Child Loop BB380_175 Depth 2
	s_or_b64 s[0:1], s[0:1], exec
	s_cmp_eq_u32 s18, 0
	s_cbranch_scc1 .LBB380_176
; %bb.173:                              ;   in Loop: Header=BB380_172 Depth=1
	s_add_i32 s18, s18, -1
	v_lshl_or_b32 v0, s18, 8, v18
	v_lshlrev_b64 v[4:5], 2, v[0:1]
	v_add_co_u32_e64 v4, s[0:1], s56, v4
	v_addc_co_u32_e64 v5, s[0:1], v41, v5, s[0:1]
	global_load_dword v66, v[4:5], off glc
	s_waitcnt vmcnt(0)
	v_and_b32_e32 v0, -2.0, v66
	v_cmp_eq_u32_e64 s[0:1], 0, v0
	s_and_saveexec_b64 s[12:13], s[0:1]
	s_cbranch_execz .LBB380_171
; %bb.174:                              ;   in Loop: Header=BB380_172 Depth=1
	s_mov_b64 s[14:15], 0
.LBB380_175:                            ;   Parent Loop BB380_172 Depth=1
                                        ; =>  This Inner Loop Header: Depth=2
	global_load_dword v66, v[4:5], off glc
	s_waitcnt vmcnt(0)
	v_and_b32_e32 v0, -2.0, v66
	v_cmp_ne_u32_e64 s[0:1], 0, v0
	s_or_b64 s[14:15], s[0:1], s[14:15]
	s_andn2_b64 exec, exec, s[14:15]
	s_cbranch_execnz .LBB380_175
	s_branch .LBB380_170
.LBB380_176:                            ;   in Loop: Header=BB380_172 Depth=1
                                        ; implicit-def: $sgpr18
	s_and_b64 s[12:13], exec, s[0:1]
	s_or_b64 s[10:11], s[12:13], s[10:11]
	s_andn2_b64 exec, exec, s[10:11]
	s_cbranch_execnz .LBB380_172
.LBB380_177:
	s_or_b64 exec, exec, s[10:11]
	v_add_u32_e32 v0, v46, v36
	v_or_b32_e32 v0, 0x80000000, v0
	global_store_dword v[2:3], v0, off
	global_load_dword v0, v57, s[48:49]
	v_sub_u32_e32 v1, v46, v31
	s_waitcnt vmcnt(0)
	v_add_u32_e32 v0, v1, v0
	ds_write_b32 v57, v0
.LBB380_178:
	s_or_b64 exec, exec, s[4:5]
	v_add_u32_e32 v41, v78, v6
	s_movk_i32 s4, 0x400
	v_add_u32_e32 v46, 0x400, v57
	v_add3_u32 v49, v15, v49, v14
	v_add3_u32 v52, v70, v52, v68
	;; [unrolled: 1-line block ×15, first 2 shown]
	s_mov_b32 s5, 0
	s_mov_b32 s10, 3
	s_movk_i32 s11, 0x200
	s_movk_i32 s12, 0x600
	v_mov_b32_e32 v17, 0
	v_mov_b32_e32 v47, s43
	s_mov_b32 s13, 0
                                        ; implicit-def: $vgpr0
.LBB380_179:                            ; =>This Inner Loop Header: Depth=1
	v_add_u32_e32 v16, s5, v41
	v_add_u32_e32 v50, s5, v43
	;; [unrolled: 1-line block ×16, first 2 shown]
	v_min_u32_e32 v16, 0x800, v16
	v_min_u32_e32 v50, 0x800, v50
	;; [unrolled: 1-line block ×16, first 2 shown]
	v_lshlrev_b32_e32 v16, 2, v16
	v_lshlrev_b32_e32 v50, 2, v50
	;; [unrolled: 1-line block ×16, first 2 shown]
	ds_write_b32 v16, v21 offset:1024
	ds_write_b32 v50, v22 offset:1024
	;; [unrolled: 1-line block ×16, first 2 shown]
	s_waitcnt lgkmcnt(0)
	s_barrier
	ds_read_b32 v16, v57 offset:1024
	v_add_u32_e32 v73, s13, v18
	s_add_i32 s14, s10, -3
	s_add_i32 s15, s10, -2
	;; [unrolled: 1-line block ×3, first 2 shown]
	s_waitcnt lgkmcnt(0)
	v_lshrrev_b32_e32 v50, s52, v16
	v_and_b32_e32 v50, s16, v50
	v_xor_b32_e32 v53, 0x80000000, v16
	v_lshlrev_b32_e32 v16, 2, v50
	ds_read_b32 v16, v16
	s_addk_i32 s13, 0x800
	s_addk_i32 s5, 0xf800
	s_waitcnt lgkmcnt(0)
	v_add_u32_e32 v16, v73, v16
	v_lshlrev_b64 v[62:63], 2, v[16:17]
	v_add_co_u32_e64 v62, s[0:1], s42, v62
	v_addc_co_u32_e64 v63, s[0:1], v47, v63, s[0:1]
	global_store_dword v[62:63], v53, off
	s_set_gpr_idx_on s14, gpr_idx(DST)
	v_mov_b32_e32 v0, v50
	s_set_gpr_idx_off
	ds_read_b32 v16, v46 offset:2048
	s_waitcnt lgkmcnt(0)
	v_lshrrev_b32_e32 v50, s52, v16
	v_and_b32_e32 v50, s16, v50
	v_xor_b32_e32 v53, 0x80000000, v16
	v_lshlrev_b32_e32 v16, 2, v50
	ds_read_b32 v16, v16
	s_waitcnt lgkmcnt(0)
	v_add3_u32 v16, v73, v16, s11
	v_lshlrev_b64 v[62:63], 2, v[16:17]
	v_add_co_u32_e64 v62, s[0:1], s42, v62
	v_addc_co_u32_e64 v63, s[0:1], v47, v63, s[0:1]
	global_store_dword v[62:63], v53, off
	s_set_gpr_idx_on s15, gpr_idx(DST)
	v_mov_b32_e32 v0, v50
	s_set_gpr_idx_off
	ds_read_b32 v16, v46 offset:4096
	s_waitcnt lgkmcnt(0)
	v_lshrrev_b32_e32 v50, s52, v16
	v_and_b32_e32 v50, s16, v50
	v_xor_b32_e32 v53, 0x80000000, v16
	v_lshlrev_b32_e32 v16, 2, v50
	ds_read_b32 v16, v16
	s_waitcnt lgkmcnt(0)
	v_add3_u32 v16, v73, v16, s4
	;; [unrolled: 16-line block ×3, first 2 shown]
	v_lshlrev_b64 v[62:63], 2, v[16:17]
	v_add_co_u32_e64 v62, s[0:1], s42, v62
	v_addc_co_u32_e64 v63, s[0:1], v47, v63, s[0:1]
	global_store_dword v[62:63], v53, off
	s_set_gpr_idx_on s10, gpr_idx(DST)
	v_mov_b32_e32 v0, v50
	s_set_gpr_idx_off
	s_add_i32 s10, s10, 4
	s_cmpk_lg_i32 s5, 0xe000
	s_barrier
	s_cbranch_scc1 .LBB380_179
; %bb.180:
	s_add_u32 s0, s44, s8
	s_addc_u32 s1, s45, s9
	v_mov_b32_e32 v16, s1
	v_add_co_u32_e64 v17, s[0:1], s0, v19
	v_addc_co_u32_e64 v19, s[0:1], 0, v16, s[0:1]
	v_add_co_u32_e64 v16, s[0:1], v17, v20
	v_addc_co_u32_e64 v17, s[0:1], 0, v19, s[0:1]
	global_load_dword v19, v[16:17], off
	global_load_dword v20, v[16:17], off offset:256
	global_load_dword v21, v[16:17], off offset:512
	;; [unrolled: 1-line block ×15, first 2 shown]
	s_mov_b32 s4, 0
	s_mov_b32 s5, 3
	s_movk_i32 s8, 0x200
	s_movk_i32 s9, 0x400
	s_movk_i32 s10, 0x600
	v_mov_b32_e32 v17, 0
	s_mov_b32 s11, 0
	s_waitcnt vmcnt(0)
.LBB380_181:                            ; =>This Inner Loop Header: Depth=1
	v_add_u32_e32 v16, s4, v41
	v_add_u32_e32 v45, s4, v43
	v_add_u32_e32 v47, s4, v38
	v_add_u32_e32 v50, s4, v33
	v_add_u32_e32 v53, s4, v29
	v_add_u32_e32 v56, s4, v34
	v_add_u32_e32 v60, s4, v39
	v_add_u32_e32 v61, s4, v44
	v_add_u32_e32 v62, s4, v48
	v_add_u32_e32 v63, s4, v51
	v_add_u32_e32 v64, s4, v54
	v_add_u32_e32 v65, s4, v58
	v_add_u32_e32 v66, s4, v59
	v_add_u32_e32 v67, s4, v55
	v_add_u32_e32 v68, s4, v52
	v_add_u32_e32 v69, s4, v49
	v_min_u32_e32 v16, 0x800, v16
	v_min_u32_e32 v45, 0x800, v45
	s_add_i32 s0, s5, -3
	v_min_u32_e32 v47, 0x800, v47
	v_min_u32_e32 v50, 0x800, v50
	;; [unrolled: 1-line block ×14, first 2 shown]
	v_lshlrev_b32_e32 v16, 2, v16
	v_lshlrev_b32_e32 v45, 2, v45
	v_lshlrev_b32_e32 v47, 2, v47
	v_lshlrev_b32_e32 v50, 2, v50
	v_lshlrev_b32_e32 v53, 2, v53
	v_lshlrev_b32_e32 v56, 2, v56
	v_lshlrev_b32_e32 v60, 2, v60
	v_lshlrev_b32_e32 v61, 2, v61
	v_lshlrev_b32_e32 v62, 2, v62
	v_lshlrev_b32_e32 v63, 2, v63
	v_lshlrev_b32_e32 v64, 2, v64
	v_lshlrev_b32_e32 v65, 2, v65
	v_lshlrev_b32_e32 v66, 2, v66
	v_lshlrev_b32_e32 v67, 2, v67
	v_lshlrev_b32_e32 v68, 2, v68
	v_lshlrev_b32_e32 v69, 2, v69
	ds_write_b32 v16, v19 offset:1024
	ds_write_b32 v45, v20 offset:1024
	;; [unrolled: 1-line block ×16, first 2 shown]
	s_waitcnt lgkmcnt(0)
	s_barrier
	ds_read_b32 v45, v57 offset:1024
	s_set_gpr_idx_on s0, gpr_idx(SRC0)
	v_mov_b32_e32 v16, v0
	s_set_gpr_idx_off
	v_lshlrev_b32_e32 v16, 2, v16
	ds_read_b32 v16, v16
	ds_read_b32 v47, v46 offset:2048
	v_add_u32_e32 v70, s11, v18
	v_mov_b32_e32 v71, s47
	s_add_i32 s12, s5, -2
	s_waitcnt lgkmcnt(1)
	v_add_u32_e32 v16, v70, v16
	v_lshlrev_b64 v[60:61], 2, v[16:17]
	v_add_co_u32_e64 v60, s[0:1], s46, v60
	v_addc_co_u32_e64 v61, s[0:1], v71, v61, s[0:1]
	global_store_dword v[60:61], v45, off
	s_set_gpr_idx_on s12, gpr_idx(SRC0)
	v_mov_b32_e32 v16, v0
	s_set_gpr_idx_off
	v_lshlrev_b32_e32 v16, 2, v16
	ds_read_b32 v16, v16
	ds_read_b32 v45, v46 offset:4096
	s_add_i32 s13, s5, -1
	s_addk_i32 s11, 0x800
	s_addk_i32 s4, 0xf800
	s_waitcnt lgkmcnt(1)
	v_add3_u32 v16, v70, v16, s8
	v_lshlrev_b64 v[60:61], 2, v[16:17]
	v_add_co_u32_e64 v60, s[0:1], s46, v60
	v_addc_co_u32_e64 v61, s[0:1], v71, v61, s[0:1]
	global_store_dword v[60:61], v47, off
	s_set_gpr_idx_on s13, gpr_idx(SRC0)
	v_mov_b32_e32 v16, v0
	s_set_gpr_idx_off
	v_lshlrev_b32_e32 v16, 2, v16
	ds_read_b32 v16, v16
	ds_read_b32 v47, v46 offset:6144
	s_waitcnt lgkmcnt(1)
	v_add3_u32 v16, v70, v16, s9
	v_lshlrev_b64 v[60:61], 2, v[16:17]
	v_add_co_u32_e64 v60, s[0:1], s46, v60
	v_addc_co_u32_e64 v61, s[0:1], v71, v61, s[0:1]
	global_store_dword v[60:61], v45, off
	s_set_gpr_idx_on s5, gpr_idx(SRC0)
	v_mov_b32_e32 v16, v0
	s_set_gpr_idx_off
	v_lshlrev_b32_e32 v16, 2, v16
	ds_read_b32 v16, v16
	s_add_i32 s5, s5, 4
	s_cmpk_lg_i32 s4, 0xe000
	s_waitcnt lgkmcnt(0)
	v_add3_u32 v16, v70, v16, s10
	v_lshlrev_b64 v[60:61], 2, v[16:17]
	v_add_co_u32_e64 v60, s[0:1], s46, v60
	v_addc_co_u32_e64 v61, s[0:1], v71, v61, s[0:1]
	global_store_dword v[60:61], v47, off
	s_barrier
	s_cbranch_scc1 .LBB380_181
; %bb.182:
	s_add_i32 s7, s7, -1
	s_cmp_eq_u32 s7, s6
	s_cselect_b64 s[0:1], -1, 0
	s_and_b64 s[4:5], vcc, s[0:1]
                                        ; implicit-def: $vgpr2
	s_and_saveexec_b64 s[0:1], s[4:5]
; %bb.183:
	v_add_u32_e32 v2, v31, v36
	s_or_b64 s[2:3], s[2:3], exec
; %bb.184:
	s_or_b64 exec, exec, s[0:1]
.LBB380_185:
	s_and_saveexec_b64 s[0:1], s[2:3]
	s_cbranch_execnz .LBB380_187
; %bb.186:
	s_endpgm
.LBB380_187:
	v_lshlrev_b32_e32 v3, 2, v18
	ds_read_b32 v3, v3
	v_mov_b32_e32 v19, 0
	v_lshlrev_b64 v[0:1], 2, v[18:19]
	v_mov_b32_e32 v4, s51
	v_add_co_u32_e32 v0, vcc, s50, v0
	v_addc_co_u32_e32 v1, vcc, v4, v1, vcc
	s_waitcnt lgkmcnt(0)
	v_add_u32_e32 v2, v3, v2
	global_store_dword v[0:1], v2, off
	s_endpgm
.LBB380_188:
	global_load_dword v19, v[20:21], off
	s_or_b64 exec, exec, s[38:39]
                                        ; implicit-def: $vgpr22
	s_and_saveexec_b64 s[38:39], s[0:1]
	s_cbranch_execz .LBB380_98
.LBB380_189:
	global_load_dword v22, v[20:21], off offset:256
	s_or_b64 exec, exec, s[38:39]
                                        ; implicit-def: $vgpr23
	s_and_saveexec_b64 s[0:1], s[2:3]
	s_cbranch_execz .LBB380_99
.LBB380_190:
	global_load_dword v23, v[20:21], off offset:512
	s_or_b64 exec, exec, s[0:1]
                                        ; implicit-def: $vgpr24
	s_and_saveexec_b64 s[0:1], s[36:37]
	s_cbranch_execz .LBB380_100
.LBB380_191:
	global_load_dword v24, v[20:21], off offset:768
	s_or_b64 exec, exec, s[0:1]
                                        ; implicit-def: $vgpr25
	s_and_saveexec_b64 s[0:1], s[8:9]
	s_cbranch_execz .LBB380_101
.LBB380_192:
	global_load_dword v25, v[20:21], off offset:1024
	s_or_b64 exec, exec, s[0:1]
                                        ; implicit-def: $vgpr26
	s_and_saveexec_b64 s[0:1], s[10:11]
	s_cbranch_execz .LBB380_102
.LBB380_193:
	global_load_dword v26, v[20:21], off offset:1280
	s_or_b64 exec, exec, s[0:1]
                                        ; implicit-def: $vgpr27
	s_and_saveexec_b64 s[0:1], s[12:13]
	s_cbranch_execz .LBB380_103
.LBB380_194:
	global_load_dword v27, v[20:21], off offset:1536
	s_or_b64 exec, exec, s[0:1]
                                        ; implicit-def: $vgpr28
	s_and_saveexec_b64 s[0:1], s[14:15]
	s_cbranch_execz .LBB380_104
.LBB380_195:
	global_load_dword v28, v[20:21], off offset:1792
	s_or_b64 exec, exec, s[0:1]
                                        ; implicit-def: $vgpr29
	s_and_saveexec_b64 s[0:1], s[16:17]
	s_cbranch_execz .LBB380_105
.LBB380_196:
	global_load_dword v29, v[20:21], off offset:2048
	s_or_b64 exec, exec, s[0:1]
                                        ; implicit-def: $vgpr32
	s_and_saveexec_b64 s[0:1], s[18:19]
	s_cbranch_execz .LBB380_106
.LBB380_197:
	global_load_dword v32, v[20:21], off offset:2304
	s_or_b64 exec, exec, s[0:1]
                                        ; implicit-def: $vgpr33
	s_and_saveexec_b64 s[0:1], s[20:21]
	s_cbranch_execz .LBB380_107
.LBB380_198:
	global_load_dword v33, v[20:21], off offset:2560
	s_or_b64 exec, exec, s[0:1]
                                        ; implicit-def: $vgpr37
	s_and_saveexec_b64 s[0:1], s[22:23]
	s_cbranch_execz .LBB380_108
.LBB380_199:
	global_load_dword v37, v[20:21], off offset:2816
	s_or_b64 exec, exec, s[0:1]
                                        ; implicit-def: $vgpr38
	s_and_saveexec_b64 s[0:1], s[24:25]
	s_cbranch_execz .LBB380_109
.LBB380_200:
	global_load_dword v38, v[20:21], off offset:3072
	s_or_b64 exec, exec, s[0:1]
                                        ; implicit-def: $vgpr42
	s_and_saveexec_b64 s[0:1], s[26:27]
	s_cbranch_execz .LBB380_110
.LBB380_201:
	global_load_dword v42, v[20:21], off offset:3328
	s_or_b64 exec, exec, s[0:1]
                                        ; implicit-def: $vgpr43
	s_and_saveexec_b64 s[0:1], s[28:29]
	s_cbranch_execz .LBB380_111
.LBB380_202:
	global_load_dword v43, v[20:21], off offset:3584
	s_or_b64 exec, exec, s[0:1]
                                        ; implicit-def: $vgpr47
	s_and_saveexec_b64 s[0:1], s[30:31]
	s_cbranch_execnz .LBB380_112
	s_branch .LBB380_113
	.section	.rodata,"a",@progbits
	.p2align	6, 0x0
	.amdhsa_kernel _ZN7rocprim17ROCPRIM_400000_NS6detail17trampoline_kernelINS0_14default_configENS1_35radix_sort_onesweep_config_selectorIiiEEZZNS1_29radix_sort_onesweep_iterationIS3_Lb0EPiS7_S7_S7_jNS0_19identity_decomposerENS1_16block_id_wrapperIjLb0EEEEE10hipError_tT1_PNSt15iterator_traitsISC_E10value_typeET2_T3_PNSD_ISI_E10value_typeET4_T5_PSN_SO_PNS1_23onesweep_lookback_stateEbbT6_jjT7_P12ihipStream_tbENKUlT_T0_SC_SH_E_clIS7_S7_S7_S7_EEDaSV_SW_SC_SH_EUlSV_E_NS1_11comp_targetILNS1_3genE4ELNS1_11target_archE910ELNS1_3gpuE8ELNS1_3repE0EEENS1_47radix_sort_onesweep_sort_config_static_selectorELNS0_4arch9wavefront6targetE1EEEvSC_
		.amdhsa_group_segment_fixed_size 10280
		.amdhsa_private_segment_fixed_size 0
		.amdhsa_kernarg_size 344
		.amdhsa_user_sgpr_count 6
		.amdhsa_user_sgpr_private_segment_buffer 1
		.amdhsa_user_sgpr_dispatch_ptr 0
		.amdhsa_user_sgpr_queue_ptr 0
		.amdhsa_user_sgpr_kernarg_segment_ptr 1
		.amdhsa_user_sgpr_dispatch_id 0
		.amdhsa_user_sgpr_flat_scratch_init 0
		.amdhsa_user_sgpr_kernarg_preload_length 0
		.amdhsa_user_sgpr_kernarg_preload_offset 0
		.amdhsa_user_sgpr_private_segment_size 0
		.amdhsa_uses_dynamic_stack 0
		.amdhsa_system_sgpr_private_segment_wavefront_offset 0
		.amdhsa_system_sgpr_workgroup_id_x 1
		.amdhsa_system_sgpr_workgroup_id_y 0
		.amdhsa_system_sgpr_workgroup_id_z 0
		.amdhsa_system_sgpr_workgroup_info 0
		.amdhsa_system_vgpr_workitem_id 2
		.amdhsa_next_free_vgpr 83
		.amdhsa_next_free_sgpr 69
		.amdhsa_accum_offset 84
		.amdhsa_reserve_vcc 1
		.amdhsa_reserve_flat_scratch 0
		.amdhsa_float_round_mode_32 0
		.amdhsa_float_round_mode_16_64 0
		.amdhsa_float_denorm_mode_32 3
		.amdhsa_float_denorm_mode_16_64 3
		.amdhsa_dx10_clamp 1
		.amdhsa_ieee_mode 1
		.amdhsa_fp16_overflow 0
		.amdhsa_tg_split 0
		.amdhsa_exception_fp_ieee_invalid_op 0
		.amdhsa_exception_fp_denorm_src 0
		.amdhsa_exception_fp_ieee_div_zero 0
		.amdhsa_exception_fp_ieee_overflow 0
		.amdhsa_exception_fp_ieee_underflow 0
		.amdhsa_exception_fp_ieee_inexact 0
		.amdhsa_exception_int_div_zero 0
	.end_amdhsa_kernel
	.section	.text._ZN7rocprim17ROCPRIM_400000_NS6detail17trampoline_kernelINS0_14default_configENS1_35radix_sort_onesweep_config_selectorIiiEEZZNS1_29radix_sort_onesweep_iterationIS3_Lb0EPiS7_S7_S7_jNS0_19identity_decomposerENS1_16block_id_wrapperIjLb0EEEEE10hipError_tT1_PNSt15iterator_traitsISC_E10value_typeET2_T3_PNSD_ISI_E10value_typeET4_T5_PSN_SO_PNS1_23onesweep_lookback_stateEbbT6_jjT7_P12ihipStream_tbENKUlT_T0_SC_SH_E_clIS7_S7_S7_S7_EEDaSV_SW_SC_SH_EUlSV_E_NS1_11comp_targetILNS1_3genE4ELNS1_11target_archE910ELNS1_3gpuE8ELNS1_3repE0EEENS1_47radix_sort_onesweep_sort_config_static_selectorELNS0_4arch9wavefront6targetE1EEEvSC_,"axG",@progbits,_ZN7rocprim17ROCPRIM_400000_NS6detail17trampoline_kernelINS0_14default_configENS1_35radix_sort_onesweep_config_selectorIiiEEZZNS1_29radix_sort_onesweep_iterationIS3_Lb0EPiS7_S7_S7_jNS0_19identity_decomposerENS1_16block_id_wrapperIjLb0EEEEE10hipError_tT1_PNSt15iterator_traitsISC_E10value_typeET2_T3_PNSD_ISI_E10value_typeET4_T5_PSN_SO_PNS1_23onesweep_lookback_stateEbbT6_jjT7_P12ihipStream_tbENKUlT_T0_SC_SH_E_clIS7_S7_S7_S7_EEDaSV_SW_SC_SH_EUlSV_E_NS1_11comp_targetILNS1_3genE4ELNS1_11target_archE910ELNS1_3gpuE8ELNS1_3repE0EEENS1_47radix_sort_onesweep_sort_config_static_selectorELNS0_4arch9wavefront6targetE1EEEvSC_,comdat
.Lfunc_end380:
	.size	_ZN7rocprim17ROCPRIM_400000_NS6detail17trampoline_kernelINS0_14default_configENS1_35radix_sort_onesweep_config_selectorIiiEEZZNS1_29radix_sort_onesweep_iterationIS3_Lb0EPiS7_S7_S7_jNS0_19identity_decomposerENS1_16block_id_wrapperIjLb0EEEEE10hipError_tT1_PNSt15iterator_traitsISC_E10value_typeET2_T3_PNSD_ISI_E10value_typeET4_T5_PSN_SO_PNS1_23onesweep_lookback_stateEbbT6_jjT7_P12ihipStream_tbENKUlT_T0_SC_SH_E_clIS7_S7_S7_S7_EEDaSV_SW_SC_SH_EUlSV_E_NS1_11comp_targetILNS1_3genE4ELNS1_11target_archE910ELNS1_3gpuE8ELNS1_3repE0EEENS1_47radix_sort_onesweep_sort_config_static_selectorELNS0_4arch9wavefront6targetE1EEEvSC_, .Lfunc_end380-_ZN7rocprim17ROCPRIM_400000_NS6detail17trampoline_kernelINS0_14default_configENS1_35radix_sort_onesweep_config_selectorIiiEEZZNS1_29radix_sort_onesweep_iterationIS3_Lb0EPiS7_S7_S7_jNS0_19identity_decomposerENS1_16block_id_wrapperIjLb0EEEEE10hipError_tT1_PNSt15iterator_traitsISC_E10value_typeET2_T3_PNSD_ISI_E10value_typeET4_T5_PSN_SO_PNS1_23onesweep_lookback_stateEbbT6_jjT7_P12ihipStream_tbENKUlT_T0_SC_SH_E_clIS7_S7_S7_S7_EEDaSV_SW_SC_SH_EUlSV_E_NS1_11comp_targetILNS1_3genE4ELNS1_11target_archE910ELNS1_3gpuE8ELNS1_3repE0EEENS1_47radix_sort_onesweep_sort_config_static_selectorELNS0_4arch9wavefront6targetE1EEEvSC_
                                        ; -- End function
	.section	.AMDGPU.csdata,"",@progbits
; Kernel info:
; codeLenInByte = 20872
; NumSgprs: 73
; NumVgprs: 83
; NumAgprs: 0
; TotalNumVgprs: 83
; ScratchSize: 0
; MemoryBound: 0
; FloatMode: 240
; IeeeMode: 1
; LDSByteSize: 10280 bytes/workgroup (compile time only)
; SGPRBlocks: 9
; VGPRBlocks: 10
; NumSGPRsForWavesPerEU: 73
; NumVGPRsForWavesPerEU: 83
; AccumOffset: 84
; Occupancy: 5
; WaveLimiterHint : 1
; COMPUTE_PGM_RSRC2:SCRATCH_EN: 0
; COMPUTE_PGM_RSRC2:USER_SGPR: 6
; COMPUTE_PGM_RSRC2:TRAP_HANDLER: 0
; COMPUTE_PGM_RSRC2:TGID_X_EN: 1
; COMPUTE_PGM_RSRC2:TGID_Y_EN: 0
; COMPUTE_PGM_RSRC2:TGID_Z_EN: 0
; COMPUTE_PGM_RSRC2:TIDIG_COMP_CNT: 2
; COMPUTE_PGM_RSRC3_GFX90A:ACCUM_OFFSET: 20
; COMPUTE_PGM_RSRC3_GFX90A:TG_SPLIT: 0
	.section	.text._ZN7rocprim17ROCPRIM_400000_NS6detail17trampoline_kernelINS0_14default_configENS1_35radix_sort_onesweep_config_selectorIiiEEZZNS1_29radix_sort_onesweep_iterationIS3_Lb0EPiS7_S7_S7_jNS0_19identity_decomposerENS1_16block_id_wrapperIjLb0EEEEE10hipError_tT1_PNSt15iterator_traitsISC_E10value_typeET2_T3_PNSD_ISI_E10value_typeET4_T5_PSN_SO_PNS1_23onesweep_lookback_stateEbbT6_jjT7_P12ihipStream_tbENKUlT_T0_SC_SH_E_clIS7_S7_S7_S7_EEDaSV_SW_SC_SH_EUlSV_E_NS1_11comp_targetILNS1_3genE3ELNS1_11target_archE908ELNS1_3gpuE7ELNS1_3repE0EEENS1_47radix_sort_onesweep_sort_config_static_selectorELNS0_4arch9wavefront6targetE1EEEvSC_,"axG",@progbits,_ZN7rocprim17ROCPRIM_400000_NS6detail17trampoline_kernelINS0_14default_configENS1_35radix_sort_onesweep_config_selectorIiiEEZZNS1_29radix_sort_onesweep_iterationIS3_Lb0EPiS7_S7_S7_jNS0_19identity_decomposerENS1_16block_id_wrapperIjLb0EEEEE10hipError_tT1_PNSt15iterator_traitsISC_E10value_typeET2_T3_PNSD_ISI_E10value_typeET4_T5_PSN_SO_PNS1_23onesweep_lookback_stateEbbT6_jjT7_P12ihipStream_tbENKUlT_T0_SC_SH_E_clIS7_S7_S7_S7_EEDaSV_SW_SC_SH_EUlSV_E_NS1_11comp_targetILNS1_3genE3ELNS1_11target_archE908ELNS1_3gpuE7ELNS1_3repE0EEENS1_47radix_sort_onesweep_sort_config_static_selectorELNS0_4arch9wavefront6targetE1EEEvSC_,comdat
	.protected	_ZN7rocprim17ROCPRIM_400000_NS6detail17trampoline_kernelINS0_14default_configENS1_35radix_sort_onesweep_config_selectorIiiEEZZNS1_29radix_sort_onesweep_iterationIS3_Lb0EPiS7_S7_S7_jNS0_19identity_decomposerENS1_16block_id_wrapperIjLb0EEEEE10hipError_tT1_PNSt15iterator_traitsISC_E10value_typeET2_T3_PNSD_ISI_E10value_typeET4_T5_PSN_SO_PNS1_23onesweep_lookback_stateEbbT6_jjT7_P12ihipStream_tbENKUlT_T0_SC_SH_E_clIS7_S7_S7_S7_EEDaSV_SW_SC_SH_EUlSV_E_NS1_11comp_targetILNS1_3genE3ELNS1_11target_archE908ELNS1_3gpuE7ELNS1_3repE0EEENS1_47radix_sort_onesweep_sort_config_static_selectorELNS0_4arch9wavefront6targetE1EEEvSC_ ; -- Begin function _ZN7rocprim17ROCPRIM_400000_NS6detail17trampoline_kernelINS0_14default_configENS1_35radix_sort_onesweep_config_selectorIiiEEZZNS1_29radix_sort_onesweep_iterationIS3_Lb0EPiS7_S7_S7_jNS0_19identity_decomposerENS1_16block_id_wrapperIjLb0EEEEE10hipError_tT1_PNSt15iterator_traitsISC_E10value_typeET2_T3_PNSD_ISI_E10value_typeET4_T5_PSN_SO_PNS1_23onesweep_lookback_stateEbbT6_jjT7_P12ihipStream_tbENKUlT_T0_SC_SH_E_clIS7_S7_S7_S7_EEDaSV_SW_SC_SH_EUlSV_E_NS1_11comp_targetILNS1_3genE3ELNS1_11target_archE908ELNS1_3gpuE7ELNS1_3repE0EEENS1_47radix_sort_onesweep_sort_config_static_selectorELNS0_4arch9wavefront6targetE1EEEvSC_
	.globl	_ZN7rocprim17ROCPRIM_400000_NS6detail17trampoline_kernelINS0_14default_configENS1_35radix_sort_onesweep_config_selectorIiiEEZZNS1_29radix_sort_onesweep_iterationIS3_Lb0EPiS7_S7_S7_jNS0_19identity_decomposerENS1_16block_id_wrapperIjLb0EEEEE10hipError_tT1_PNSt15iterator_traitsISC_E10value_typeET2_T3_PNSD_ISI_E10value_typeET4_T5_PSN_SO_PNS1_23onesweep_lookback_stateEbbT6_jjT7_P12ihipStream_tbENKUlT_T0_SC_SH_E_clIS7_S7_S7_S7_EEDaSV_SW_SC_SH_EUlSV_E_NS1_11comp_targetILNS1_3genE3ELNS1_11target_archE908ELNS1_3gpuE7ELNS1_3repE0EEENS1_47radix_sort_onesweep_sort_config_static_selectorELNS0_4arch9wavefront6targetE1EEEvSC_
	.p2align	8
	.type	_ZN7rocprim17ROCPRIM_400000_NS6detail17trampoline_kernelINS0_14default_configENS1_35radix_sort_onesweep_config_selectorIiiEEZZNS1_29radix_sort_onesweep_iterationIS3_Lb0EPiS7_S7_S7_jNS0_19identity_decomposerENS1_16block_id_wrapperIjLb0EEEEE10hipError_tT1_PNSt15iterator_traitsISC_E10value_typeET2_T3_PNSD_ISI_E10value_typeET4_T5_PSN_SO_PNS1_23onesweep_lookback_stateEbbT6_jjT7_P12ihipStream_tbENKUlT_T0_SC_SH_E_clIS7_S7_S7_S7_EEDaSV_SW_SC_SH_EUlSV_E_NS1_11comp_targetILNS1_3genE3ELNS1_11target_archE908ELNS1_3gpuE7ELNS1_3repE0EEENS1_47radix_sort_onesweep_sort_config_static_selectorELNS0_4arch9wavefront6targetE1EEEvSC_,@function
_ZN7rocprim17ROCPRIM_400000_NS6detail17trampoline_kernelINS0_14default_configENS1_35radix_sort_onesweep_config_selectorIiiEEZZNS1_29radix_sort_onesweep_iterationIS3_Lb0EPiS7_S7_S7_jNS0_19identity_decomposerENS1_16block_id_wrapperIjLb0EEEEE10hipError_tT1_PNSt15iterator_traitsISC_E10value_typeET2_T3_PNSD_ISI_E10value_typeET4_T5_PSN_SO_PNS1_23onesweep_lookback_stateEbbT6_jjT7_P12ihipStream_tbENKUlT_T0_SC_SH_E_clIS7_S7_S7_S7_EEDaSV_SW_SC_SH_EUlSV_E_NS1_11comp_targetILNS1_3genE3ELNS1_11target_archE908ELNS1_3gpuE7ELNS1_3repE0EEENS1_47radix_sort_onesweep_sort_config_static_selectorELNS0_4arch9wavefront6targetE1EEEvSC_: ; @_ZN7rocprim17ROCPRIM_400000_NS6detail17trampoline_kernelINS0_14default_configENS1_35radix_sort_onesweep_config_selectorIiiEEZZNS1_29radix_sort_onesweep_iterationIS3_Lb0EPiS7_S7_S7_jNS0_19identity_decomposerENS1_16block_id_wrapperIjLb0EEEEE10hipError_tT1_PNSt15iterator_traitsISC_E10value_typeET2_T3_PNSD_ISI_E10value_typeET4_T5_PSN_SO_PNS1_23onesweep_lookback_stateEbbT6_jjT7_P12ihipStream_tbENKUlT_T0_SC_SH_E_clIS7_S7_S7_S7_EEDaSV_SW_SC_SH_EUlSV_E_NS1_11comp_targetILNS1_3genE3ELNS1_11target_archE908ELNS1_3gpuE7ELNS1_3repE0EEENS1_47radix_sort_onesweep_sort_config_static_selectorELNS0_4arch9wavefront6targetE1EEEvSC_
; %bb.0:
	.section	.rodata,"a",@progbits
	.p2align	6, 0x0
	.amdhsa_kernel _ZN7rocprim17ROCPRIM_400000_NS6detail17trampoline_kernelINS0_14default_configENS1_35radix_sort_onesweep_config_selectorIiiEEZZNS1_29radix_sort_onesweep_iterationIS3_Lb0EPiS7_S7_S7_jNS0_19identity_decomposerENS1_16block_id_wrapperIjLb0EEEEE10hipError_tT1_PNSt15iterator_traitsISC_E10value_typeET2_T3_PNSD_ISI_E10value_typeET4_T5_PSN_SO_PNS1_23onesweep_lookback_stateEbbT6_jjT7_P12ihipStream_tbENKUlT_T0_SC_SH_E_clIS7_S7_S7_S7_EEDaSV_SW_SC_SH_EUlSV_E_NS1_11comp_targetILNS1_3genE3ELNS1_11target_archE908ELNS1_3gpuE7ELNS1_3repE0EEENS1_47radix_sort_onesweep_sort_config_static_selectorELNS0_4arch9wavefront6targetE1EEEvSC_
		.amdhsa_group_segment_fixed_size 0
		.amdhsa_private_segment_fixed_size 0
		.amdhsa_kernarg_size 88
		.amdhsa_user_sgpr_count 6
		.amdhsa_user_sgpr_private_segment_buffer 1
		.amdhsa_user_sgpr_dispatch_ptr 0
		.amdhsa_user_sgpr_queue_ptr 0
		.amdhsa_user_sgpr_kernarg_segment_ptr 1
		.amdhsa_user_sgpr_dispatch_id 0
		.amdhsa_user_sgpr_flat_scratch_init 0
		.amdhsa_user_sgpr_kernarg_preload_length 0
		.amdhsa_user_sgpr_kernarg_preload_offset 0
		.amdhsa_user_sgpr_private_segment_size 0
		.amdhsa_uses_dynamic_stack 0
		.amdhsa_system_sgpr_private_segment_wavefront_offset 0
		.amdhsa_system_sgpr_workgroup_id_x 1
		.amdhsa_system_sgpr_workgroup_id_y 0
		.amdhsa_system_sgpr_workgroup_id_z 0
		.amdhsa_system_sgpr_workgroup_info 0
		.amdhsa_system_vgpr_workitem_id 0
		.amdhsa_next_free_vgpr 1
		.amdhsa_next_free_sgpr 0
		.amdhsa_accum_offset 4
		.amdhsa_reserve_vcc 0
		.amdhsa_reserve_flat_scratch 0
		.amdhsa_float_round_mode_32 0
		.amdhsa_float_round_mode_16_64 0
		.amdhsa_float_denorm_mode_32 3
		.amdhsa_float_denorm_mode_16_64 3
		.amdhsa_dx10_clamp 1
		.amdhsa_ieee_mode 1
		.amdhsa_fp16_overflow 0
		.amdhsa_tg_split 0
		.amdhsa_exception_fp_ieee_invalid_op 0
		.amdhsa_exception_fp_denorm_src 0
		.amdhsa_exception_fp_ieee_div_zero 0
		.amdhsa_exception_fp_ieee_overflow 0
		.amdhsa_exception_fp_ieee_underflow 0
		.amdhsa_exception_fp_ieee_inexact 0
		.amdhsa_exception_int_div_zero 0
	.end_amdhsa_kernel
	.section	.text._ZN7rocprim17ROCPRIM_400000_NS6detail17trampoline_kernelINS0_14default_configENS1_35radix_sort_onesweep_config_selectorIiiEEZZNS1_29radix_sort_onesweep_iterationIS3_Lb0EPiS7_S7_S7_jNS0_19identity_decomposerENS1_16block_id_wrapperIjLb0EEEEE10hipError_tT1_PNSt15iterator_traitsISC_E10value_typeET2_T3_PNSD_ISI_E10value_typeET4_T5_PSN_SO_PNS1_23onesweep_lookback_stateEbbT6_jjT7_P12ihipStream_tbENKUlT_T0_SC_SH_E_clIS7_S7_S7_S7_EEDaSV_SW_SC_SH_EUlSV_E_NS1_11comp_targetILNS1_3genE3ELNS1_11target_archE908ELNS1_3gpuE7ELNS1_3repE0EEENS1_47radix_sort_onesweep_sort_config_static_selectorELNS0_4arch9wavefront6targetE1EEEvSC_,"axG",@progbits,_ZN7rocprim17ROCPRIM_400000_NS6detail17trampoline_kernelINS0_14default_configENS1_35radix_sort_onesweep_config_selectorIiiEEZZNS1_29radix_sort_onesweep_iterationIS3_Lb0EPiS7_S7_S7_jNS0_19identity_decomposerENS1_16block_id_wrapperIjLb0EEEEE10hipError_tT1_PNSt15iterator_traitsISC_E10value_typeET2_T3_PNSD_ISI_E10value_typeET4_T5_PSN_SO_PNS1_23onesweep_lookback_stateEbbT6_jjT7_P12ihipStream_tbENKUlT_T0_SC_SH_E_clIS7_S7_S7_S7_EEDaSV_SW_SC_SH_EUlSV_E_NS1_11comp_targetILNS1_3genE3ELNS1_11target_archE908ELNS1_3gpuE7ELNS1_3repE0EEENS1_47radix_sort_onesweep_sort_config_static_selectorELNS0_4arch9wavefront6targetE1EEEvSC_,comdat
.Lfunc_end381:
	.size	_ZN7rocprim17ROCPRIM_400000_NS6detail17trampoline_kernelINS0_14default_configENS1_35radix_sort_onesweep_config_selectorIiiEEZZNS1_29radix_sort_onesweep_iterationIS3_Lb0EPiS7_S7_S7_jNS0_19identity_decomposerENS1_16block_id_wrapperIjLb0EEEEE10hipError_tT1_PNSt15iterator_traitsISC_E10value_typeET2_T3_PNSD_ISI_E10value_typeET4_T5_PSN_SO_PNS1_23onesweep_lookback_stateEbbT6_jjT7_P12ihipStream_tbENKUlT_T0_SC_SH_E_clIS7_S7_S7_S7_EEDaSV_SW_SC_SH_EUlSV_E_NS1_11comp_targetILNS1_3genE3ELNS1_11target_archE908ELNS1_3gpuE7ELNS1_3repE0EEENS1_47radix_sort_onesweep_sort_config_static_selectorELNS0_4arch9wavefront6targetE1EEEvSC_, .Lfunc_end381-_ZN7rocprim17ROCPRIM_400000_NS6detail17trampoline_kernelINS0_14default_configENS1_35radix_sort_onesweep_config_selectorIiiEEZZNS1_29radix_sort_onesweep_iterationIS3_Lb0EPiS7_S7_S7_jNS0_19identity_decomposerENS1_16block_id_wrapperIjLb0EEEEE10hipError_tT1_PNSt15iterator_traitsISC_E10value_typeET2_T3_PNSD_ISI_E10value_typeET4_T5_PSN_SO_PNS1_23onesweep_lookback_stateEbbT6_jjT7_P12ihipStream_tbENKUlT_T0_SC_SH_E_clIS7_S7_S7_S7_EEDaSV_SW_SC_SH_EUlSV_E_NS1_11comp_targetILNS1_3genE3ELNS1_11target_archE908ELNS1_3gpuE7ELNS1_3repE0EEENS1_47radix_sort_onesweep_sort_config_static_selectorELNS0_4arch9wavefront6targetE1EEEvSC_
                                        ; -- End function
	.section	.AMDGPU.csdata,"",@progbits
; Kernel info:
; codeLenInByte = 0
; NumSgprs: 4
; NumVgprs: 0
; NumAgprs: 0
; TotalNumVgprs: 0
; ScratchSize: 0
; MemoryBound: 0
; FloatMode: 240
; IeeeMode: 1
; LDSByteSize: 0 bytes/workgroup (compile time only)
; SGPRBlocks: 0
; VGPRBlocks: 0
; NumSGPRsForWavesPerEU: 4
; NumVGPRsForWavesPerEU: 1
; AccumOffset: 4
; Occupancy: 8
; WaveLimiterHint : 0
; COMPUTE_PGM_RSRC2:SCRATCH_EN: 0
; COMPUTE_PGM_RSRC2:USER_SGPR: 6
; COMPUTE_PGM_RSRC2:TRAP_HANDLER: 0
; COMPUTE_PGM_RSRC2:TGID_X_EN: 1
; COMPUTE_PGM_RSRC2:TGID_Y_EN: 0
; COMPUTE_PGM_RSRC2:TGID_Z_EN: 0
; COMPUTE_PGM_RSRC2:TIDIG_COMP_CNT: 0
; COMPUTE_PGM_RSRC3_GFX90A:ACCUM_OFFSET: 0
; COMPUTE_PGM_RSRC3_GFX90A:TG_SPLIT: 0
	.section	.text._ZN7rocprim17ROCPRIM_400000_NS6detail17trampoline_kernelINS0_14default_configENS1_35radix_sort_onesweep_config_selectorIiiEEZZNS1_29radix_sort_onesweep_iterationIS3_Lb0EPiS7_S7_S7_jNS0_19identity_decomposerENS1_16block_id_wrapperIjLb0EEEEE10hipError_tT1_PNSt15iterator_traitsISC_E10value_typeET2_T3_PNSD_ISI_E10value_typeET4_T5_PSN_SO_PNS1_23onesweep_lookback_stateEbbT6_jjT7_P12ihipStream_tbENKUlT_T0_SC_SH_E_clIS7_S7_S7_S7_EEDaSV_SW_SC_SH_EUlSV_E_NS1_11comp_targetILNS1_3genE10ELNS1_11target_archE1201ELNS1_3gpuE5ELNS1_3repE0EEENS1_47radix_sort_onesweep_sort_config_static_selectorELNS0_4arch9wavefront6targetE1EEEvSC_,"axG",@progbits,_ZN7rocprim17ROCPRIM_400000_NS6detail17trampoline_kernelINS0_14default_configENS1_35radix_sort_onesweep_config_selectorIiiEEZZNS1_29radix_sort_onesweep_iterationIS3_Lb0EPiS7_S7_S7_jNS0_19identity_decomposerENS1_16block_id_wrapperIjLb0EEEEE10hipError_tT1_PNSt15iterator_traitsISC_E10value_typeET2_T3_PNSD_ISI_E10value_typeET4_T5_PSN_SO_PNS1_23onesweep_lookback_stateEbbT6_jjT7_P12ihipStream_tbENKUlT_T0_SC_SH_E_clIS7_S7_S7_S7_EEDaSV_SW_SC_SH_EUlSV_E_NS1_11comp_targetILNS1_3genE10ELNS1_11target_archE1201ELNS1_3gpuE5ELNS1_3repE0EEENS1_47radix_sort_onesweep_sort_config_static_selectorELNS0_4arch9wavefront6targetE1EEEvSC_,comdat
	.protected	_ZN7rocprim17ROCPRIM_400000_NS6detail17trampoline_kernelINS0_14default_configENS1_35radix_sort_onesweep_config_selectorIiiEEZZNS1_29radix_sort_onesweep_iterationIS3_Lb0EPiS7_S7_S7_jNS0_19identity_decomposerENS1_16block_id_wrapperIjLb0EEEEE10hipError_tT1_PNSt15iterator_traitsISC_E10value_typeET2_T3_PNSD_ISI_E10value_typeET4_T5_PSN_SO_PNS1_23onesweep_lookback_stateEbbT6_jjT7_P12ihipStream_tbENKUlT_T0_SC_SH_E_clIS7_S7_S7_S7_EEDaSV_SW_SC_SH_EUlSV_E_NS1_11comp_targetILNS1_3genE10ELNS1_11target_archE1201ELNS1_3gpuE5ELNS1_3repE0EEENS1_47radix_sort_onesweep_sort_config_static_selectorELNS0_4arch9wavefront6targetE1EEEvSC_ ; -- Begin function _ZN7rocprim17ROCPRIM_400000_NS6detail17trampoline_kernelINS0_14default_configENS1_35radix_sort_onesweep_config_selectorIiiEEZZNS1_29radix_sort_onesweep_iterationIS3_Lb0EPiS7_S7_S7_jNS0_19identity_decomposerENS1_16block_id_wrapperIjLb0EEEEE10hipError_tT1_PNSt15iterator_traitsISC_E10value_typeET2_T3_PNSD_ISI_E10value_typeET4_T5_PSN_SO_PNS1_23onesweep_lookback_stateEbbT6_jjT7_P12ihipStream_tbENKUlT_T0_SC_SH_E_clIS7_S7_S7_S7_EEDaSV_SW_SC_SH_EUlSV_E_NS1_11comp_targetILNS1_3genE10ELNS1_11target_archE1201ELNS1_3gpuE5ELNS1_3repE0EEENS1_47radix_sort_onesweep_sort_config_static_selectorELNS0_4arch9wavefront6targetE1EEEvSC_
	.globl	_ZN7rocprim17ROCPRIM_400000_NS6detail17trampoline_kernelINS0_14default_configENS1_35radix_sort_onesweep_config_selectorIiiEEZZNS1_29radix_sort_onesweep_iterationIS3_Lb0EPiS7_S7_S7_jNS0_19identity_decomposerENS1_16block_id_wrapperIjLb0EEEEE10hipError_tT1_PNSt15iterator_traitsISC_E10value_typeET2_T3_PNSD_ISI_E10value_typeET4_T5_PSN_SO_PNS1_23onesweep_lookback_stateEbbT6_jjT7_P12ihipStream_tbENKUlT_T0_SC_SH_E_clIS7_S7_S7_S7_EEDaSV_SW_SC_SH_EUlSV_E_NS1_11comp_targetILNS1_3genE10ELNS1_11target_archE1201ELNS1_3gpuE5ELNS1_3repE0EEENS1_47radix_sort_onesweep_sort_config_static_selectorELNS0_4arch9wavefront6targetE1EEEvSC_
	.p2align	8
	.type	_ZN7rocprim17ROCPRIM_400000_NS6detail17trampoline_kernelINS0_14default_configENS1_35radix_sort_onesweep_config_selectorIiiEEZZNS1_29radix_sort_onesweep_iterationIS3_Lb0EPiS7_S7_S7_jNS0_19identity_decomposerENS1_16block_id_wrapperIjLb0EEEEE10hipError_tT1_PNSt15iterator_traitsISC_E10value_typeET2_T3_PNSD_ISI_E10value_typeET4_T5_PSN_SO_PNS1_23onesweep_lookback_stateEbbT6_jjT7_P12ihipStream_tbENKUlT_T0_SC_SH_E_clIS7_S7_S7_S7_EEDaSV_SW_SC_SH_EUlSV_E_NS1_11comp_targetILNS1_3genE10ELNS1_11target_archE1201ELNS1_3gpuE5ELNS1_3repE0EEENS1_47radix_sort_onesweep_sort_config_static_selectorELNS0_4arch9wavefront6targetE1EEEvSC_,@function
_ZN7rocprim17ROCPRIM_400000_NS6detail17trampoline_kernelINS0_14default_configENS1_35radix_sort_onesweep_config_selectorIiiEEZZNS1_29radix_sort_onesweep_iterationIS3_Lb0EPiS7_S7_S7_jNS0_19identity_decomposerENS1_16block_id_wrapperIjLb0EEEEE10hipError_tT1_PNSt15iterator_traitsISC_E10value_typeET2_T3_PNSD_ISI_E10value_typeET4_T5_PSN_SO_PNS1_23onesweep_lookback_stateEbbT6_jjT7_P12ihipStream_tbENKUlT_T0_SC_SH_E_clIS7_S7_S7_S7_EEDaSV_SW_SC_SH_EUlSV_E_NS1_11comp_targetILNS1_3genE10ELNS1_11target_archE1201ELNS1_3gpuE5ELNS1_3repE0EEENS1_47radix_sort_onesweep_sort_config_static_selectorELNS0_4arch9wavefront6targetE1EEEvSC_: ; @_ZN7rocprim17ROCPRIM_400000_NS6detail17trampoline_kernelINS0_14default_configENS1_35radix_sort_onesweep_config_selectorIiiEEZZNS1_29radix_sort_onesweep_iterationIS3_Lb0EPiS7_S7_S7_jNS0_19identity_decomposerENS1_16block_id_wrapperIjLb0EEEEE10hipError_tT1_PNSt15iterator_traitsISC_E10value_typeET2_T3_PNSD_ISI_E10value_typeET4_T5_PSN_SO_PNS1_23onesweep_lookback_stateEbbT6_jjT7_P12ihipStream_tbENKUlT_T0_SC_SH_E_clIS7_S7_S7_S7_EEDaSV_SW_SC_SH_EUlSV_E_NS1_11comp_targetILNS1_3genE10ELNS1_11target_archE1201ELNS1_3gpuE5ELNS1_3repE0EEENS1_47radix_sort_onesweep_sort_config_static_selectorELNS0_4arch9wavefront6targetE1EEEvSC_
; %bb.0:
	.section	.rodata,"a",@progbits
	.p2align	6, 0x0
	.amdhsa_kernel _ZN7rocprim17ROCPRIM_400000_NS6detail17trampoline_kernelINS0_14default_configENS1_35radix_sort_onesweep_config_selectorIiiEEZZNS1_29radix_sort_onesweep_iterationIS3_Lb0EPiS7_S7_S7_jNS0_19identity_decomposerENS1_16block_id_wrapperIjLb0EEEEE10hipError_tT1_PNSt15iterator_traitsISC_E10value_typeET2_T3_PNSD_ISI_E10value_typeET4_T5_PSN_SO_PNS1_23onesweep_lookback_stateEbbT6_jjT7_P12ihipStream_tbENKUlT_T0_SC_SH_E_clIS7_S7_S7_S7_EEDaSV_SW_SC_SH_EUlSV_E_NS1_11comp_targetILNS1_3genE10ELNS1_11target_archE1201ELNS1_3gpuE5ELNS1_3repE0EEENS1_47radix_sort_onesweep_sort_config_static_selectorELNS0_4arch9wavefront6targetE1EEEvSC_
		.amdhsa_group_segment_fixed_size 0
		.amdhsa_private_segment_fixed_size 0
		.amdhsa_kernarg_size 88
		.amdhsa_user_sgpr_count 6
		.amdhsa_user_sgpr_private_segment_buffer 1
		.amdhsa_user_sgpr_dispatch_ptr 0
		.amdhsa_user_sgpr_queue_ptr 0
		.amdhsa_user_sgpr_kernarg_segment_ptr 1
		.amdhsa_user_sgpr_dispatch_id 0
		.amdhsa_user_sgpr_flat_scratch_init 0
		.amdhsa_user_sgpr_kernarg_preload_length 0
		.amdhsa_user_sgpr_kernarg_preload_offset 0
		.amdhsa_user_sgpr_private_segment_size 0
		.amdhsa_uses_dynamic_stack 0
		.amdhsa_system_sgpr_private_segment_wavefront_offset 0
		.amdhsa_system_sgpr_workgroup_id_x 1
		.amdhsa_system_sgpr_workgroup_id_y 0
		.amdhsa_system_sgpr_workgroup_id_z 0
		.amdhsa_system_sgpr_workgroup_info 0
		.amdhsa_system_vgpr_workitem_id 0
		.amdhsa_next_free_vgpr 1
		.amdhsa_next_free_sgpr 0
		.amdhsa_accum_offset 4
		.amdhsa_reserve_vcc 0
		.amdhsa_reserve_flat_scratch 0
		.amdhsa_float_round_mode_32 0
		.amdhsa_float_round_mode_16_64 0
		.amdhsa_float_denorm_mode_32 3
		.amdhsa_float_denorm_mode_16_64 3
		.amdhsa_dx10_clamp 1
		.amdhsa_ieee_mode 1
		.amdhsa_fp16_overflow 0
		.amdhsa_tg_split 0
		.amdhsa_exception_fp_ieee_invalid_op 0
		.amdhsa_exception_fp_denorm_src 0
		.amdhsa_exception_fp_ieee_div_zero 0
		.amdhsa_exception_fp_ieee_overflow 0
		.amdhsa_exception_fp_ieee_underflow 0
		.amdhsa_exception_fp_ieee_inexact 0
		.amdhsa_exception_int_div_zero 0
	.end_amdhsa_kernel
	.section	.text._ZN7rocprim17ROCPRIM_400000_NS6detail17trampoline_kernelINS0_14default_configENS1_35radix_sort_onesweep_config_selectorIiiEEZZNS1_29radix_sort_onesweep_iterationIS3_Lb0EPiS7_S7_S7_jNS0_19identity_decomposerENS1_16block_id_wrapperIjLb0EEEEE10hipError_tT1_PNSt15iterator_traitsISC_E10value_typeET2_T3_PNSD_ISI_E10value_typeET4_T5_PSN_SO_PNS1_23onesweep_lookback_stateEbbT6_jjT7_P12ihipStream_tbENKUlT_T0_SC_SH_E_clIS7_S7_S7_S7_EEDaSV_SW_SC_SH_EUlSV_E_NS1_11comp_targetILNS1_3genE10ELNS1_11target_archE1201ELNS1_3gpuE5ELNS1_3repE0EEENS1_47radix_sort_onesweep_sort_config_static_selectorELNS0_4arch9wavefront6targetE1EEEvSC_,"axG",@progbits,_ZN7rocprim17ROCPRIM_400000_NS6detail17trampoline_kernelINS0_14default_configENS1_35radix_sort_onesweep_config_selectorIiiEEZZNS1_29radix_sort_onesweep_iterationIS3_Lb0EPiS7_S7_S7_jNS0_19identity_decomposerENS1_16block_id_wrapperIjLb0EEEEE10hipError_tT1_PNSt15iterator_traitsISC_E10value_typeET2_T3_PNSD_ISI_E10value_typeET4_T5_PSN_SO_PNS1_23onesweep_lookback_stateEbbT6_jjT7_P12ihipStream_tbENKUlT_T0_SC_SH_E_clIS7_S7_S7_S7_EEDaSV_SW_SC_SH_EUlSV_E_NS1_11comp_targetILNS1_3genE10ELNS1_11target_archE1201ELNS1_3gpuE5ELNS1_3repE0EEENS1_47radix_sort_onesweep_sort_config_static_selectorELNS0_4arch9wavefront6targetE1EEEvSC_,comdat
.Lfunc_end382:
	.size	_ZN7rocprim17ROCPRIM_400000_NS6detail17trampoline_kernelINS0_14default_configENS1_35radix_sort_onesweep_config_selectorIiiEEZZNS1_29radix_sort_onesweep_iterationIS3_Lb0EPiS7_S7_S7_jNS0_19identity_decomposerENS1_16block_id_wrapperIjLb0EEEEE10hipError_tT1_PNSt15iterator_traitsISC_E10value_typeET2_T3_PNSD_ISI_E10value_typeET4_T5_PSN_SO_PNS1_23onesweep_lookback_stateEbbT6_jjT7_P12ihipStream_tbENKUlT_T0_SC_SH_E_clIS7_S7_S7_S7_EEDaSV_SW_SC_SH_EUlSV_E_NS1_11comp_targetILNS1_3genE10ELNS1_11target_archE1201ELNS1_3gpuE5ELNS1_3repE0EEENS1_47radix_sort_onesweep_sort_config_static_selectorELNS0_4arch9wavefront6targetE1EEEvSC_, .Lfunc_end382-_ZN7rocprim17ROCPRIM_400000_NS6detail17trampoline_kernelINS0_14default_configENS1_35radix_sort_onesweep_config_selectorIiiEEZZNS1_29radix_sort_onesweep_iterationIS3_Lb0EPiS7_S7_S7_jNS0_19identity_decomposerENS1_16block_id_wrapperIjLb0EEEEE10hipError_tT1_PNSt15iterator_traitsISC_E10value_typeET2_T3_PNSD_ISI_E10value_typeET4_T5_PSN_SO_PNS1_23onesweep_lookback_stateEbbT6_jjT7_P12ihipStream_tbENKUlT_T0_SC_SH_E_clIS7_S7_S7_S7_EEDaSV_SW_SC_SH_EUlSV_E_NS1_11comp_targetILNS1_3genE10ELNS1_11target_archE1201ELNS1_3gpuE5ELNS1_3repE0EEENS1_47radix_sort_onesweep_sort_config_static_selectorELNS0_4arch9wavefront6targetE1EEEvSC_
                                        ; -- End function
	.section	.AMDGPU.csdata,"",@progbits
; Kernel info:
; codeLenInByte = 0
; NumSgprs: 4
; NumVgprs: 0
; NumAgprs: 0
; TotalNumVgprs: 0
; ScratchSize: 0
; MemoryBound: 0
; FloatMode: 240
; IeeeMode: 1
; LDSByteSize: 0 bytes/workgroup (compile time only)
; SGPRBlocks: 0
; VGPRBlocks: 0
; NumSGPRsForWavesPerEU: 4
; NumVGPRsForWavesPerEU: 1
; AccumOffset: 4
; Occupancy: 8
; WaveLimiterHint : 0
; COMPUTE_PGM_RSRC2:SCRATCH_EN: 0
; COMPUTE_PGM_RSRC2:USER_SGPR: 6
; COMPUTE_PGM_RSRC2:TRAP_HANDLER: 0
; COMPUTE_PGM_RSRC2:TGID_X_EN: 1
; COMPUTE_PGM_RSRC2:TGID_Y_EN: 0
; COMPUTE_PGM_RSRC2:TGID_Z_EN: 0
; COMPUTE_PGM_RSRC2:TIDIG_COMP_CNT: 0
; COMPUTE_PGM_RSRC3_GFX90A:ACCUM_OFFSET: 0
; COMPUTE_PGM_RSRC3_GFX90A:TG_SPLIT: 0
	.section	.text._ZN7rocprim17ROCPRIM_400000_NS6detail17trampoline_kernelINS0_14default_configENS1_35radix_sort_onesweep_config_selectorIiiEEZZNS1_29radix_sort_onesweep_iterationIS3_Lb0EPiS7_S7_S7_jNS0_19identity_decomposerENS1_16block_id_wrapperIjLb0EEEEE10hipError_tT1_PNSt15iterator_traitsISC_E10value_typeET2_T3_PNSD_ISI_E10value_typeET4_T5_PSN_SO_PNS1_23onesweep_lookback_stateEbbT6_jjT7_P12ihipStream_tbENKUlT_T0_SC_SH_E_clIS7_S7_S7_S7_EEDaSV_SW_SC_SH_EUlSV_E_NS1_11comp_targetILNS1_3genE9ELNS1_11target_archE1100ELNS1_3gpuE3ELNS1_3repE0EEENS1_47radix_sort_onesweep_sort_config_static_selectorELNS0_4arch9wavefront6targetE1EEEvSC_,"axG",@progbits,_ZN7rocprim17ROCPRIM_400000_NS6detail17trampoline_kernelINS0_14default_configENS1_35radix_sort_onesweep_config_selectorIiiEEZZNS1_29radix_sort_onesweep_iterationIS3_Lb0EPiS7_S7_S7_jNS0_19identity_decomposerENS1_16block_id_wrapperIjLb0EEEEE10hipError_tT1_PNSt15iterator_traitsISC_E10value_typeET2_T3_PNSD_ISI_E10value_typeET4_T5_PSN_SO_PNS1_23onesweep_lookback_stateEbbT6_jjT7_P12ihipStream_tbENKUlT_T0_SC_SH_E_clIS7_S7_S7_S7_EEDaSV_SW_SC_SH_EUlSV_E_NS1_11comp_targetILNS1_3genE9ELNS1_11target_archE1100ELNS1_3gpuE3ELNS1_3repE0EEENS1_47radix_sort_onesweep_sort_config_static_selectorELNS0_4arch9wavefront6targetE1EEEvSC_,comdat
	.protected	_ZN7rocprim17ROCPRIM_400000_NS6detail17trampoline_kernelINS0_14default_configENS1_35radix_sort_onesweep_config_selectorIiiEEZZNS1_29radix_sort_onesweep_iterationIS3_Lb0EPiS7_S7_S7_jNS0_19identity_decomposerENS1_16block_id_wrapperIjLb0EEEEE10hipError_tT1_PNSt15iterator_traitsISC_E10value_typeET2_T3_PNSD_ISI_E10value_typeET4_T5_PSN_SO_PNS1_23onesweep_lookback_stateEbbT6_jjT7_P12ihipStream_tbENKUlT_T0_SC_SH_E_clIS7_S7_S7_S7_EEDaSV_SW_SC_SH_EUlSV_E_NS1_11comp_targetILNS1_3genE9ELNS1_11target_archE1100ELNS1_3gpuE3ELNS1_3repE0EEENS1_47radix_sort_onesweep_sort_config_static_selectorELNS0_4arch9wavefront6targetE1EEEvSC_ ; -- Begin function _ZN7rocprim17ROCPRIM_400000_NS6detail17trampoline_kernelINS0_14default_configENS1_35radix_sort_onesweep_config_selectorIiiEEZZNS1_29radix_sort_onesweep_iterationIS3_Lb0EPiS7_S7_S7_jNS0_19identity_decomposerENS1_16block_id_wrapperIjLb0EEEEE10hipError_tT1_PNSt15iterator_traitsISC_E10value_typeET2_T3_PNSD_ISI_E10value_typeET4_T5_PSN_SO_PNS1_23onesweep_lookback_stateEbbT6_jjT7_P12ihipStream_tbENKUlT_T0_SC_SH_E_clIS7_S7_S7_S7_EEDaSV_SW_SC_SH_EUlSV_E_NS1_11comp_targetILNS1_3genE9ELNS1_11target_archE1100ELNS1_3gpuE3ELNS1_3repE0EEENS1_47radix_sort_onesweep_sort_config_static_selectorELNS0_4arch9wavefront6targetE1EEEvSC_
	.globl	_ZN7rocprim17ROCPRIM_400000_NS6detail17trampoline_kernelINS0_14default_configENS1_35radix_sort_onesweep_config_selectorIiiEEZZNS1_29radix_sort_onesweep_iterationIS3_Lb0EPiS7_S7_S7_jNS0_19identity_decomposerENS1_16block_id_wrapperIjLb0EEEEE10hipError_tT1_PNSt15iterator_traitsISC_E10value_typeET2_T3_PNSD_ISI_E10value_typeET4_T5_PSN_SO_PNS1_23onesweep_lookback_stateEbbT6_jjT7_P12ihipStream_tbENKUlT_T0_SC_SH_E_clIS7_S7_S7_S7_EEDaSV_SW_SC_SH_EUlSV_E_NS1_11comp_targetILNS1_3genE9ELNS1_11target_archE1100ELNS1_3gpuE3ELNS1_3repE0EEENS1_47radix_sort_onesweep_sort_config_static_selectorELNS0_4arch9wavefront6targetE1EEEvSC_
	.p2align	8
	.type	_ZN7rocprim17ROCPRIM_400000_NS6detail17trampoline_kernelINS0_14default_configENS1_35radix_sort_onesweep_config_selectorIiiEEZZNS1_29radix_sort_onesweep_iterationIS3_Lb0EPiS7_S7_S7_jNS0_19identity_decomposerENS1_16block_id_wrapperIjLb0EEEEE10hipError_tT1_PNSt15iterator_traitsISC_E10value_typeET2_T3_PNSD_ISI_E10value_typeET4_T5_PSN_SO_PNS1_23onesweep_lookback_stateEbbT6_jjT7_P12ihipStream_tbENKUlT_T0_SC_SH_E_clIS7_S7_S7_S7_EEDaSV_SW_SC_SH_EUlSV_E_NS1_11comp_targetILNS1_3genE9ELNS1_11target_archE1100ELNS1_3gpuE3ELNS1_3repE0EEENS1_47radix_sort_onesweep_sort_config_static_selectorELNS0_4arch9wavefront6targetE1EEEvSC_,@function
_ZN7rocprim17ROCPRIM_400000_NS6detail17trampoline_kernelINS0_14default_configENS1_35radix_sort_onesweep_config_selectorIiiEEZZNS1_29radix_sort_onesweep_iterationIS3_Lb0EPiS7_S7_S7_jNS0_19identity_decomposerENS1_16block_id_wrapperIjLb0EEEEE10hipError_tT1_PNSt15iterator_traitsISC_E10value_typeET2_T3_PNSD_ISI_E10value_typeET4_T5_PSN_SO_PNS1_23onesweep_lookback_stateEbbT6_jjT7_P12ihipStream_tbENKUlT_T0_SC_SH_E_clIS7_S7_S7_S7_EEDaSV_SW_SC_SH_EUlSV_E_NS1_11comp_targetILNS1_3genE9ELNS1_11target_archE1100ELNS1_3gpuE3ELNS1_3repE0EEENS1_47radix_sort_onesweep_sort_config_static_selectorELNS0_4arch9wavefront6targetE1EEEvSC_: ; @_ZN7rocprim17ROCPRIM_400000_NS6detail17trampoline_kernelINS0_14default_configENS1_35radix_sort_onesweep_config_selectorIiiEEZZNS1_29radix_sort_onesweep_iterationIS3_Lb0EPiS7_S7_S7_jNS0_19identity_decomposerENS1_16block_id_wrapperIjLb0EEEEE10hipError_tT1_PNSt15iterator_traitsISC_E10value_typeET2_T3_PNSD_ISI_E10value_typeET4_T5_PSN_SO_PNS1_23onesweep_lookback_stateEbbT6_jjT7_P12ihipStream_tbENKUlT_T0_SC_SH_E_clIS7_S7_S7_S7_EEDaSV_SW_SC_SH_EUlSV_E_NS1_11comp_targetILNS1_3genE9ELNS1_11target_archE1100ELNS1_3gpuE3ELNS1_3repE0EEENS1_47radix_sort_onesweep_sort_config_static_selectorELNS0_4arch9wavefront6targetE1EEEvSC_
; %bb.0:
	.section	.rodata,"a",@progbits
	.p2align	6, 0x0
	.amdhsa_kernel _ZN7rocprim17ROCPRIM_400000_NS6detail17trampoline_kernelINS0_14default_configENS1_35radix_sort_onesweep_config_selectorIiiEEZZNS1_29radix_sort_onesweep_iterationIS3_Lb0EPiS7_S7_S7_jNS0_19identity_decomposerENS1_16block_id_wrapperIjLb0EEEEE10hipError_tT1_PNSt15iterator_traitsISC_E10value_typeET2_T3_PNSD_ISI_E10value_typeET4_T5_PSN_SO_PNS1_23onesweep_lookback_stateEbbT6_jjT7_P12ihipStream_tbENKUlT_T0_SC_SH_E_clIS7_S7_S7_S7_EEDaSV_SW_SC_SH_EUlSV_E_NS1_11comp_targetILNS1_3genE9ELNS1_11target_archE1100ELNS1_3gpuE3ELNS1_3repE0EEENS1_47radix_sort_onesweep_sort_config_static_selectorELNS0_4arch9wavefront6targetE1EEEvSC_
		.amdhsa_group_segment_fixed_size 0
		.amdhsa_private_segment_fixed_size 0
		.amdhsa_kernarg_size 88
		.amdhsa_user_sgpr_count 6
		.amdhsa_user_sgpr_private_segment_buffer 1
		.amdhsa_user_sgpr_dispatch_ptr 0
		.amdhsa_user_sgpr_queue_ptr 0
		.amdhsa_user_sgpr_kernarg_segment_ptr 1
		.amdhsa_user_sgpr_dispatch_id 0
		.amdhsa_user_sgpr_flat_scratch_init 0
		.amdhsa_user_sgpr_kernarg_preload_length 0
		.amdhsa_user_sgpr_kernarg_preload_offset 0
		.amdhsa_user_sgpr_private_segment_size 0
		.amdhsa_uses_dynamic_stack 0
		.amdhsa_system_sgpr_private_segment_wavefront_offset 0
		.amdhsa_system_sgpr_workgroup_id_x 1
		.amdhsa_system_sgpr_workgroup_id_y 0
		.amdhsa_system_sgpr_workgroup_id_z 0
		.amdhsa_system_sgpr_workgroup_info 0
		.amdhsa_system_vgpr_workitem_id 0
		.amdhsa_next_free_vgpr 1
		.amdhsa_next_free_sgpr 0
		.amdhsa_accum_offset 4
		.amdhsa_reserve_vcc 0
		.amdhsa_reserve_flat_scratch 0
		.amdhsa_float_round_mode_32 0
		.amdhsa_float_round_mode_16_64 0
		.amdhsa_float_denorm_mode_32 3
		.amdhsa_float_denorm_mode_16_64 3
		.amdhsa_dx10_clamp 1
		.amdhsa_ieee_mode 1
		.amdhsa_fp16_overflow 0
		.amdhsa_tg_split 0
		.amdhsa_exception_fp_ieee_invalid_op 0
		.amdhsa_exception_fp_denorm_src 0
		.amdhsa_exception_fp_ieee_div_zero 0
		.amdhsa_exception_fp_ieee_overflow 0
		.amdhsa_exception_fp_ieee_underflow 0
		.amdhsa_exception_fp_ieee_inexact 0
		.amdhsa_exception_int_div_zero 0
	.end_amdhsa_kernel
	.section	.text._ZN7rocprim17ROCPRIM_400000_NS6detail17trampoline_kernelINS0_14default_configENS1_35radix_sort_onesweep_config_selectorIiiEEZZNS1_29radix_sort_onesweep_iterationIS3_Lb0EPiS7_S7_S7_jNS0_19identity_decomposerENS1_16block_id_wrapperIjLb0EEEEE10hipError_tT1_PNSt15iterator_traitsISC_E10value_typeET2_T3_PNSD_ISI_E10value_typeET4_T5_PSN_SO_PNS1_23onesweep_lookback_stateEbbT6_jjT7_P12ihipStream_tbENKUlT_T0_SC_SH_E_clIS7_S7_S7_S7_EEDaSV_SW_SC_SH_EUlSV_E_NS1_11comp_targetILNS1_3genE9ELNS1_11target_archE1100ELNS1_3gpuE3ELNS1_3repE0EEENS1_47radix_sort_onesweep_sort_config_static_selectorELNS0_4arch9wavefront6targetE1EEEvSC_,"axG",@progbits,_ZN7rocprim17ROCPRIM_400000_NS6detail17trampoline_kernelINS0_14default_configENS1_35radix_sort_onesweep_config_selectorIiiEEZZNS1_29radix_sort_onesweep_iterationIS3_Lb0EPiS7_S7_S7_jNS0_19identity_decomposerENS1_16block_id_wrapperIjLb0EEEEE10hipError_tT1_PNSt15iterator_traitsISC_E10value_typeET2_T3_PNSD_ISI_E10value_typeET4_T5_PSN_SO_PNS1_23onesweep_lookback_stateEbbT6_jjT7_P12ihipStream_tbENKUlT_T0_SC_SH_E_clIS7_S7_S7_S7_EEDaSV_SW_SC_SH_EUlSV_E_NS1_11comp_targetILNS1_3genE9ELNS1_11target_archE1100ELNS1_3gpuE3ELNS1_3repE0EEENS1_47radix_sort_onesweep_sort_config_static_selectorELNS0_4arch9wavefront6targetE1EEEvSC_,comdat
.Lfunc_end383:
	.size	_ZN7rocprim17ROCPRIM_400000_NS6detail17trampoline_kernelINS0_14default_configENS1_35radix_sort_onesweep_config_selectorIiiEEZZNS1_29radix_sort_onesweep_iterationIS3_Lb0EPiS7_S7_S7_jNS0_19identity_decomposerENS1_16block_id_wrapperIjLb0EEEEE10hipError_tT1_PNSt15iterator_traitsISC_E10value_typeET2_T3_PNSD_ISI_E10value_typeET4_T5_PSN_SO_PNS1_23onesweep_lookback_stateEbbT6_jjT7_P12ihipStream_tbENKUlT_T0_SC_SH_E_clIS7_S7_S7_S7_EEDaSV_SW_SC_SH_EUlSV_E_NS1_11comp_targetILNS1_3genE9ELNS1_11target_archE1100ELNS1_3gpuE3ELNS1_3repE0EEENS1_47radix_sort_onesweep_sort_config_static_selectorELNS0_4arch9wavefront6targetE1EEEvSC_, .Lfunc_end383-_ZN7rocprim17ROCPRIM_400000_NS6detail17trampoline_kernelINS0_14default_configENS1_35radix_sort_onesweep_config_selectorIiiEEZZNS1_29radix_sort_onesweep_iterationIS3_Lb0EPiS7_S7_S7_jNS0_19identity_decomposerENS1_16block_id_wrapperIjLb0EEEEE10hipError_tT1_PNSt15iterator_traitsISC_E10value_typeET2_T3_PNSD_ISI_E10value_typeET4_T5_PSN_SO_PNS1_23onesweep_lookback_stateEbbT6_jjT7_P12ihipStream_tbENKUlT_T0_SC_SH_E_clIS7_S7_S7_S7_EEDaSV_SW_SC_SH_EUlSV_E_NS1_11comp_targetILNS1_3genE9ELNS1_11target_archE1100ELNS1_3gpuE3ELNS1_3repE0EEENS1_47radix_sort_onesweep_sort_config_static_selectorELNS0_4arch9wavefront6targetE1EEEvSC_
                                        ; -- End function
	.section	.AMDGPU.csdata,"",@progbits
; Kernel info:
; codeLenInByte = 0
; NumSgprs: 4
; NumVgprs: 0
; NumAgprs: 0
; TotalNumVgprs: 0
; ScratchSize: 0
; MemoryBound: 0
; FloatMode: 240
; IeeeMode: 1
; LDSByteSize: 0 bytes/workgroup (compile time only)
; SGPRBlocks: 0
; VGPRBlocks: 0
; NumSGPRsForWavesPerEU: 4
; NumVGPRsForWavesPerEU: 1
; AccumOffset: 4
; Occupancy: 8
; WaveLimiterHint : 0
; COMPUTE_PGM_RSRC2:SCRATCH_EN: 0
; COMPUTE_PGM_RSRC2:USER_SGPR: 6
; COMPUTE_PGM_RSRC2:TRAP_HANDLER: 0
; COMPUTE_PGM_RSRC2:TGID_X_EN: 1
; COMPUTE_PGM_RSRC2:TGID_Y_EN: 0
; COMPUTE_PGM_RSRC2:TGID_Z_EN: 0
; COMPUTE_PGM_RSRC2:TIDIG_COMP_CNT: 0
; COMPUTE_PGM_RSRC3_GFX90A:ACCUM_OFFSET: 0
; COMPUTE_PGM_RSRC3_GFX90A:TG_SPLIT: 0
	.section	.text._ZN7rocprim17ROCPRIM_400000_NS6detail17trampoline_kernelINS0_14default_configENS1_35radix_sort_onesweep_config_selectorIiiEEZZNS1_29radix_sort_onesweep_iterationIS3_Lb0EPiS7_S7_S7_jNS0_19identity_decomposerENS1_16block_id_wrapperIjLb0EEEEE10hipError_tT1_PNSt15iterator_traitsISC_E10value_typeET2_T3_PNSD_ISI_E10value_typeET4_T5_PSN_SO_PNS1_23onesweep_lookback_stateEbbT6_jjT7_P12ihipStream_tbENKUlT_T0_SC_SH_E_clIS7_S7_S7_S7_EEDaSV_SW_SC_SH_EUlSV_E_NS1_11comp_targetILNS1_3genE8ELNS1_11target_archE1030ELNS1_3gpuE2ELNS1_3repE0EEENS1_47radix_sort_onesweep_sort_config_static_selectorELNS0_4arch9wavefront6targetE1EEEvSC_,"axG",@progbits,_ZN7rocprim17ROCPRIM_400000_NS6detail17trampoline_kernelINS0_14default_configENS1_35radix_sort_onesweep_config_selectorIiiEEZZNS1_29radix_sort_onesweep_iterationIS3_Lb0EPiS7_S7_S7_jNS0_19identity_decomposerENS1_16block_id_wrapperIjLb0EEEEE10hipError_tT1_PNSt15iterator_traitsISC_E10value_typeET2_T3_PNSD_ISI_E10value_typeET4_T5_PSN_SO_PNS1_23onesweep_lookback_stateEbbT6_jjT7_P12ihipStream_tbENKUlT_T0_SC_SH_E_clIS7_S7_S7_S7_EEDaSV_SW_SC_SH_EUlSV_E_NS1_11comp_targetILNS1_3genE8ELNS1_11target_archE1030ELNS1_3gpuE2ELNS1_3repE0EEENS1_47radix_sort_onesweep_sort_config_static_selectorELNS0_4arch9wavefront6targetE1EEEvSC_,comdat
	.protected	_ZN7rocprim17ROCPRIM_400000_NS6detail17trampoline_kernelINS0_14default_configENS1_35radix_sort_onesweep_config_selectorIiiEEZZNS1_29radix_sort_onesweep_iterationIS3_Lb0EPiS7_S7_S7_jNS0_19identity_decomposerENS1_16block_id_wrapperIjLb0EEEEE10hipError_tT1_PNSt15iterator_traitsISC_E10value_typeET2_T3_PNSD_ISI_E10value_typeET4_T5_PSN_SO_PNS1_23onesweep_lookback_stateEbbT6_jjT7_P12ihipStream_tbENKUlT_T0_SC_SH_E_clIS7_S7_S7_S7_EEDaSV_SW_SC_SH_EUlSV_E_NS1_11comp_targetILNS1_3genE8ELNS1_11target_archE1030ELNS1_3gpuE2ELNS1_3repE0EEENS1_47radix_sort_onesweep_sort_config_static_selectorELNS0_4arch9wavefront6targetE1EEEvSC_ ; -- Begin function _ZN7rocprim17ROCPRIM_400000_NS6detail17trampoline_kernelINS0_14default_configENS1_35radix_sort_onesweep_config_selectorIiiEEZZNS1_29radix_sort_onesweep_iterationIS3_Lb0EPiS7_S7_S7_jNS0_19identity_decomposerENS1_16block_id_wrapperIjLb0EEEEE10hipError_tT1_PNSt15iterator_traitsISC_E10value_typeET2_T3_PNSD_ISI_E10value_typeET4_T5_PSN_SO_PNS1_23onesweep_lookback_stateEbbT6_jjT7_P12ihipStream_tbENKUlT_T0_SC_SH_E_clIS7_S7_S7_S7_EEDaSV_SW_SC_SH_EUlSV_E_NS1_11comp_targetILNS1_3genE8ELNS1_11target_archE1030ELNS1_3gpuE2ELNS1_3repE0EEENS1_47radix_sort_onesweep_sort_config_static_selectorELNS0_4arch9wavefront6targetE1EEEvSC_
	.globl	_ZN7rocprim17ROCPRIM_400000_NS6detail17trampoline_kernelINS0_14default_configENS1_35radix_sort_onesweep_config_selectorIiiEEZZNS1_29radix_sort_onesweep_iterationIS3_Lb0EPiS7_S7_S7_jNS0_19identity_decomposerENS1_16block_id_wrapperIjLb0EEEEE10hipError_tT1_PNSt15iterator_traitsISC_E10value_typeET2_T3_PNSD_ISI_E10value_typeET4_T5_PSN_SO_PNS1_23onesweep_lookback_stateEbbT6_jjT7_P12ihipStream_tbENKUlT_T0_SC_SH_E_clIS7_S7_S7_S7_EEDaSV_SW_SC_SH_EUlSV_E_NS1_11comp_targetILNS1_3genE8ELNS1_11target_archE1030ELNS1_3gpuE2ELNS1_3repE0EEENS1_47radix_sort_onesweep_sort_config_static_selectorELNS0_4arch9wavefront6targetE1EEEvSC_
	.p2align	8
	.type	_ZN7rocprim17ROCPRIM_400000_NS6detail17trampoline_kernelINS0_14default_configENS1_35radix_sort_onesweep_config_selectorIiiEEZZNS1_29radix_sort_onesweep_iterationIS3_Lb0EPiS7_S7_S7_jNS0_19identity_decomposerENS1_16block_id_wrapperIjLb0EEEEE10hipError_tT1_PNSt15iterator_traitsISC_E10value_typeET2_T3_PNSD_ISI_E10value_typeET4_T5_PSN_SO_PNS1_23onesweep_lookback_stateEbbT6_jjT7_P12ihipStream_tbENKUlT_T0_SC_SH_E_clIS7_S7_S7_S7_EEDaSV_SW_SC_SH_EUlSV_E_NS1_11comp_targetILNS1_3genE8ELNS1_11target_archE1030ELNS1_3gpuE2ELNS1_3repE0EEENS1_47radix_sort_onesweep_sort_config_static_selectorELNS0_4arch9wavefront6targetE1EEEvSC_,@function
_ZN7rocprim17ROCPRIM_400000_NS6detail17trampoline_kernelINS0_14default_configENS1_35radix_sort_onesweep_config_selectorIiiEEZZNS1_29radix_sort_onesweep_iterationIS3_Lb0EPiS7_S7_S7_jNS0_19identity_decomposerENS1_16block_id_wrapperIjLb0EEEEE10hipError_tT1_PNSt15iterator_traitsISC_E10value_typeET2_T3_PNSD_ISI_E10value_typeET4_T5_PSN_SO_PNS1_23onesweep_lookback_stateEbbT6_jjT7_P12ihipStream_tbENKUlT_T0_SC_SH_E_clIS7_S7_S7_S7_EEDaSV_SW_SC_SH_EUlSV_E_NS1_11comp_targetILNS1_3genE8ELNS1_11target_archE1030ELNS1_3gpuE2ELNS1_3repE0EEENS1_47radix_sort_onesweep_sort_config_static_selectorELNS0_4arch9wavefront6targetE1EEEvSC_: ; @_ZN7rocprim17ROCPRIM_400000_NS6detail17trampoline_kernelINS0_14default_configENS1_35radix_sort_onesweep_config_selectorIiiEEZZNS1_29radix_sort_onesweep_iterationIS3_Lb0EPiS7_S7_S7_jNS0_19identity_decomposerENS1_16block_id_wrapperIjLb0EEEEE10hipError_tT1_PNSt15iterator_traitsISC_E10value_typeET2_T3_PNSD_ISI_E10value_typeET4_T5_PSN_SO_PNS1_23onesweep_lookback_stateEbbT6_jjT7_P12ihipStream_tbENKUlT_T0_SC_SH_E_clIS7_S7_S7_S7_EEDaSV_SW_SC_SH_EUlSV_E_NS1_11comp_targetILNS1_3genE8ELNS1_11target_archE1030ELNS1_3gpuE2ELNS1_3repE0EEENS1_47radix_sort_onesweep_sort_config_static_selectorELNS0_4arch9wavefront6targetE1EEEvSC_
; %bb.0:
	.section	.rodata,"a",@progbits
	.p2align	6, 0x0
	.amdhsa_kernel _ZN7rocprim17ROCPRIM_400000_NS6detail17trampoline_kernelINS0_14default_configENS1_35radix_sort_onesweep_config_selectorIiiEEZZNS1_29radix_sort_onesweep_iterationIS3_Lb0EPiS7_S7_S7_jNS0_19identity_decomposerENS1_16block_id_wrapperIjLb0EEEEE10hipError_tT1_PNSt15iterator_traitsISC_E10value_typeET2_T3_PNSD_ISI_E10value_typeET4_T5_PSN_SO_PNS1_23onesweep_lookback_stateEbbT6_jjT7_P12ihipStream_tbENKUlT_T0_SC_SH_E_clIS7_S7_S7_S7_EEDaSV_SW_SC_SH_EUlSV_E_NS1_11comp_targetILNS1_3genE8ELNS1_11target_archE1030ELNS1_3gpuE2ELNS1_3repE0EEENS1_47radix_sort_onesweep_sort_config_static_selectorELNS0_4arch9wavefront6targetE1EEEvSC_
		.amdhsa_group_segment_fixed_size 0
		.amdhsa_private_segment_fixed_size 0
		.amdhsa_kernarg_size 88
		.amdhsa_user_sgpr_count 6
		.amdhsa_user_sgpr_private_segment_buffer 1
		.amdhsa_user_sgpr_dispatch_ptr 0
		.amdhsa_user_sgpr_queue_ptr 0
		.amdhsa_user_sgpr_kernarg_segment_ptr 1
		.amdhsa_user_sgpr_dispatch_id 0
		.amdhsa_user_sgpr_flat_scratch_init 0
		.amdhsa_user_sgpr_kernarg_preload_length 0
		.amdhsa_user_sgpr_kernarg_preload_offset 0
		.amdhsa_user_sgpr_private_segment_size 0
		.amdhsa_uses_dynamic_stack 0
		.amdhsa_system_sgpr_private_segment_wavefront_offset 0
		.amdhsa_system_sgpr_workgroup_id_x 1
		.amdhsa_system_sgpr_workgroup_id_y 0
		.amdhsa_system_sgpr_workgroup_id_z 0
		.amdhsa_system_sgpr_workgroup_info 0
		.amdhsa_system_vgpr_workitem_id 0
		.amdhsa_next_free_vgpr 1
		.amdhsa_next_free_sgpr 0
		.amdhsa_accum_offset 4
		.amdhsa_reserve_vcc 0
		.amdhsa_reserve_flat_scratch 0
		.amdhsa_float_round_mode_32 0
		.amdhsa_float_round_mode_16_64 0
		.amdhsa_float_denorm_mode_32 3
		.amdhsa_float_denorm_mode_16_64 3
		.amdhsa_dx10_clamp 1
		.amdhsa_ieee_mode 1
		.amdhsa_fp16_overflow 0
		.amdhsa_tg_split 0
		.amdhsa_exception_fp_ieee_invalid_op 0
		.amdhsa_exception_fp_denorm_src 0
		.amdhsa_exception_fp_ieee_div_zero 0
		.amdhsa_exception_fp_ieee_overflow 0
		.amdhsa_exception_fp_ieee_underflow 0
		.amdhsa_exception_fp_ieee_inexact 0
		.amdhsa_exception_int_div_zero 0
	.end_amdhsa_kernel
	.section	.text._ZN7rocprim17ROCPRIM_400000_NS6detail17trampoline_kernelINS0_14default_configENS1_35radix_sort_onesweep_config_selectorIiiEEZZNS1_29radix_sort_onesweep_iterationIS3_Lb0EPiS7_S7_S7_jNS0_19identity_decomposerENS1_16block_id_wrapperIjLb0EEEEE10hipError_tT1_PNSt15iterator_traitsISC_E10value_typeET2_T3_PNSD_ISI_E10value_typeET4_T5_PSN_SO_PNS1_23onesweep_lookback_stateEbbT6_jjT7_P12ihipStream_tbENKUlT_T0_SC_SH_E_clIS7_S7_S7_S7_EEDaSV_SW_SC_SH_EUlSV_E_NS1_11comp_targetILNS1_3genE8ELNS1_11target_archE1030ELNS1_3gpuE2ELNS1_3repE0EEENS1_47radix_sort_onesweep_sort_config_static_selectorELNS0_4arch9wavefront6targetE1EEEvSC_,"axG",@progbits,_ZN7rocprim17ROCPRIM_400000_NS6detail17trampoline_kernelINS0_14default_configENS1_35radix_sort_onesweep_config_selectorIiiEEZZNS1_29radix_sort_onesweep_iterationIS3_Lb0EPiS7_S7_S7_jNS0_19identity_decomposerENS1_16block_id_wrapperIjLb0EEEEE10hipError_tT1_PNSt15iterator_traitsISC_E10value_typeET2_T3_PNSD_ISI_E10value_typeET4_T5_PSN_SO_PNS1_23onesweep_lookback_stateEbbT6_jjT7_P12ihipStream_tbENKUlT_T0_SC_SH_E_clIS7_S7_S7_S7_EEDaSV_SW_SC_SH_EUlSV_E_NS1_11comp_targetILNS1_3genE8ELNS1_11target_archE1030ELNS1_3gpuE2ELNS1_3repE0EEENS1_47radix_sort_onesweep_sort_config_static_selectorELNS0_4arch9wavefront6targetE1EEEvSC_,comdat
.Lfunc_end384:
	.size	_ZN7rocprim17ROCPRIM_400000_NS6detail17trampoline_kernelINS0_14default_configENS1_35radix_sort_onesweep_config_selectorIiiEEZZNS1_29radix_sort_onesweep_iterationIS3_Lb0EPiS7_S7_S7_jNS0_19identity_decomposerENS1_16block_id_wrapperIjLb0EEEEE10hipError_tT1_PNSt15iterator_traitsISC_E10value_typeET2_T3_PNSD_ISI_E10value_typeET4_T5_PSN_SO_PNS1_23onesweep_lookback_stateEbbT6_jjT7_P12ihipStream_tbENKUlT_T0_SC_SH_E_clIS7_S7_S7_S7_EEDaSV_SW_SC_SH_EUlSV_E_NS1_11comp_targetILNS1_3genE8ELNS1_11target_archE1030ELNS1_3gpuE2ELNS1_3repE0EEENS1_47radix_sort_onesweep_sort_config_static_selectorELNS0_4arch9wavefront6targetE1EEEvSC_, .Lfunc_end384-_ZN7rocprim17ROCPRIM_400000_NS6detail17trampoline_kernelINS0_14default_configENS1_35radix_sort_onesweep_config_selectorIiiEEZZNS1_29radix_sort_onesweep_iterationIS3_Lb0EPiS7_S7_S7_jNS0_19identity_decomposerENS1_16block_id_wrapperIjLb0EEEEE10hipError_tT1_PNSt15iterator_traitsISC_E10value_typeET2_T3_PNSD_ISI_E10value_typeET4_T5_PSN_SO_PNS1_23onesweep_lookback_stateEbbT6_jjT7_P12ihipStream_tbENKUlT_T0_SC_SH_E_clIS7_S7_S7_S7_EEDaSV_SW_SC_SH_EUlSV_E_NS1_11comp_targetILNS1_3genE8ELNS1_11target_archE1030ELNS1_3gpuE2ELNS1_3repE0EEENS1_47radix_sort_onesweep_sort_config_static_selectorELNS0_4arch9wavefront6targetE1EEEvSC_
                                        ; -- End function
	.section	.AMDGPU.csdata,"",@progbits
; Kernel info:
; codeLenInByte = 0
; NumSgprs: 4
; NumVgprs: 0
; NumAgprs: 0
; TotalNumVgprs: 0
; ScratchSize: 0
; MemoryBound: 0
; FloatMode: 240
; IeeeMode: 1
; LDSByteSize: 0 bytes/workgroup (compile time only)
; SGPRBlocks: 0
; VGPRBlocks: 0
; NumSGPRsForWavesPerEU: 4
; NumVGPRsForWavesPerEU: 1
; AccumOffset: 4
; Occupancy: 8
; WaveLimiterHint : 0
; COMPUTE_PGM_RSRC2:SCRATCH_EN: 0
; COMPUTE_PGM_RSRC2:USER_SGPR: 6
; COMPUTE_PGM_RSRC2:TRAP_HANDLER: 0
; COMPUTE_PGM_RSRC2:TGID_X_EN: 1
; COMPUTE_PGM_RSRC2:TGID_Y_EN: 0
; COMPUTE_PGM_RSRC2:TGID_Z_EN: 0
; COMPUTE_PGM_RSRC2:TIDIG_COMP_CNT: 0
; COMPUTE_PGM_RSRC3_GFX90A:ACCUM_OFFSET: 0
; COMPUTE_PGM_RSRC3_GFX90A:TG_SPLIT: 0
	.section	.text._ZN7rocprim17ROCPRIM_400000_NS6detail17trampoline_kernelINS0_14default_configENS1_22reduce_config_selectorIiEEZNS1_11reduce_implILb1ES3_PiS7_iN6thrust23THRUST_200600_302600_NS7maximumIiEEEE10hipError_tPvRmT1_T2_T3_mT4_P12ihipStream_tbEUlT_E0_NS1_11comp_targetILNS1_3genE0ELNS1_11target_archE4294967295ELNS1_3gpuE0ELNS1_3repE0EEENS1_30default_config_static_selectorELNS0_4arch9wavefront6targetE1EEEvSF_,"axG",@progbits,_ZN7rocprim17ROCPRIM_400000_NS6detail17trampoline_kernelINS0_14default_configENS1_22reduce_config_selectorIiEEZNS1_11reduce_implILb1ES3_PiS7_iN6thrust23THRUST_200600_302600_NS7maximumIiEEEE10hipError_tPvRmT1_T2_T3_mT4_P12ihipStream_tbEUlT_E0_NS1_11comp_targetILNS1_3genE0ELNS1_11target_archE4294967295ELNS1_3gpuE0ELNS1_3repE0EEENS1_30default_config_static_selectorELNS0_4arch9wavefront6targetE1EEEvSF_,comdat
	.protected	_ZN7rocprim17ROCPRIM_400000_NS6detail17trampoline_kernelINS0_14default_configENS1_22reduce_config_selectorIiEEZNS1_11reduce_implILb1ES3_PiS7_iN6thrust23THRUST_200600_302600_NS7maximumIiEEEE10hipError_tPvRmT1_T2_T3_mT4_P12ihipStream_tbEUlT_E0_NS1_11comp_targetILNS1_3genE0ELNS1_11target_archE4294967295ELNS1_3gpuE0ELNS1_3repE0EEENS1_30default_config_static_selectorELNS0_4arch9wavefront6targetE1EEEvSF_ ; -- Begin function _ZN7rocprim17ROCPRIM_400000_NS6detail17trampoline_kernelINS0_14default_configENS1_22reduce_config_selectorIiEEZNS1_11reduce_implILb1ES3_PiS7_iN6thrust23THRUST_200600_302600_NS7maximumIiEEEE10hipError_tPvRmT1_T2_T3_mT4_P12ihipStream_tbEUlT_E0_NS1_11comp_targetILNS1_3genE0ELNS1_11target_archE4294967295ELNS1_3gpuE0ELNS1_3repE0EEENS1_30default_config_static_selectorELNS0_4arch9wavefront6targetE1EEEvSF_
	.globl	_ZN7rocprim17ROCPRIM_400000_NS6detail17trampoline_kernelINS0_14default_configENS1_22reduce_config_selectorIiEEZNS1_11reduce_implILb1ES3_PiS7_iN6thrust23THRUST_200600_302600_NS7maximumIiEEEE10hipError_tPvRmT1_T2_T3_mT4_P12ihipStream_tbEUlT_E0_NS1_11comp_targetILNS1_3genE0ELNS1_11target_archE4294967295ELNS1_3gpuE0ELNS1_3repE0EEENS1_30default_config_static_selectorELNS0_4arch9wavefront6targetE1EEEvSF_
	.p2align	8
	.type	_ZN7rocprim17ROCPRIM_400000_NS6detail17trampoline_kernelINS0_14default_configENS1_22reduce_config_selectorIiEEZNS1_11reduce_implILb1ES3_PiS7_iN6thrust23THRUST_200600_302600_NS7maximumIiEEEE10hipError_tPvRmT1_T2_T3_mT4_P12ihipStream_tbEUlT_E0_NS1_11comp_targetILNS1_3genE0ELNS1_11target_archE4294967295ELNS1_3gpuE0ELNS1_3repE0EEENS1_30default_config_static_selectorELNS0_4arch9wavefront6targetE1EEEvSF_,@function
_ZN7rocprim17ROCPRIM_400000_NS6detail17trampoline_kernelINS0_14default_configENS1_22reduce_config_selectorIiEEZNS1_11reduce_implILb1ES3_PiS7_iN6thrust23THRUST_200600_302600_NS7maximumIiEEEE10hipError_tPvRmT1_T2_T3_mT4_P12ihipStream_tbEUlT_E0_NS1_11comp_targetILNS1_3genE0ELNS1_11target_archE4294967295ELNS1_3gpuE0ELNS1_3repE0EEENS1_30default_config_static_selectorELNS0_4arch9wavefront6targetE1EEEvSF_: ; @_ZN7rocprim17ROCPRIM_400000_NS6detail17trampoline_kernelINS0_14default_configENS1_22reduce_config_selectorIiEEZNS1_11reduce_implILb1ES3_PiS7_iN6thrust23THRUST_200600_302600_NS7maximumIiEEEE10hipError_tPvRmT1_T2_T3_mT4_P12ihipStream_tbEUlT_E0_NS1_11comp_targetILNS1_3genE0ELNS1_11target_archE4294967295ELNS1_3gpuE0ELNS1_3repE0EEENS1_30default_config_static_selectorELNS0_4arch9wavefront6targetE1EEEvSF_
; %bb.0:
	.section	.rodata,"a",@progbits
	.p2align	6, 0x0
	.amdhsa_kernel _ZN7rocprim17ROCPRIM_400000_NS6detail17trampoline_kernelINS0_14default_configENS1_22reduce_config_selectorIiEEZNS1_11reduce_implILb1ES3_PiS7_iN6thrust23THRUST_200600_302600_NS7maximumIiEEEE10hipError_tPvRmT1_T2_T3_mT4_P12ihipStream_tbEUlT_E0_NS1_11comp_targetILNS1_3genE0ELNS1_11target_archE4294967295ELNS1_3gpuE0ELNS1_3repE0EEENS1_30default_config_static_selectorELNS0_4arch9wavefront6targetE1EEEvSF_
		.amdhsa_group_segment_fixed_size 0
		.amdhsa_private_segment_fixed_size 0
		.amdhsa_kernarg_size 56
		.amdhsa_user_sgpr_count 6
		.amdhsa_user_sgpr_private_segment_buffer 1
		.amdhsa_user_sgpr_dispatch_ptr 0
		.amdhsa_user_sgpr_queue_ptr 0
		.amdhsa_user_sgpr_kernarg_segment_ptr 1
		.amdhsa_user_sgpr_dispatch_id 0
		.amdhsa_user_sgpr_flat_scratch_init 0
		.amdhsa_user_sgpr_kernarg_preload_length 0
		.amdhsa_user_sgpr_kernarg_preload_offset 0
		.amdhsa_user_sgpr_private_segment_size 0
		.amdhsa_uses_dynamic_stack 0
		.amdhsa_system_sgpr_private_segment_wavefront_offset 0
		.amdhsa_system_sgpr_workgroup_id_x 1
		.amdhsa_system_sgpr_workgroup_id_y 0
		.amdhsa_system_sgpr_workgroup_id_z 0
		.amdhsa_system_sgpr_workgroup_info 0
		.amdhsa_system_vgpr_workitem_id 0
		.amdhsa_next_free_vgpr 1
		.amdhsa_next_free_sgpr 0
		.amdhsa_accum_offset 4
		.amdhsa_reserve_vcc 0
		.amdhsa_reserve_flat_scratch 0
		.amdhsa_float_round_mode_32 0
		.amdhsa_float_round_mode_16_64 0
		.amdhsa_float_denorm_mode_32 3
		.amdhsa_float_denorm_mode_16_64 3
		.amdhsa_dx10_clamp 1
		.amdhsa_ieee_mode 1
		.amdhsa_fp16_overflow 0
		.amdhsa_tg_split 0
		.amdhsa_exception_fp_ieee_invalid_op 0
		.amdhsa_exception_fp_denorm_src 0
		.amdhsa_exception_fp_ieee_div_zero 0
		.amdhsa_exception_fp_ieee_overflow 0
		.amdhsa_exception_fp_ieee_underflow 0
		.amdhsa_exception_fp_ieee_inexact 0
		.amdhsa_exception_int_div_zero 0
	.end_amdhsa_kernel
	.section	.text._ZN7rocprim17ROCPRIM_400000_NS6detail17trampoline_kernelINS0_14default_configENS1_22reduce_config_selectorIiEEZNS1_11reduce_implILb1ES3_PiS7_iN6thrust23THRUST_200600_302600_NS7maximumIiEEEE10hipError_tPvRmT1_T2_T3_mT4_P12ihipStream_tbEUlT_E0_NS1_11comp_targetILNS1_3genE0ELNS1_11target_archE4294967295ELNS1_3gpuE0ELNS1_3repE0EEENS1_30default_config_static_selectorELNS0_4arch9wavefront6targetE1EEEvSF_,"axG",@progbits,_ZN7rocprim17ROCPRIM_400000_NS6detail17trampoline_kernelINS0_14default_configENS1_22reduce_config_selectorIiEEZNS1_11reduce_implILb1ES3_PiS7_iN6thrust23THRUST_200600_302600_NS7maximumIiEEEE10hipError_tPvRmT1_T2_T3_mT4_P12ihipStream_tbEUlT_E0_NS1_11comp_targetILNS1_3genE0ELNS1_11target_archE4294967295ELNS1_3gpuE0ELNS1_3repE0EEENS1_30default_config_static_selectorELNS0_4arch9wavefront6targetE1EEEvSF_,comdat
.Lfunc_end385:
	.size	_ZN7rocprim17ROCPRIM_400000_NS6detail17trampoline_kernelINS0_14default_configENS1_22reduce_config_selectorIiEEZNS1_11reduce_implILb1ES3_PiS7_iN6thrust23THRUST_200600_302600_NS7maximumIiEEEE10hipError_tPvRmT1_T2_T3_mT4_P12ihipStream_tbEUlT_E0_NS1_11comp_targetILNS1_3genE0ELNS1_11target_archE4294967295ELNS1_3gpuE0ELNS1_3repE0EEENS1_30default_config_static_selectorELNS0_4arch9wavefront6targetE1EEEvSF_, .Lfunc_end385-_ZN7rocprim17ROCPRIM_400000_NS6detail17trampoline_kernelINS0_14default_configENS1_22reduce_config_selectorIiEEZNS1_11reduce_implILb1ES3_PiS7_iN6thrust23THRUST_200600_302600_NS7maximumIiEEEE10hipError_tPvRmT1_T2_T3_mT4_P12ihipStream_tbEUlT_E0_NS1_11comp_targetILNS1_3genE0ELNS1_11target_archE4294967295ELNS1_3gpuE0ELNS1_3repE0EEENS1_30default_config_static_selectorELNS0_4arch9wavefront6targetE1EEEvSF_
                                        ; -- End function
	.section	.AMDGPU.csdata,"",@progbits
; Kernel info:
; codeLenInByte = 0
; NumSgprs: 4
; NumVgprs: 0
; NumAgprs: 0
; TotalNumVgprs: 0
; ScratchSize: 0
; MemoryBound: 0
; FloatMode: 240
; IeeeMode: 1
; LDSByteSize: 0 bytes/workgroup (compile time only)
; SGPRBlocks: 0
; VGPRBlocks: 0
; NumSGPRsForWavesPerEU: 4
; NumVGPRsForWavesPerEU: 1
; AccumOffset: 4
; Occupancy: 8
; WaveLimiterHint : 0
; COMPUTE_PGM_RSRC2:SCRATCH_EN: 0
; COMPUTE_PGM_RSRC2:USER_SGPR: 6
; COMPUTE_PGM_RSRC2:TRAP_HANDLER: 0
; COMPUTE_PGM_RSRC2:TGID_X_EN: 1
; COMPUTE_PGM_RSRC2:TGID_Y_EN: 0
; COMPUTE_PGM_RSRC2:TGID_Z_EN: 0
; COMPUTE_PGM_RSRC2:TIDIG_COMP_CNT: 0
; COMPUTE_PGM_RSRC3_GFX90A:ACCUM_OFFSET: 0
; COMPUTE_PGM_RSRC3_GFX90A:TG_SPLIT: 0
	.section	.text._ZN7rocprim17ROCPRIM_400000_NS6detail17trampoline_kernelINS0_14default_configENS1_22reduce_config_selectorIiEEZNS1_11reduce_implILb1ES3_PiS7_iN6thrust23THRUST_200600_302600_NS7maximumIiEEEE10hipError_tPvRmT1_T2_T3_mT4_P12ihipStream_tbEUlT_E0_NS1_11comp_targetILNS1_3genE5ELNS1_11target_archE942ELNS1_3gpuE9ELNS1_3repE0EEENS1_30default_config_static_selectorELNS0_4arch9wavefront6targetE1EEEvSF_,"axG",@progbits,_ZN7rocprim17ROCPRIM_400000_NS6detail17trampoline_kernelINS0_14default_configENS1_22reduce_config_selectorIiEEZNS1_11reduce_implILb1ES3_PiS7_iN6thrust23THRUST_200600_302600_NS7maximumIiEEEE10hipError_tPvRmT1_T2_T3_mT4_P12ihipStream_tbEUlT_E0_NS1_11comp_targetILNS1_3genE5ELNS1_11target_archE942ELNS1_3gpuE9ELNS1_3repE0EEENS1_30default_config_static_selectorELNS0_4arch9wavefront6targetE1EEEvSF_,comdat
	.protected	_ZN7rocprim17ROCPRIM_400000_NS6detail17trampoline_kernelINS0_14default_configENS1_22reduce_config_selectorIiEEZNS1_11reduce_implILb1ES3_PiS7_iN6thrust23THRUST_200600_302600_NS7maximumIiEEEE10hipError_tPvRmT1_T2_T3_mT4_P12ihipStream_tbEUlT_E0_NS1_11comp_targetILNS1_3genE5ELNS1_11target_archE942ELNS1_3gpuE9ELNS1_3repE0EEENS1_30default_config_static_selectorELNS0_4arch9wavefront6targetE1EEEvSF_ ; -- Begin function _ZN7rocprim17ROCPRIM_400000_NS6detail17trampoline_kernelINS0_14default_configENS1_22reduce_config_selectorIiEEZNS1_11reduce_implILb1ES3_PiS7_iN6thrust23THRUST_200600_302600_NS7maximumIiEEEE10hipError_tPvRmT1_T2_T3_mT4_P12ihipStream_tbEUlT_E0_NS1_11comp_targetILNS1_3genE5ELNS1_11target_archE942ELNS1_3gpuE9ELNS1_3repE0EEENS1_30default_config_static_selectorELNS0_4arch9wavefront6targetE1EEEvSF_
	.globl	_ZN7rocprim17ROCPRIM_400000_NS6detail17trampoline_kernelINS0_14default_configENS1_22reduce_config_selectorIiEEZNS1_11reduce_implILb1ES3_PiS7_iN6thrust23THRUST_200600_302600_NS7maximumIiEEEE10hipError_tPvRmT1_T2_T3_mT4_P12ihipStream_tbEUlT_E0_NS1_11comp_targetILNS1_3genE5ELNS1_11target_archE942ELNS1_3gpuE9ELNS1_3repE0EEENS1_30default_config_static_selectorELNS0_4arch9wavefront6targetE1EEEvSF_
	.p2align	8
	.type	_ZN7rocprim17ROCPRIM_400000_NS6detail17trampoline_kernelINS0_14default_configENS1_22reduce_config_selectorIiEEZNS1_11reduce_implILb1ES3_PiS7_iN6thrust23THRUST_200600_302600_NS7maximumIiEEEE10hipError_tPvRmT1_T2_T3_mT4_P12ihipStream_tbEUlT_E0_NS1_11comp_targetILNS1_3genE5ELNS1_11target_archE942ELNS1_3gpuE9ELNS1_3repE0EEENS1_30default_config_static_selectorELNS0_4arch9wavefront6targetE1EEEvSF_,@function
_ZN7rocprim17ROCPRIM_400000_NS6detail17trampoline_kernelINS0_14default_configENS1_22reduce_config_selectorIiEEZNS1_11reduce_implILb1ES3_PiS7_iN6thrust23THRUST_200600_302600_NS7maximumIiEEEE10hipError_tPvRmT1_T2_T3_mT4_P12ihipStream_tbEUlT_E0_NS1_11comp_targetILNS1_3genE5ELNS1_11target_archE942ELNS1_3gpuE9ELNS1_3repE0EEENS1_30default_config_static_selectorELNS0_4arch9wavefront6targetE1EEEvSF_: ; @_ZN7rocprim17ROCPRIM_400000_NS6detail17trampoline_kernelINS0_14default_configENS1_22reduce_config_selectorIiEEZNS1_11reduce_implILb1ES3_PiS7_iN6thrust23THRUST_200600_302600_NS7maximumIiEEEE10hipError_tPvRmT1_T2_T3_mT4_P12ihipStream_tbEUlT_E0_NS1_11comp_targetILNS1_3genE5ELNS1_11target_archE942ELNS1_3gpuE9ELNS1_3repE0EEENS1_30default_config_static_selectorELNS0_4arch9wavefront6targetE1EEEvSF_
; %bb.0:
	.section	.rodata,"a",@progbits
	.p2align	6, 0x0
	.amdhsa_kernel _ZN7rocprim17ROCPRIM_400000_NS6detail17trampoline_kernelINS0_14default_configENS1_22reduce_config_selectorIiEEZNS1_11reduce_implILb1ES3_PiS7_iN6thrust23THRUST_200600_302600_NS7maximumIiEEEE10hipError_tPvRmT1_T2_T3_mT4_P12ihipStream_tbEUlT_E0_NS1_11comp_targetILNS1_3genE5ELNS1_11target_archE942ELNS1_3gpuE9ELNS1_3repE0EEENS1_30default_config_static_selectorELNS0_4arch9wavefront6targetE1EEEvSF_
		.amdhsa_group_segment_fixed_size 0
		.amdhsa_private_segment_fixed_size 0
		.amdhsa_kernarg_size 56
		.amdhsa_user_sgpr_count 6
		.amdhsa_user_sgpr_private_segment_buffer 1
		.amdhsa_user_sgpr_dispatch_ptr 0
		.amdhsa_user_sgpr_queue_ptr 0
		.amdhsa_user_sgpr_kernarg_segment_ptr 1
		.amdhsa_user_sgpr_dispatch_id 0
		.amdhsa_user_sgpr_flat_scratch_init 0
		.amdhsa_user_sgpr_kernarg_preload_length 0
		.amdhsa_user_sgpr_kernarg_preload_offset 0
		.amdhsa_user_sgpr_private_segment_size 0
		.amdhsa_uses_dynamic_stack 0
		.amdhsa_system_sgpr_private_segment_wavefront_offset 0
		.amdhsa_system_sgpr_workgroup_id_x 1
		.amdhsa_system_sgpr_workgroup_id_y 0
		.amdhsa_system_sgpr_workgroup_id_z 0
		.amdhsa_system_sgpr_workgroup_info 0
		.amdhsa_system_vgpr_workitem_id 0
		.amdhsa_next_free_vgpr 1
		.amdhsa_next_free_sgpr 0
		.amdhsa_accum_offset 4
		.amdhsa_reserve_vcc 0
		.amdhsa_reserve_flat_scratch 0
		.amdhsa_float_round_mode_32 0
		.amdhsa_float_round_mode_16_64 0
		.amdhsa_float_denorm_mode_32 3
		.amdhsa_float_denorm_mode_16_64 3
		.amdhsa_dx10_clamp 1
		.amdhsa_ieee_mode 1
		.amdhsa_fp16_overflow 0
		.amdhsa_tg_split 0
		.amdhsa_exception_fp_ieee_invalid_op 0
		.amdhsa_exception_fp_denorm_src 0
		.amdhsa_exception_fp_ieee_div_zero 0
		.amdhsa_exception_fp_ieee_overflow 0
		.amdhsa_exception_fp_ieee_underflow 0
		.amdhsa_exception_fp_ieee_inexact 0
		.amdhsa_exception_int_div_zero 0
	.end_amdhsa_kernel
	.section	.text._ZN7rocprim17ROCPRIM_400000_NS6detail17trampoline_kernelINS0_14default_configENS1_22reduce_config_selectorIiEEZNS1_11reduce_implILb1ES3_PiS7_iN6thrust23THRUST_200600_302600_NS7maximumIiEEEE10hipError_tPvRmT1_T2_T3_mT4_P12ihipStream_tbEUlT_E0_NS1_11comp_targetILNS1_3genE5ELNS1_11target_archE942ELNS1_3gpuE9ELNS1_3repE0EEENS1_30default_config_static_selectorELNS0_4arch9wavefront6targetE1EEEvSF_,"axG",@progbits,_ZN7rocprim17ROCPRIM_400000_NS6detail17trampoline_kernelINS0_14default_configENS1_22reduce_config_selectorIiEEZNS1_11reduce_implILb1ES3_PiS7_iN6thrust23THRUST_200600_302600_NS7maximumIiEEEE10hipError_tPvRmT1_T2_T3_mT4_P12ihipStream_tbEUlT_E0_NS1_11comp_targetILNS1_3genE5ELNS1_11target_archE942ELNS1_3gpuE9ELNS1_3repE0EEENS1_30default_config_static_selectorELNS0_4arch9wavefront6targetE1EEEvSF_,comdat
.Lfunc_end386:
	.size	_ZN7rocprim17ROCPRIM_400000_NS6detail17trampoline_kernelINS0_14default_configENS1_22reduce_config_selectorIiEEZNS1_11reduce_implILb1ES3_PiS7_iN6thrust23THRUST_200600_302600_NS7maximumIiEEEE10hipError_tPvRmT1_T2_T3_mT4_P12ihipStream_tbEUlT_E0_NS1_11comp_targetILNS1_3genE5ELNS1_11target_archE942ELNS1_3gpuE9ELNS1_3repE0EEENS1_30default_config_static_selectorELNS0_4arch9wavefront6targetE1EEEvSF_, .Lfunc_end386-_ZN7rocprim17ROCPRIM_400000_NS6detail17trampoline_kernelINS0_14default_configENS1_22reduce_config_selectorIiEEZNS1_11reduce_implILb1ES3_PiS7_iN6thrust23THRUST_200600_302600_NS7maximumIiEEEE10hipError_tPvRmT1_T2_T3_mT4_P12ihipStream_tbEUlT_E0_NS1_11comp_targetILNS1_3genE5ELNS1_11target_archE942ELNS1_3gpuE9ELNS1_3repE0EEENS1_30default_config_static_selectorELNS0_4arch9wavefront6targetE1EEEvSF_
                                        ; -- End function
	.section	.AMDGPU.csdata,"",@progbits
; Kernel info:
; codeLenInByte = 0
; NumSgprs: 4
; NumVgprs: 0
; NumAgprs: 0
; TotalNumVgprs: 0
; ScratchSize: 0
; MemoryBound: 0
; FloatMode: 240
; IeeeMode: 1
; LDSByteSize: 0 bytes/workgroup (compile time only)
; SGPRBlocks: 0
; VGPRBlocks: 0
; NumSGPRsForWavesPerEU: 4
; NumVGPRsForWavesPerEU: 1
; AccumOffset: 4
; Occupancy: 8
; WaveLimiterHint : 0
; COMPUTE_PGM_RSRC2:SCRATCH_EN: 0
; COMPUTE_PGM_RSRC2:USER_SGPR: 6
; COMPUTE_PGM_RSRC2:TRAP_HANDLER: 0
; COMPUTE_PGM_RSRC2:TGID_X_EN: 1
; COMPUTE_PGM_RSRC2:TGID_Y_EN: 0
; COMPUTE_PGM_RSRC2:TGID_Z_EN: 0
; COMPUTE_PGM_RSRC2:TIDIG_COMP_CNT: 0
; COMPUTE_PGM_RSRC3_GFX90A:ACCUM_OFFSET: 0
; COMPUTE_PGM_RSRC3_GFX90A:TG_SPLIT: 0
	.section	.text._ZN7rocprim17ROCPRIM_400000_NS6detail17trampoline_kernelINS0_14default_configENS1_22reduce_config_selectorIiEEZNS1_11reduce_implILb1ES3_PiS7_iN6thrust23THRUST_200600_302600_NS7maximumIiEEEE10hipError_tPvRmT1_T2_T3_mT4_P12ihipStream_tbEUlT_E0_NS1_11comp_targetILNS1_3genE4ELNS1_11target_archE910ELNS1_3gpuE8ELNS1_3repE0EEENS1_30default_config_static_selectorELNS0_4arch9wavefront6targetE1EEEvSF_,"axG",@progbits,_ZN7rocprim17ROCPRIM_400000_NS6detail17trampoline_kernelINS0_14default_configENS1_22reduce_config_selectorIiEEZNS1_11reduce_implILb1ES3_PiS7_iN6thrust23THRUST_200600_302600_NS7maximumIiEEEE10hipError_tPvRmT1_T2_T3_mT4_P12ihipStream_tbEUlT_E0_NS1_11comp_targetILNS1_3genE4ELNS1_11target_archE910ELNS1_3gpuE8ELNS1_3repE0EEENS1_30default_config_static_selectorELNS0_4arch9wavefront6targetE1EEEvSF_,comdat
	.protected	_ZN7rocprim17ROCPRIM_400000_NS6detail17trampoline_kernelINS0_14default_configENS1_22reduce_config_selectorIiEEZNS1_11reduce_implILb1ES3_PiS7_iN6thrust23THRUST_200600_302600_NS7maximumIiEEEE10hipError_tPvRmT1_T2_T3_mT4_P12ihipStream_tbEUlT_E0_NS1_11comp_targetILNS1_3genE4ELNS1_11target_archE910ELNS1_3gpuE8ELNS1_3repE0EEENS1_30default_config_static_selectorELNS0_4arch9wavefront6targetE1EEEvSF_ ; -- Begin function _ZN7rocprim17ROCPRIM_400000_NS6detail17trampoline_kernelINS0_14default_configENS1_22reduce_config_selectorIiEEZNS1_11reduce_implILb1ES3_PiS7_iN6thrust23THRUST_200600_302600_NS7maximumIiEEEE10hipError_tPvRmT1_T2_T3_mT4_P12ihipStream_tbEUlT_E0_NS1_11comp_targetILNS1_3genE4ELNS1_11target_archE910ELNS1_3gpuE8ELNS1_3repE0EEENS1_30default_config_static_selectorELNS0_4arch9wavefront6targetE1EEEvSF_
	.globl	_ZN7rocprim17ROCPRIM_400000_NS6detail17trampoline_kernelINS0_14default_configENS1_22reduce_config_selectorIiEEZNS1_11reduce_implILb1ES3_PiS7_iN6thrust23THRUST_200600_302600_NS7maximumIiEEEE10hipError_tPvRmT1_T2_T3_mT4_P12ihipStream_tbEUlT_E0_NS1_11comp_targetILNS1_3genE4ELNS1_11target_archE910ELNS1_3gpuE8ELNS1_3repE0EEENS1_30default_config_static_selectorELNS0_4arch9wavefront6targetE1EEEvSF_
	.p2align	8
	.type	_ZN7rocprim17ROCPRIM_400000_NS6detail17trampoline_kernelINS0_14default_configENS1_22reduce_config_selectorIiEEZNS1_11reduce_implILb1ES3_PiS7_iN6thrust23THRUST_200600_302600_NS7maximumIiEEEE10hipError_tPvRmT1_T2_T3_mT4_P12ihipStream_tbEUlT_E0_NS1_11comp_targetILNS1_3genE4ELNS1_11target_archE910ELNS1_3gpuE8ELNS1_3repE0EEENS1_30default_config_static_selectorELNS0_4arch9wavefront6targetE1EEEvSF_,@function
_ZN7rocprim17ROCPRIM_400000_NS6detail17trampoline_kernelINS0_14default_configENS1_22reduce_config_selectorIiEEZNS1_11reduce_implILb1ES3_PiS7_iN6thrust23THRUST_200600_302600_NS7maximumIiEEEE10hipError_tPvRmT1_T2_T3_mT4_P12ihipStream_tbEUlT_E0_NS1_11comp_targetILNS1_3genE4ELNS1_11target_archE910ELNS1_3gpuE8ELNS1_3repE0EEENS1_30default_config_static_selectorELNS0_4arch9wavefront6targetE1EEEvSF_: ; @_ZN7rocprim17ROCPRIM_400000_NS6detail17trampoline_kernelINS0_14default_configENS1_22reduce_config_selectorIiEEZNS1_11reduce_implILb1ES3_PiS7_iN6thrust23THRUST_200600_302600_NS7maximumIiEEEE10hipError_tPvRmT1_T2_T3_mT4_P12ihipStream_tbEUlT_E0_NS1_11comp_targetILNS1_3genE4ELNS1_11target_archE910ELNS1_3gpuE8ELNS1_3repE0EEENS1_30default_config_static_selectorELNS0_4arch9wavefront6targetE1EEEvSF_
; %bb.0:
	s_load_dwordx8 s[12:19], s[4:5], 0x0
	s_load_dwordx4 s[20:23], s[4:5], 0x20
	v_lshlrev_b32_e32 v10, 2, v0
	v_mbcnt_lo_u32_b32 v1, -1, 0
	s_waitcnt lgkmcnt(0)
	s_lshl_b64 s[0:1], s[14:15], 2
	s_add_u32 s10, s12, s0
	s_addc_u32 s11, s13, s1
	s_lshl_b32 s0, s6, 10
	s_mov_b32 s1, 0
	s_lshr_b64 s[2:3], s[16:17], 10
	s_lshl_b64 s[8:9], s[0:1], 2
	s_add_u32 s14, s10, s8
	s_mov_b32 s7, s1
	s_addc_u32 s15, s11, s9
	s_cmp_lg_u64 s[2:3], s[6:7]
	s_cbranch_scc0 .LBB387_6
; %bb.1:
	global_load_dword v2, v10, s[14:15]
	global_load_dword v5, v10, s[14:15] offset:512
	global_load_dword v6, v10, s[14:15] offset:1024
	;; [unrolled: 1-line block ×7, first 2 shown]
	v_mbcnt_hi_u32_b32 v3, -1, v1
	v_lshlrev_b32_e32 v4, 2, v3
	v_cmp_eq_u32_e32 vcc, 0, v3
	s_waitcnt vmcnt(6)
	v_max_i32_e32 v2, v2, v5
	v_or_b32_e32 v5, 0xfc, v4
	s_waitcnt vmcnt(4)
	v_max3_i32 v2, v2, v6, v7
	s_waitcnt vmcnt(2)
	v_max3_i32 v2, v2, v8, v9
	;; [unrolled: 2-line block ×3, first 2 shown]
	s_nop 1
	v_max_i32_dpp v2, v2, v2 quad_perm:[1,0,3,2] row_mask:0xf bank_mask:0xf bound_ctrl:1
	s_nop 1
	v_max_i32_dpp v2, v2, v2 quad_perm:[2,3,0,1] row_mask:0xf bank_mask:0xf bound_ctrl:1
	s_nop 1
	v_max_i32_dpp v2, v2, v2 row_ror:4 row_mask:0xf bank_mask:0xf bound_ctrl:1
	s_nop 1
	v_max_i32_dpp v2, v2, v2 row_ror:8 row_mask:0xf bank_mask:0xf bound_ctrl:1
	s_nop 1
	v_max_i32_dpp v2, v2, v2 row_bcast:15 row_mask:0xf bank_mask:0xf bound_ctrl:1
	s_nop 1
	v_max_i32_dpp v2, v2, v2 row_bcast:31 row_mask:0xf bank_mask:0xf bound_ctrl:1
	ds_bpermute_b32 v2, v5, v2
	s_and_saveexec_b64 s[2:3], vcc
	s_cbranch_execz .LBB387_3
; %bb.2:
	v_lshrrev_b32_e32 v5, 4, v0
	v_and_b32_e32 v5, 4, v5
	s_waitcnt lgkmcnt(0)
	ds_write_b32 v5, v2
.LBB387_3:
	s_or_b64 exec, exec, s[2:3]
	v_cmp_gt_u32_e32 vcc, 64, v0
	s_waitcnt lgkmcnt(0)
	s_barrier
	s_and_saveexec_b64 s[2:3], vcc
	s_cbranch_execz .LBB387_5
; %bb.4:
	v_and_b32_e32 v2, 1, v3
	v_lshlrev_b32_e32 v2, 2, v2
	ds_read_b32 v2, v2
	v_or_b32_e32 v3, 4, v4
	s_waitcnt lgkmcnt(0)
	ds_bpermute_b32 v3, v3, v2
	s_waitcnt lgkmcnt(0)
	v_max_i32_e32 v2, v2, v3
.LBB387_5:
	s_or_b64 exec, exec, s[2:3]
	s_load_dword s26, s[4:5], 0x30
	s_branch .LBB387_28
.LBB387_6:
                                        ; implicit-def: $vgpr2
	s_load_dword s26, s[4:5], 0x30
	s_cbranch_execz .LBB387_28
; %bb.7:
	s_sub_i32 s27, s16, s0
	v_cmp_gt_u32_e32 vcc, s27, v0
                                        ; implicit-def: $vgpr2_vgpr3_vgpr4_vgpr5_vgpr6_vgpr7_vgpr8_vgpr9
	s_and_saveexec_b64 s[0:1], vcc
	s_cbranch_execz .LBB387_9
; %bb.8:
	global_load_dword v2, v10, s[14:15]
.LBB387_9:
	s_or_b64 exec, exec, s[0:1]
	v_or_b32_e32 v11, 0x80, v0
	v_cmp_gt_u32_e32 vcc, s27, v11
	s_and_saveexec_b64 s[0:1], vcc
	s_cbranch_execz .LBB387_11
; %bb.10:
	global_load_dword v3, v10, s[14:15] offset:512
.LBB387_11:
	s_or_b64 exec, exec, s[0:1]
	v_or_b32_e32 v11, 0x100, v0
	v_cmp_gt_u32_e64 s[0:1], s27, v11
	s_and_saveexec_b64 s[2:3], s[0:1]
	s_cbranch_execz .LBB387_13
; %bb.12:
	global_load_dword v4, v10, s[14:15] offset:1024
.LBB387_13:
	s_or_b64 exec, exec, s[2:3]
	v_or_b32_e32 v11, 0x180, v0
	v_cmp_gt_u32_e64 s[2:3], s27, v11
	s_and_saveexec_b64 s[4:5], s[2:3]
	;; [unrolled: 8-line block ×6, first 2 shown]
	s_cbranch_execz .LBB387_23
; %bb.22:
	global_load_dword v9, v10, s[14:15] offset:3584
.LBB387_23:
	s_or_b64 exec, exec, s[24:25]
	s_waitcnt vmcnt(0)
	v_max_i32_e32 v3, v2, v3
	v_cndmask_b32_e32 v2, v2, v3, vcc
	v_max_i32_e32 v3, v2, v4
	v_cndmask_b32_e64 v2, v2, v3, s[0:1]
	v_max_i32_e32 v3, v2, v5
	v_cndmask_b32_e64 v2, v2, v3, s[2:3]
	;; [unrolled: 2-line block ×5, first 2 shown]
	v_max_i32_e32 v3, v2, v9
	v_mbcnt_hi_u32_b32 v1, -1, v1
	v_cndmask_b32_e64 v2, v2, v3, s[12:13]
	v_and_b32_e32 v3, 63, v1
	v_cmp_ne_u32_e32 vcc, 63, v3
	v_addc_co_u32_e32 v4, vcc, 0, v1, vcc
	v_lshlrev_b32_e32 v4, 2, v4
	ds_bpermute_b32 v4, v4, v2
	s_min_u32 s2, s27, 0x80
	v_and_b32_e32 v5, 64, v0
	v_sub_u32_e64 v5, s2, v5 clamp
	v_add_u32_e32 v6, 1, v3
	s_waitcnt lgkmcnt(0)
	v_max_i32_e32 v4, v2, v4
	v_cmp_lt_u32_e32 vcc, v6, v5
	v_cndmask_b32_e32 v2, v2, v4, vcc
	v_cmp_gt_u32_e32 vcc, 62, v3
	v_cndmask_b32_e64 v4, 0, 1, vcc
	v_lshlrev_b32_e32 v4, 1, v4
	v_add_lshl_u32 v4, v4, v1, 2
	ds_bpermute_b32 v4, v4, v2
	v_add_u32_e32 v6, 2, v3
	v_cmp_lt_u32_e32 vcc, v6, v5
	v_add_u32_e32 v6, 4, v3
	s_waitcnt lgkmcnt(0)
	v_max_i32_e32 v4, v2, v4
	v_cndmask_b32_e32 v2, v2, v4, vcc
	v_cmp_gt_u32_e32 vcc, 60, v3
	v_cndmask_b32_e64 v4, 0, 1, vcc
	v_lshlrev_b32_e32 v4, 2, v4
	v_add_lshl_u32 v4, v4, v1, 2
	ds_bpermute_b32 v4, v4, v2
	v_cmp_lt_u32_e32 vcc, v6, v5
	v_add_u32_e32 v6, 8, v3
	s_waitcnt lgkmcnt(0)
	v_max_i32_e32 v4, v2, v4
	v_cndmask_b32_e32 v2, v2, v4, vcc
	v_cmp_gt_u32_e32 vcc, 56, v3
	v_cndmask_b32_e64 v4, 0, 1, vcc
	v_lshlrev_b32_e32 v4, 3, v4
	v_add_lshl_u32 v4, v4, v1, 2
	ds_bpermute_b32 v4, v4, v2
	;; [unrolled: 10-line block ×3, first 2 shown]
	v_cmp_lt_u32_e32 vcc, v6, v5
	s_waitcnt lgkmcnt(0)
	v_max_i32_e32 v4, v2, v4
	v_cndmask_b32_e32 v2, v2, v4, vcc
	v_cmp_gt_u32_e32 vcc, 32, v3
	v_cndmask_b32_e64 v4, 0, 1, vcc
	v_lshlrev_b32_e32 v4, 5, v4
	v_add_lshl_u32 v4, v4, v1, 2
	ds_bpermute_b32 v4, v4, v2
	v_add_u32_e32 v3, 32, v3
	v_cmp_lt_u32_e32 vcc, v3, v5
	s_waitcnt lgkmcnt(0)
	v_max_i32_e32 v4, v2, v4
	v_cndmask_b32_e32 v2, v2, v4, vcc
	v_cmp_eq_u32_e32 vcc, 0, v1
	s_and_saveexec_b64 s[0:1], vcc
	s_cbranch_execz .LBB387_25
; %bb.24:
	v_lshrrev_b32_e32 v3, 4, v0
	v_and_b32_e32 v3, 4, v3
	ds_write_b32 v3, v2 offset:8
.LBB387_25:
	s_or_b64 exec, exec, s[0:1]
	v_cmp_gt_u32_e32 vcc, 2, v0
	s_waitcnt lgkmcnt(0)
	s_barrier
	s_and_saveexec_b64 s[0:1], vcc
	s_cbranch_execz .LBB387_27
; %bb.26:
	v_lshlrev_b32_e32 v2, 2, v1
	ds_read_b32 v3, v2 offset:8
	v_or_b32_e32 v2, 4, v2
	s_add_i32 s2, s2, 63
	v_and_b32_e32 v1, 1, v1
	s_lshr_b32 s2, s2, 6
	s_waitcnt lgkmcnt(0)
	ds_bpermute_b32 v2, v2, v3
	v_add_u32_e32 v1, 1, v1
	v_cmp_gt_u32_e32 vcc, s2, v1
	s_waitcnt lgkmcnt(0)
	v_max_i32_e32 v2, v3, v2
	v_cndmask_b32_e32 v2, v3, v2, vcc
.LBB387_27:
	s_or_b64 exec, exec, s[0:1]
.LBB387_28:
	v_cmp_eq_u32_e32 vcc, 0, v0
	s_and_saveexec_b64 s[0:1], vcc
	s_cbranch_execnz .LBB387_30
; %bb.29:
	s_endpgm
.LBB387_30:
	s_mul_i32 s0, s22, s21
	s_mul_hi_u32 s1, s22, s20
	s_add_i32 s0, s1, s0
	s_mul_i32 s1, s23, s20
	s_add_i32 s1, s0, s1
	s_mul_i32 s0, s22, s20
	s_lshl_b64 s[0:1], s[0:1], 2
	s_add_u32 s2, s18, s0
	s_addc_u32 s3, s19, s1
	s_cmp_eq_u64 s[16:17], 0
	s_cselect_b64 vcc, -1, 0
	s_lshl_b64 s[0:1], s[6:7], 2
	s_waitcnt lgkmcnt(0)
	v_mov_b32_e32 v0, s26
	s_add_u32 s0, s2, s0
	v_cndmask_b32_e32 v0, v2, v0, vcc
	s_addc_u32 s1, s3, s1
	v_mov_b32_e32 v1, 0
	global_store_dword v1, v0, s[0:1]
	s_endpgm
	.section	.rodata,"a",@progbits
	.p2align	6, 0x0
	.amdhsa_kernel _ZN7rocprim17ROCPRIM_400000_NS6detail17trampoline_kernelINS0_14default_configENS1_22reduce_config_selectorIiEEZNS1_11reduce_implILb1ES3_PiS7_iN6thrust23THRUST_200600_302600_NS7maximumIiEEEE10hipError_tPvRmT1_T2_T3_mT4_P12ihipStream_tbEUlT_E0_NS1_11comp_targetILNS1_3genE4ELNS1_11target_archE910ELNS1_3gpuE8ELNS1_3repE0EEENS1_30default_config_static_selectorELNS0_4arch9wavefront6targetE1EEEvSF_
		.amdhsa_group_segment_fixed_size 16
		.amdhsa_private_segment_fixed_size 0
		.amdhsa_kernarg_size 56
		.amdhsa_user_sgpr_count 6
		.amdhsa_user_sgpr_private_segment_buffer 1
		.amdhsa_user_sgpr_dispatch_ptr 0
		.amdhsa_user_sgpr_queue_ptr 0
		.amdhsa_user_sgpr_kernarg_segment_ptr 1
		.amdhsa_user_sgpr_dispatch_id 0
		.amdhsa_user_sgpr_flat_scratch_init 0
		.amdhsa_user_sgpr_kernarg_preload_length 0
		.amdhsa_user_sgpr_kernarg_preload_offset 0
		.amdhsa_user_sgpr_private_segment_size 0
		.amdhsa_uses_dynamic_stack 0
		.amdhsa_system_sgpr_private_segment_wavefront_offset 0
		.amdhsa_system_sgpr_workgroup_id_x 1
		.amdhsa_system_sgpr_workgroup_id_y 0
		.amdhsa_system_sgpr_workgroup_id_z 0
		.amdhsa_system_sgpr_workgroup_info 0
		.amdhsa_system_vgpr_workitem_id 0
		.amdhsa_next_free_vgpr 13
		.amdhsa_next_free_sgpr 28
		.amdhsa_accum_offset 16
		.amdhsa_reserve_vcc 1
		.amdhsa_reserve_flat_scratch 0
		.amdhsa_float_round_mode_32 0
		.amdhsa_float_round_mode_16_64 0
		.amdhsa_float_denorm_mode_32 3
		.amdhsa_float_denorm_mode_16_64 3
		.amdhsa_dx10_clamp 1
		.amdhsa_ieee_mode 1
		.amdhsa_fp16_overflow 0
		.amdhsa_tg_split 0
		.amdhsa_exception_fp_ieee_invalid_op 0
		.amdhsa_exception_fp_denorm_src 0
		.amdhsa_exception_fp_ieee_div_zero 0
		.amdhsa_exception_fp_ieee_overflow 0
		.amdhsa_exception_fp_ieee_underflow 0
		.amdhsa_exception_fp_ieee_inexact 0
		.amdhsa_exception_int_div_zero 0
	.end_amdhsa_kernel
	.section	.text._ZN7rocprim17ROCPRIM_400000_NS6detail17trampoline_kernelINS0_14default_configENS1_22reduce_config_selectorIiEEZNS1_11reduce_implILb1ES3_PiS7_iN6thrust23THRUST_200600_302600_NS7maximumIiEEEE10hipError_tPvRmT1_T2_T3_mT4_P12ihipStream_tbEUlT_E0_NS1_11comp_targetILNS1_3genE4ELNS1_11target_archE910ELNS1_3gpuE8ELNS1_3repE0EEENS1_30default_config_static_selectorELNS0_4arch9wavefront6targetE1EEEvSF_,"axG",@progbits,_ZN7rocprim17ROCPRIM_400000_NS6detail17trampoline_kernelINS0_14default_configENS1_22reduce_config_selectorIiEEZNS1_11reduce_implILb1ES3_PiS7_iN6thrust23THRUST_200600_302600_NS7maximumIiEEEE10hipError_tPvRmT1_T2_T3_mT4_P12ihipStream_tbEUlT_E0_NS1_11comp_targetILNS1_3genE4ELNS1_11target_archE910ELNS1_3gpuE8ELNS1_3repE0EEENS1_30default_config_static_selectorELNS0_4arch9wavefront6targetE1EEEvSF_,comdat
.Lfunc_end387:
	.size	_ZN7rocprim17ROCPRIM_400000_NS6detail17trampoline_kernelINS0_14default_configENS1_22reduce_config_selectorIiEEZNS1_11reduce_implILb1ES3_PiS7_iN6thrust23THRUST_200600_302600_NS7maximumIiEEEE10hipError_tPvRmT1_T2_T3_mT4_P12ihipStream_tbEUlT_E0_NS1_11comp_targetILNS1_3genE4ELNS1_11target_archE910ELNS1_3gpuE8ELNS1_3repE0EEENS1_30default_config_static_selectorELNS0_4arch9wavefront6targetE1EEEvSF_, .Lfunc_end387-_ZN7rocprim17ROCPRIM_400000_NS6detail17trampoline_kernelINS0_14default_configENS1_22reduce_config_selectorIiEEZNS1_11reduce_implILb1ES3_PiS7_iN6thrust23THRUST_200600_302600_NS7maximumIiEEEE10hipError_tPvRmT1_T2_T3_mT4_P12ihipStream_tbEUlT_E0_NS1_11comp_targetILNS1_3genE4ELNS1_11target_archE910ELNS1_3gpuE8ELNS1_3repE0EEENS1_30default_config_static_selectorELNS0_4arch9wavefront6targetE1EEEvSF_
                                        ; -- End function
	.section	.AMDGPU.csdata,"",@progbits
; Kernel info:
; codeLenInByte = 1320
; NumSgprs: 32
; NumVgprs: 13
; NumAgprs: 0
; TotalNumVgprs: 13
; ScratchSize: 0
; MemoryBound: 0
; FloatMode: 240
; IeeeMode: 1
; LDSByteSize: 16 bytes/workgroup (compile time only)
; SGPRBlocks: 3
; VGPRBlocks: 1
; NumSGPRsForWavesPerEU: 32
; NumVGPRsForWavesPerEU: 13
; AccumOffset: 16
; Occupancy: 8
; WaveLimiterHint : 1
; COMPUTE_PGM_RSRC2:SCRATCH_EN: 0
; COMPUTE_PGM_RSRC2:USER_SGPR: 6
; COMPUTE_PGM_RSRC2:TRAP_HANDLER: 0
; COMPUTE_PGM_RSRC2:TGID_X_EN: 1
; COMPUTE_PGM_RSRC2:TGID_Y_EN: 0
; COMPUTE_PGM_RSRC2:TGID_Z_EN: 0
; COMPUTE_PGM_RSRC2:TIDIG_COMP_CNT: 0
; COMPUTE_PGM_RSRC3_GFX90A:ACCUM_OFFSET: 3
; COMPUTE_PGM_RSRC3_GFX90A:TG_SPLIT: 0
	.section	.text._ZN7rocprim17ROCPRIM_400000_NS6detail17trampoline_kernelINS0_14default_configENS1_22reduce_config_selectorIiEEZNS1_11reduce_implILb1ES3_PiS7_iN6thrust23THRUST_200600_302600_NS7maximumIiEEEE10hipError_tPvRmT1_T2_T3_mT4_P12ihipStream_tbEUlT_E0_NS1_11comp_targetILNS1_3genE3ELNS1_11target_archE908ELNS1_3gpuE7ELNS1_3repE0EEENS1_30default_config_static_selectorELNS0_4arch9wavefront6targetE1EEEvSF_,"axG",@progbits,_ZN7rocprim17ROCPRIM_400000_NS6detail17trampoline_kernelINS0_14default_configENS1_22reduce_config_selectorIiEEZNS1_11reduce_implILb1ES3_PiS7_iN6thrust23THRUST_200600_302600_NS7maximumIiEEEE10hipError_tPvRmT1_T2_T3_mT4_P12ihipStream_tbEUlT_E0_NS1_11comp_targetILNS1_3genE3ELNS1_11target_archE908ELNS1_3gpuE7ELNS1_3repE0EEENS1_30default_config_static_selectorELNS0_4arch9wavefront6targetE1EEEvSF_,comdat
	.protected	_ZN7rocprim17ROCPRIM_400000_NS6detail17trampoline_kernelINS0_14default_configENS1_22reduce_config_selectorIiEEZNS1_11reduce_implILb1ES3_PiS7_iN6thrust23THRUST_200600_302600_NS7maximumIiEEEE10hipError_tPvRmT1_T2_T3_mT4_P12ihipStream_tbEUlT_E0_NS1_11comp_targetILNS1_3genE3ELNS1_11target_archE908ELNS1_3gpuE7ELNS1_3repE0EEENS1_30default_config_static_selectorELNS0_4arch9wavefront6targetE1EEEvSF_ ; -- Begin function _ZN7rocprim17ROCPRIM_400000_NS6detail17trampoline_kernelINS0_14default_configENS1_22reduce_config_selectorIiEEZNS1_11reduce_implILb1ES3_PiS7_iN6thrust23THRUST_200600_302600_NS7maximumIiEEEE10hipError_tPvRmT1_T2_T3_mT4_P12ihipStream_tbEUlT_E0_NS1_11comp_targetILNS1_3genE3ELNS1_11target_archE908ELNS1_3gpuE7ELNS1_3repE0EEENS1_30default_config_static_selectorELNS0_4arch9wavefront6targetE1EEEvSF_
	.globl	_ZN7rocprim17ROCPRIM_400000_NS6detail17trampoline_kernelINS0_14default_configENS1_22reduce_config_selectorIiEEZNS1_11reduce_implILb1ES3_PiS7_iN6thrust23THRUST_200600_302600_NS7maximumIiEEEE10hipError_tPvRmT1_T2_T3_mT4_P12ihipStream_tbEUlT_E0_NS1_11comp_targetILNS1_3genE3ELNS1_11target_archE908ELNS1_3gpuE7ELNS1_3repE0EEENS1_30default_config_static_selectorELNS0_4arch9wavefront6targetE1EEEvSF_
	.p2align	8
	.type	_ZN7rocprim17ROCPRIM_400000_NS6detail17trampoline_kernelINS0_14default_configENS1_22reduce_config_selectorIiEEZNS1_11reduce_implILb1ES3_PiS7_iN6thrust23THRUST_200600_302600_NS7maximumIiEEEE10hipError_tPvRmT1_T2_T3_mT4_P12ihipStream_tbEUlT_E0_NS1_11comp_targetILNS1_3genE3ELNS1_11target_archE908ELNS1_3gpuE7ELNS1_3repE0EEENS1_30default_config_static_selectorELNS0_4arch9wavefront6targetE1EEEvSF_,@function
_ZN7rocprim17ROCPRIM_400000_NS6detail17trampoline_kernelINS0_14default_configENS1_22reduce_config_selectorIiEEZNS1_11reduce_implILb1ES3_PiS7_iN6thrust23THRUST_200600_302600_NS7maximumIiEEEE10hipError_tPvRmT1_T2_T3_mT4_P12ihipStream_tbEUlT_E0_NS1_11comp_targetILNS1_3genE3ELNS1_11target_archE908ELNS1_3gpuE7ELNS1_3repE0EEENS1_30default_config_static_selectorELNS0_4arch9wavefront6targetE1EEEvSF_: ; @_ZN7rocprim17ROCPRIM_400000_NS6detail17trampoline_kernelINS0_14default_configENS1_22reduce_config_selectorIiEEZNS1_11reduce_implILb1ES3_PiS7_iN6thrust23THRUST_200600_302600_NS7maximumIiEEEE10hipError_tPvRmT1_T2_T3_mT4_P12ihipStream_tbEUlT_E0_NS1_11comp_targetILNS1_3genE3ELNS1_11target_archE908ELNS1_3gpuE7ELNS1_3repE0EEENS1_30default_config_static_selectorELNS0_4arch9wavefront6targetE1EEEvSF_
; %bb.0:
	.section	.rodata,"a",@progbits
	.p2align	6, 0x0
	.amdhsa_kernel _ZN7rocprim17ROCPRIM_400000_NS6detail17trampoline_kernelINS0_14default_configENS1_22reduce_config_selectorIiEEZNS1_11reduce_implILb1ES3_PiS7_iN6thrust23THRUST_200600_302600_NS7maximumIiEEEE10hipError_tPvRmT1_T2_T3_mT4_P12ihipStream_tbEUlT_E0_NS1_11comp_targetILNS1_3genE3ELNS1_11target_archE908ELNS1_3gpuE7ELNS1_3repE0EEENS1_30default_config_static_selectorELNS0_4arch9wavefront6targetE1EEEvSF_
		.amdhsa_group_segment_fixed_size 0
		.amdhsa_private_segment_fixed_size 0
		.amdhsa_kernarg_size 56
		.amdhsa_user_sgpr_count 6
		.amdhsa_user_sgpr_private_segment_buffer 1
		.amdhsa_user_sgpr_dispatch_ptr 0
		.amdhsa_user_sgpr_queue_ptr 0
		.amdhsa_user_sgpr_kernarg_segment_ptr 1
		.amdhsa_user_sgpr_dispatch_id 0
		.amdhsa_user_sgpr_flat_scratch_init 0
		.amdhsa_user_sgpr_kernarg_preload_length 0
		.amdhsa_user_sgpr_kernarg_preload_offset 0
		.amdhsa_user_sgpr_private_segment_size 0
		.amdhsa_uses_dynamic_stack 0
		.amdhsa_system_sgpr_private_segment_wavefront_offset 0
		.amdhsa_system_sgpr_workgroup_id_x 1
		.amdhsa_system_sgpr_workgroup_id_y 0
		.amdhsa_system_sgpr_workgroup_id_z 0
		.amdhsa_system_sgpr_workgroup_info 0
		.amdhsa_system_vgpr_workitem_id 0
		.amdhsa_next_free_vgpr 1
		.amdhsa_next_free_sgpr 0
		.amdhsa_accum_offset 4
		.amdhsa_reserve_vcc 0
		.amdhsa_reserve_flat_scratch 0
		.amdhsa_float_round_mode_32 0
		.amdhsa_float_round_mode_16_64 0
		.amdhsa_float_denorm_mode_32 3
		.amdhsa_float_denorm_mode_16_64 3
		.amdhsa_dx10_clamp 1
		.amdhsa_ieee_mode 1
		.amdhsa_fp16_overflow 0
		.amdhsa_tg_split 0
		.amdhsa_exception_fp_ieee_invalid_op 0
		.amdhsa_exception_fp_denorm_src 0
		.amdhsa_exception_fp_ieee_div_zero 0
		.amdhsa_exception_fp_ieee_overflow 0
		.amdhsa_exception_fp_ieee_underflow 0
		.amdhsa_exception_fp_ieee_inexact 0
		.amdhsa_exception_int_div_zero 0
	.end_amdhsa_kernel
	.section	.text._ZN7rocprim17ROCPRIM_400000_NS6detail17trampoline_kernelINS0_14default_configENS1_22reduce_config_selectorIiEEZNS1_11reduce_implILb1ES3_PiS7_iN6thrust23THRUST_200600_302600_NS7maximumIiEEEE10hipError_tPvRmT1_T2_T3_mT4_P12ihipStream_tbEUlT_E0_NS1_11comp_targetILNS1_3genE3ELNS1_11target_archE908ELNS1_3gpuE7ELNS1_3repE0EEENS1_30default_config_static_selectorELNS0_4arch9wavefront6targetE1EEEvSF_,"axG",@progbits,_ZN7rocprim17ROCPRIM_400000_NS6detail17trampoline_kernelINS0_14default_configENS1_22reduce_config_selectorIiEEZNS1_11reduce_implILb1ES3_PiS7_iN6thrust23THRUST_200600_302600_NS7maximumIiEEEE10hipError_tPvRmT1_T2_T3_mT4_P12ihipStream_tbEUlT_E0_NS1_11comp_targetILNS1_3genE3ELNS1_11target_archE908ELNS1_3gpuE7ELNS1_3repE0EEENS1_30default_config_static_selectorELNS0_4arch9wavefront6targetE1EEEvSF_,comdat
.Lfunc_end388:
	.size	_ZN7rocprim17ROCPRIM_400000_NS6detail17trampoline_kernelINS0_14default_configENS1_22reduce_config_selectorIiEEZNS1_11reduce_implILb1ES3_PiS7_iN6thrust23THRUST_200600_302600_NS7maximumIiEEEE10hipError_tPvRmT1_T2_T3_mT4_P12ihipStream_tbEUlT_E0_NS1_11comp_targetILNS1_3genE3ELNS1_11target_archE908ELNS1_3gpuE7ELNS1_3repE0EEENS1_30default_config_static_selectorELNS0_4arch9wavefront6targetE1EEEvSF_, .Lfunc_end388-_ZN7rocprim17ROCPRIM_400000_NS6detail17trampoline_kernelINS0_14default_configENS1_22reduce_config_selectorIiEEZNS1_11reduce_implILb1ES3_PiS7_iN6thrust23THRUST_200600_302600_NS7maximumIiEEEE10hipError_tPvRmT1_T2_T3_mT4_P12ihipStream_tbEUlT_E0_NS1_11comp_targetILNS1_3genE3ELNS1_11target_archE908ELNS1_3gpuE7ELNS1_3repE0EEENS1_30default_config_static_selectorELNS0_4arch9wavefront6targetE1EEEvSF_
                                        ; -- End function
	.section	.AMDGPU.csdata,"",@progbits
; Kernel info:
; codeLenInByte = 0
; NumSgprs: 4
; NumVgprs: 0
; NumAgprs: 0
; TotalNumVgprs: 0
; ScratchSize: 0
; MemoryBound: 0
; FloatMode: 240
; IeeeMode: 1
; LDSByteSize: 0 bytes/workgroup (compile time only)
; SGPRBlocks: 0
; VGPRBlocks: 0
; NumSGPRsForWavesPerEU: 4
; NumVGPRsForWavesPerEU: 1
; AccumOffset: 4
; Occupancy: 8
; WaveLimiterHint : 0
; COMPUTE_PGM_RSRC2:SCRATCH_EN: 0
; COMPUTE_PGM_RSRC2:USER_SGPR: 6
; COMPUTE_PGM_RSRC2:TRAP_HANDLER: 0
; COMPUTE_PGM_RSRC2:TGID_X_EN: 1
; COMPUTE_PGM_RSRC2:TGID_Y_EN: 0
; COMPUTE_PGM_RSRC2:TGID_Z_EN: 0
; COMPUTE_PGM_RSRC2:TIDIG_COMP_CNT: 0
; COMPUTE_PGM_RSRC3_GFX90A:ACCUM_OFFSET: 0
; COMPUTE_PGM_RSRC3_GFX90A:TG_SPLIT: 0
	.section	.text._ZN7rocprim17ROCPRIM_400000_NS6detail17trampoline_kernelINS0_14default_configENS1_22reduce_config_selectorIiEEZNS1_11reduce_implILb1ES3_PiS7_iN6thrust23THRUST_200600_302600_NS7maximumIiEEEE10hipError_tPvRmT1_T2_T3_mT4_P12ihipStream_tbEUlT_E0_NS1_11comp_targetILNS1_3genE2ELNS1_11target_archE906ELNS1_3gpuE6ELNS1_3repE0EEENS1_30default_config_static_selectorELNS0_4arch9wavefront6targetE1EEEvSF_,"axG",@progbits,_ZN7rocprim17ROCPRIM_400000_NS6detail17trampoline_kernelINS0_14default_configENS1_22reduce_config_selectorIiEEZNS1_11reduce_implILb1ES3_PiS7_iN6thrust23THRUST_200600_302600_NS7maximumIiEEEE10hipError_tPvRmT1_T2_T3_mT4_P12ihipStream_tbEUlT_E0_NS1_11comp_targetILNS1_3genE2ELNS1_11target_archE906ELNS1_3gpuE6ELNS1_3repE0EEENS1_30default_config_static_selectorELNS0_4arch9wavefront6targetE1EEEvSF_,comdat
	.protected	_ZN7rocprim17ROCPRIM_400000_NS6detail17trampoline_kernelINS0_14default_configENS1_22reduce_config_selectorIiEEZNS1_11reduce_implILb1ES3_PiS7_iN6thrust23THRUST_200600_302600_NS7maximumIiEEEE10hipError_tPvRmT1_T2_T3_mT4_P12ihipStream_tbEUlT_E0_NS1_11comp_targetILNS1_3genE2ELNS1_11target_archE906ELNS1_3gpuE6ELNS1_3repE0EEENS1_30default_config_static_selectorELNS0_4arch9wavefront6targetE1EEEvSF_ ; -- Begin function _ZN7rocprim17ROCPRIM_400000_NS6detail17trampoline_kernelINS0_14default_configENS1_22reduce_config_selectorIiEEZNS1_11reduce_implILb1ES3_PiS7_iN6thrust23THRUST_200600_302600_NS7maximumIiEEEE10hipError_tPvRmT1_T2_T3_mT4_P12ihipStream_tbEUlT_E0_NS1_11comp_targetILNS1_3genE2ELNS1_11target_archE906ELNS1_3gpuE6ELNS1_3repE0EEENS1_30default_config_static_selectorELNS0_4arch9wavefront6targetE1EEEvSF_
	.globl	_ZN7rocprim17ROCPRIM_400000_NS6detail17trampoline_kernelINS0_14default_configENS1_22reduce_config_selectorIiEEZNS1_11reduce_implILb1ES3_PiS7_iN6thrust23THRUST_200600_302600_NS7maximumIiEEEE10hipError_tPvRmT1_T2_T3_mT4_P12ihipStream_tbEUlT_E0_NS1_11comp_targetILNS1_3genE2ELNS1_11target_archE906ELNS1_3gpuE6ELNS1_3repE0EEENS1_30default_config_static_selectorELNS0_4arch9wavefront6targetE1EEEvSF_
	.p2align	8
	.type	_ZN7rocprim17ROCPRIM_400000_NS6detail17trampoline_kernelINS0_14default_configENS1_22reduce_config_selectorIiEEZNS1_11reduce_implILb1ES3_PiS7_iN6thrust23THRUST_200600_302600_NS7maximumIiEEEE10hipError_tPvRmT1_T2_T3_mT4_P12ihipStream_tbEUlT_E0_NS1_11comp_targetILNS1_3genE2ELNS1_11target_archE906ELNS1_3gpuE6ELNS1_3repE0EEENS1_30default_config_static_selectorELNS0_4arch9wavefront6targetE1EEEvSF_,@function
_ZN7rocprim17ROCPRIM_400000_NS6detail17trampoline_kernelINS0_14default_configENS1_22reduce_config_selectorIiEEZNS1_11reduce_implILb1ES3_PiS7_iN6thrust23THRUST_200600_302600_NS7maximumIiEEEE10hipError_tPvRmT1_T2_T3_mT4_P12ihipStream_tbEUlT_E0_NS1_11comp_targetILNS1_3genE2ELNS1_11target_archE906ELNS1_3gpuE6ELNS1_3repE0EEENS1_30default_config_static_selectorELNS0_4arch9wavefront6targetE1EEEvSF_: ; @_ZN7rocprim17ROCPRIM_400000_NS6detail17trampoline_kernelINS0_14default_configENS1_22reduce_config_selectorIiEEZNS1_11reduce_implILb1ES3_PiS7_iN6thrust23THRUST_200600_302600_NS7maximumIiEEEE10hipError_tPvRmT1_T2_T3_mT4_P12ihipStream_tbEUlT_E0_NS1_11comp_targetILNS1_3genE2ELNS1_11target_archE906ELNS1_3gpuE6ELNS1_3repE0EEENS1_30default_config_static_selectorELNS0_4arch9wavefront6targetE1EEEvSF_
; %bb.0:
	.section	.rodata,"a",@progbits
	.p2align	6, 0x0
	.amdhsa_kernel _ZN7rocprim17ROCPRIM_400000_NS6detail17trampoline_kernelINS0_14default_configENS1_22reduce_config_selectorIiEEZNS1_11reduce_implILb1ES3_PiS7_iN6thrust23THRUST_200600_302600_NS7maximumIiEEEE10hipError_tPvRmT1_T2_T3_mT4_P12ihipStream_tbEUlT_E0_NS1_11comp_targetILNS1_3genE2ELNS1_11target_archE906ELNS1_3gpuE6ELNS1_3repE0EEENS1_30default_config_static_selectorELNS0_4arch9wavefront6targetE1EEEvSF_
		.amdhsa_group_segment_fixed_size 0
		.amdhsa_private_segment_fixed_size 0
		.amdhsa_kernarg_size 56
		.amdhsa_user_sgpr_count 6
		.amdhsa_user_sgpr_private_segment_buffer 1
		.amdhsa_user_sgpr_dispatch_ptr 0
		.amdhsa_user_sgpr_queue_ptr 0
		.amdhsa_user_sgpr_kernarg_segment_ptr 1
		.amdhsa_user_sgpr_dispatch_id 0
		.amdhsa_user_sgpr_flat_scratch_init 0
		.amdhsa_user_sgpr_kernarg_preload_length 0
		.amdhsa_user_sgpr_kernarg_preload_offset 0
		.amdhsa_user_sgpr_private_segment_size 0
		.amdhsa_uses_dynamic_stack 0
		.amdhsa_system_sgpr_private_segment_wavefront_offset 0
		.amdhsa_system_sgpr_workgroup_id_x 1
		.amdhsa_system_sgpr_workgroup_id_y 0
		.amdhsa_system_sgpr_workgroup_id_z 0
		.amdhsa_system_sgpr_workgroup_info 0
		.amdhsa_system_vgpr_workitem_id 0
		.amdhsa_next_free_vgpr 1
		.amdhsa_next_free_sgpr 0
		.amdhsa_accum_offset 4
		.amdhsa_reserve_vcc 0
		.amdhsa_reserve_flat_scratch 0
		.amdhsa_float_round_mode_32 0
		.amdhsa_float_round_mode_16_64 0
		.amdhsa_float_denorm_mode_32 3
		.amdhsa_float_denorm_mode_16_64 3
		.amdhsa_dx10_clamp 1
		.amdhsa_ieee_mode 1
		.amdhsa_fp16_overflow 0
		.amdhsa_tg_split 0
		.amdhsa_exception_fp_ieee_invalid_op 0
		.amdhsa_exception_fp_denorm_src 0
		.amdhsa_exception_fp_ieee_div_zero 0
		.amdhsa_exception_fp_ieee_overflow 0
		.amdhsa_exception_fp_ieee_underflow 0
		.amdhsa_exception_fp_ieee_inexact 0
		.amdhsa_exception_int_div_zero 0
	.end_amdhsa_kernel
	.section	.text._ZN7rocprim17ROCPRIM_400000_NS6detail17trampoline_kernelINS0_14default_configENS1_22reduce_config_selectorIiEEZNS1_11reduce_implILb1ES3_PiS7_iN6thrust23THRUST_200600_302600_NS7maximumIiEEEE10hipError_tPvRmT1_T2_T3_mT4_P12ihipStream_tbEUlT_E0_NS1_11comp_targetILNS1_3genE2ELNS1_11target_archE906ELNS1_3gpuE6ELNS1_3repE0EEENS1_30default_config_static_selectorELNS0_4arch9wavefront6targetE1EEEvSF_,"axG",@progbits,_ZN7rocprim17ROCPRIM_400000_NS6detail17trampoline_kernelINS0_14default_configENS1_22reduce_config_selectorIiEEZNS1_11reduce_implILb1ES3_PiS7_iN6thrust23THRUST_200600_302600_NS7maximumIiEEEE10hipError_tPvRmT1_T2_T3_mT4_P12ihipStream_tbEUlT_E0_NS1_11comp_targetILNS1_3genE2ELNS1_11target_archE906ELNS1_3gpuE6ELNS1_3repE0EEENS1_30default_config_static_selectorELNS0_4arch9wavefront6targetE1EEEvSF_,comdat
.Lfunc_end389:
	.size	_ZN7rocprim17ROCPRIM_400000_NS6detail17trampoline_kernelINS0_14default_configENS1_22reduce_config_selectorIiEEZNS1_11reduce_implILb1ES3_PiS7_iN6thrust23THRUST_200600_302600_NS7maximumIiEEEE10hipError_tPvRmT1_T2_T3_mT4_P12ihipStream_tbEUlT_E0_NS1_11comp_targetILNS1_3genE2ELNS1_11target_archE906ELNS1_3gpuE6ELNS1_3repE0EEENS1_30default_config_static_selectorELNS0_4arch9wavefront6targetE1EEEvSF_, .Lfunc_end389-_ZN7rocprim17ROCPRIM_400000_NS6detail17trampoline_kernelINS0_14default_configENS1_22reduce_config_selectorIiEEZNS1_11reduce_implILb1ES3_PiS7_iN6thrust23THRUST_200600_302600_NS7maximumIiEEEE10hipError_tPvRmT1_T2_T3_mT4_P12ihipStream_tbEUlT_E0_NS1_11comp_targetILNS1_3genE2ELNS1_11target_archE906ELNS1_3gpuE6ELNS1_3repE0EEENS1_30default_config_static_selectorELNS0_4arch9wavefront6targetE1EEEvSF_
                                        ; -- End function
	.section	.AMDGPU.csdata,"",@progbits
; Kernel info:
; codeLenInByte = 0
; NumSgprs: 4
; NumVgprs: 0
; NumAgprs: 0
; TotalNumVgprs: 0
; ScratchSize: 0
; MemoryBound: 0
; FloatMode: 240
; IeeeMode: 1
; LDSByteSize: 0 bytes/workgroup (compile time only)
; SGPRBlocks: 0
; VGPRBlocks: 0
; NumSGPRsForWavesPerEU: 4
; NumVGPRsForWavesPerEU: 1
; AccumOffset: 4
; Occupancy: 8
; WaveLimiterHint : 0
; COMPUTE_PGM_RSRC2:SCRATCH_EN: 0
; COMPUTE_PGM_RSRC2:USER_SGPR: 6
; COMPUTE_PGM_RSRC2:TRAP_HANDLER: 0
; COMPUTE_PGM_RSRC2:TGID_X_EN: 1
; COMPUTE_PGM_RSRC2:TGID_Y_EN: 0
; COMPUTE_PGM_RSRC2:TGID_Z_EN: 0
; COMPUTE_PGM_RSRC2:TIDIG_COMP_CNT: 0
; COMPUTE_PGM_RSRC3_GFX90A:ACCUM_OFFSET: 0
; COMPUTE_PGM_RSRC3_GFX90A:TG_SPLIT: 0
	.section	.text._ZN7rocprim17ROCPRIM_400000_NS6detail17trampoline_kernelINS0_14default_configENS1_22reduce_config_selectorIiEEZNS1_11reduce_implILb1ES3_PiS7_iN6thrust23THRUST_200600_302600_NS7maximumIiEEEE10hipError_tPvRmT1_T2_T3_mT4_P12ihipStream_tbEUlT_E0_NS1_11comp_targetILNS1_3genE10ELNS1_11target_archE1201ELNS1_3gpuE5ELNS1_3repE0EEENS1_30default_config_static_selectorELNS0_4arch9wavefront6targetE1EEEvSF_,"axG",@progbits,_ZN7rocprim17ROCPRIM_400000_NS6detail17trampoline_kernelINS0_14default_configENS1_22reduce_config_selectorIiEEZNS1_11reduce_implILb1ES3_PiS7_iN6thrust23THRUST_200600_302600_NS7maximumIiEEEE10hipError_tPvRmT1_T2_T3_mT4_P12ihipStream_tbEUlT_E0_NS1_11comp_targetILNS1_3genE10ELNS1_11target_archE1201ELNS1_3gpuE5ELNS1_3repE0EEENS1_30default_config_static_selectorELNS0_4arch9wavefront6targetE1EEEvSF_,comdat
	.protected	_ZN7rocprim17ROCPRIM_400000_NS6detail17trampoline_kernelINS0_14default_configENS1_22reduce_config_selectorIiEEZNS1_11reduce_implILb1ES3_PiS7_iN6thrust23THRUST_200600_302600_NS7maximumIiEEEE10hipError_tPvRmT1_T2_T3_mT4_P12ihipStream_tbEUlT_E0_NS1_11comp_targetILNS1_3genE10ELNS1_11target_archE1201ELNS1_3gpuE5ELNS1_3repE0EEENS1_30default_config_static_selectorELNS0_4arch9wavefront6targetE1EEEvSF_ ; -- Begin function _ZN7rocprim17ROCPRIM_400000_NS6detail17trampoline_kernelINS0_14default_configENS1_22reduce_config_selectorIiEEZNS1_11reduce_implILb1ES3_PiS7_iN6thrust23THRUST_200600_302600_NS7maximumIiEEEE10hipError_tPvRmT1_T2_T3_mT4_P12ihipStream_tbEUlT_E0_NS1_11comp_targetILNS1_3genE10ELNS1_11target_archE1201ELNS1_3gpuE5ELNS1_3repE0EEENS1_30default_config_static_selectorELNS0_4arch9wavefront6targetE1EEEvSF_
	.globl	_ZN7rocprim17ROCPRIM_400000_NS6detail17trampoline_kernelINS0_14default_configENS1_22reduce_config_selectorIiEEZNS1_11reduce_implILb1ES3_PiS7_iN6thrust23THRUST_200600_302600_NS7maximumIiEEEE10hipError_tPvRmT1_T2_T3_mT4_P12ihipStream_tbEUlT_E0_NS1_11comp_targetILNS1_3genE10ELNS1_11target_archE1201ELNS1_3gpuE5ELNS1_3repE0EEENS1_30default_config_static_selectorELNS0_4arch9wavefront6targetE1EEEvSF_
	.p2align	8
	.type	_ZN7rocprim17ROCPRIM_400000_NS6detail17trampoline_kernelINS0_14default_configENS1_22reduce_config_selectorIiEEZNS1_11reduce_implILb1ES3_PiS7_iN6thrust23THRUST_200600_302600_NS7maximumIiEEEE10hipError_tPvRmT1_T2_T3_mT4_P12ihipStream_tbEUlT_E0_NS1_11comp_targetILNS1_3genE10ELNS1_11target_archE1201ELNS1_3gpuE5ELNS1_3repE0EEENS1_30default_config_static_selectorELNS0_4arch9wavefront6targetE1EEEvSF_,@function
_ZN7rocprim17ROCPRIM_400000_NS6detail17trampoline_kernelINS0_14default_configENS1_22reduce_config_selectorIiEEZNS1_11reduce_implILb1ES3_PiS7_iN6thrust23THRUST_200600_302600_NS7maximumIiEEEE10hipError_tPvRmT1_T2_T3_mT4_P12ihipStream_tbEUlT_E0_NS1_11comp_targetILNS1_3genE10ELNS1_11target_archE1201ELNS1_3gpuE5ELNS1_3repE0EEENS1_30default_config_static_selectorELNS0_4arch9wavefront6targetE1EEEvSF_: ; @_ZN7rocprim17ROCPRIM_400000_NS6detail17trampoline_kernelINS0_14default_configENS1_22reduce_config_selectorIiEEZNS1_11reduce_implILb1ES3_PiS7_iN6thrust23THRUST_200600_302600_NS7maximumIiEEEE10hipError_tPvRmT1_T2_T3_mT4_P12ihipStream_tbEUlT_E0_NS1_11comp_targetILNS1_3genE10ELNS1_11target_archE1201ELNS1_3gpuE5ELNS1_3repE0EEENS1_30default_config_static_selectorELNS0_4arch9wavefront6targetE1EEEvSF_
; %bb.0:
	.section	.rodata,"a",@progbits
	.p2align	6, 0x0
	.amdhsa_kernel _ZN7rocprim17ROCPRIM_400000_NS6detail17trampoline_kernelINS0_14default_configENS1_22reduce_config_selectorIiEEZNS1_11reduce_implILb1ES3_PiS7_iN6thrust23THRUST_200600_302600_NS7maximumIiEEEE10hipError_tPvRmT1_T2_T3_mT4_P12ihipStream_tbEUlT_E0_NS1_11comp_targetILNS1_3genE10ELNS1_11target_archE1201ELNS1_3gpuE5ELNS1_3repE0EEENS1_30default_config_static_selectorELNS0_4arch9wavefront6targetE1EEEvSF_
		.amdhsa_group_segment_fixed_size 0
		.amdhsa_private_segment_fixed_size 0
		.amdhsa_kernarg_size 56
		.amdhsa_user_sgpr_count 6
		.amdhsa_user_sgpr_private_segment_buffer 1
		.amdhsa_user_sgpr_dispatch_ptr 0
		.amdhsa_user_sgpr_queue_ptr 0
		.amdhsa_user_sgpr_kernarg_segment_ptr 1
		.amdhsa_user_sgpr_dispatch_id 0
		.amdhsa_user_sgpr_flat_scratch_init 0
		.amdhsa_user_sgpr_kernarg_preload_length 0
		.amdhsa_user_sgpr_kernarg_preload_offset 0
		.amdhsa_user_sgpr_private_segment_size 0
		.amdhsa_uses_dynamic_stack 0
		.amdhsa_system_sgpr_private_segment_wavefront_offset 0
		.amdhsa_system_sgpr_workgroup_id_x 1
		.amdhsa_system_sgpr_workgroup_id_y 0
		.amdhsa_system_sgpr_workgroup_id_z 0
		.amdhsa_system_sgpr_workgroup_info 0
		.amdhsa_system_vgpr_workitem_id 0
		.amdhsa_next_free_vgpr 1
		.amdhsa_next_free_sgpr 0
		.amdhsa_accum_offset 4
		.amdhsa_reserve_vcc 0
		.amdhsa_reserve_flat_scratch 0
		.amdhsa_float_round_mode_32 0
		.amdhsa_float_round_mode_16_64 0
		.amdhsa_float_denorm_mode_32 3
		.amdhsa_float_denorm_mode_16_64 3
		.amdhsa_dx10_clamp 1
		.amdhsa_ieee_mode 1
		.amdhsa_fp16_overflow 0
		.amdhsa_tg_split 0
		.amdhsa_exception_fp_ieee_invalid_op 0
		.amdhsa_exception_fp_denorm_src 0
		.amdhsa_exception_fp_ieee_div_zero 0
		.amdhsa_exception_fp_ieee_overflow 0
		.amdhsa_exception_fp_ieee_underflow 0
		.amdhsa_exception_fp_ieee_inexact 0
		.amdhsa_exception_int_div_zero 0
	.end_amdhsa_kernel
	.section	.text._ZN7rocprim17ROCPRIM_400000_NS6detail17trampoline_kernelINS0_14default_configENS1_22reduce_config_selectorIiEEZNS1_11reduce_implILb1ES3_PiS7_iN6thrust23THRUST_200600_302600_NS7maximumIiEEEE10hipError_tPvRmT1_T2_T3_mT4_P12ihipStream_tbEUlT_E0_NS1_11comp_targetILNS1_3genE10ELNS1_11target_archE1201ELNS1_3gpuE5ELNS1_3repE0EEENS1_30default_config_static_selectorELNS0_4arch9wavefront6targetE1EEEvSF_,"axG",@progbits,_ZN7rocprim17ROCPRIM_400000_NS6detail17trampoline_kernelINS0_14default_configENS1_22reduce_config_selectorIiEEZNS1_11reduce_implILb1ES3_PiS7_iN6thrust23THRUST_200600_302600_NS7maximumIiEEEE10hipError_tPvRmT1_T2_T3_mT4_P12ihipStream_tbEUlT_E0_NS1_11comp_targetILNS1_3genE10ELNS1_11target_archE1201ELNS1_3gpuE5ELNS1_3repE0EEENS1_30default_config_static_selectorELNS0_4arch9wavefront6targetE1EEEvSF_,comdat
.Lfunc_end390:
	.size	_ZN7rocprim17ROCPRIM_400000_NS6detail17trampoline_kernelINS0_14default_configENS1_22reduce_config_selectorIiEEZNS1_11reduce_implILb1ES3_PiS7_iN6thrust23THRUST_200600_302600_NS7maximumIiEEEE10hipError_tPvRmT1_T2_T3_mT4_P12ihipStream_tbEUlT_E0_NS1_11comp_targetILNS1_3genE10ELNS1_11target_archE1201ELNS1_3gpuE5ELNS1_3repE0EEENS1_30default_config_static_selectorELNS0_4arch9wavefront6targetE1EEEvSF_, .Lfunc_end390-_ZN7rocprim17ROCPRIM_400000_NS6detail17trampoline_kernelINS0_14default_configENS1_22reduce_config_selectorIiEEZNS1_11reduce_implILb1ES3_PiS7_iN6thrust23THRUST_200600_302600_NS7maximumIiEEEE10hipError_tPvRmT1_T2_T3_mT4_P12ihipStream_tbEUlT_E0_NS1_11comp_targetILNS1_3genE10ELNS1_11target_archE1201ELNS1_3gpuE5ELNS1_3repE0EEENS1_30default_config_static_selectorELNS0_4arch9wavefront6targetE1EEEvSF_
                                        ; -- End function
	.section	.AMDGPU.csdata,"",@progbits
; Kernel info:
; codeLenInByte = 0
; NumSgprs: 4
; NumVgprs: 0
; NumAgprs: 0
; TotalNumVgprs: 0
; ScratchSize: 0
; MemoryBound: 0
; FloatMode: 240
; IeeeMode: 1
; LDSByteSize: 0 bytes/workgroup (compile time only)
; SGPRBlocks: 0
; VGPRBlocks: 0
; NumSGPRsForWavesPerEU: 4
; NumVGPRsForWavesPerEU: 1
; AccumOffset: 4
; Occupancy: 8
; WaveLimiterHint : 0
; COMPUTE_PGM_RSRC2:SCRATCH_EN: 0
; COMPUTE_PGM_RSRC2:USER_SGPR: 6
; COMPUTE_PGM_RSRC2:TRAP_HANDLER: 0
; COMPUTE_PGM_RSRC2:TGID_X_EN: 1
; COMPUTE_PGM_RSRC2:TGID_Y_EN: 0
; COMPUTE_PGM_RSRC2:TGID_Z_EN: 0
; COMPUTE_PGM_RSRC2:TIDIG_COMP_CNT: 0
; COMPUTE_PGM_RSRC3_GFX90A:ACCUM_OFFSET: 0
; COMPUTE_PGM_RSRC3_GFX90A:TG_SPLIT: 0
	.section	.text._ZN7rocprim17ROCPRIM_400000_NS6detail17trampoline_kernelINS0_14default_configENS1_22reduce_config_selectorIiEEZNS1_11reduce_implILb1ES3_PiS7_iN6thrust23THRUST_200600_302600_NS7maximumIiEEEE10hipError_tPvRmT1_T2_T3_mT4_P12ihipStream_tbEUlT_E0_NS1_11comp_targetILNS1_3genE10ELNS1_11target_archE1200ELNS1_3gpuE4ELNS1_3repE0EEENS1_30default_config_static_selectorELNS0_4arch9wavefront6targetE1EEEvSF_,"axG",@progbits,_ZN7rocprim17ROCPRIM_400000_NS6detail17trampoline_kernelINS0_14default_configENS1_22reduce_config_selectorIiEEZNS1_11reduce_implILb1ES3_PiS7_iN6thrust23THRUST_200600_302600_NS7maximumIiEEEE10hipError_tPvRmT1_T2_T3_mT4_P12ihipStream_tbEUlT_E0_NS1_11comp_targetILNS1_3genE10ELNS1_11target_archE1200ELNS1_3gpuE4ELNS1_3repE0EEENS1_30default_config_static_selectorELNS0_4arch9wavefront6targetE1EEEvSF_,comdat
	.protected	_ZN7rocprim17ROCPRIM_400000_NS6detail17trampoline_kernelINS0_14default_configENS1_22reduce_config_selectorIiEEZNS1_11reduce_implILb1ES3_PiS7_iN6thrust23THRUST_200600_302600_NS7maximumIiEEEE10hipError_tPvRmT1_T2_T3_mT4_P12ihipStream_tbEUlT_E0_NS1_11comp_targetILNS1_3genE10ELNS1_11target_archE1200ELNS1_3gpuE4ELNS1_3repE0EEENS1_30default_config_static_selectorELNS0_4arch9wavefront6targetE1EEEvSF_ ; -- Begin function _ZN7rocprim17ROCPRIM_400000_NS6detail17trampoline_kernelINS0_14default_configENS1_22reduce_config_selectorIiEEZNS1_11reduce_implILb1ES3_PiS7_iN6thrust23THRUST_200600_302600_NS7maximumIiEEEE10hipError_tPvRmT1_T2_T3_mT4_P12ihipStream_tbEUlT_E0_NS1_11comp_targetILNS1_3genE10ELNS1_11target_archE1200ELNS1_3gpuE4ELNS1_3repE0EEENS1_30default_config_static_selectorELNS0_4arch9wavefront6targetE1EEEvSF_
	.globl	_ZN7rocprim17ROCPRIM_400000_NS6detail17trampoline_kernelINS0_14default_configENS1_22reduce_config_selectorIiEEZNS1_11reduce_implILb1ES3_PiS7_iN6thrust23THRUST_200600_302600_NS7maximumIiEEEE10hipError_tPvRmT1_T2_T3_mT4_P12ihipStream_tbEUlT_E0_NS1_11comp_targetILNS1_3genE10ELNS1_11target_archE1200ELNS1_3gpuE4ELNS1_3repE0EEENS1_30default_config_static_selectorELNS0_4arch9wavefront6targetE1EEEvSF_
	.p2align	8
	.type	_ZN7rocprim17ROCPRIM_400000_NS6detail17trampoline_kernelINS0_14default_configENS1_22reduce_config_selectorIiEEZNS1_11reduce_implILb1ES3_PiS7_iN6thrust23THRUST_200600_302600_NS7maximumIiEEEE10hipError_tPvRmT1_T2_T3_mT4_P12ihipStream_tbEUlT_E0_NS1_11comp_targetILNS1_3genE10ELNS1_11target_archE1200ELNS1_3gpuE4ELNS1_3repE0EEENS1_30default_config_static_selectorELNS0_4arch9wavefront6targetE1EEEvSF_,@function
_ZN7rocprim17ROCPRIM_400000_NS6detail17trampoline_kernelINS0_14default_configENS1_22reduce_config_selectorIiEEZNS1_11reduce_implILb1ES3_PiS7_iN6thrust23THRUST_200600_302600_NS7maximumIiEEEE10hipError_tPvRmT1_T2_T3_mT4_P12ihipStream_tbEUlT_E0_NS1_11comp_targetILNS1_3genE10ELNS1_11target_archE1200ELNS1_3gpuE4ELNS1_3repE0EEENS1_30default_config_static_selectorELNS0_4arch9wavefront6targetE1EEEvSF_: ; @_ZN7rocprim17ROCPRIM_400000_NS6detail17trampoline_kernelINS0_14default_configENS1_22reduce_config_selectorIiEEZNS1_11reduce_implILb1ES3_PiS7_iN6thrust23THRUST_200600_302600_NS7maximumIiEEEE10hipError_tPvRmT1_T2_T3_mT4_P12ihipStream_tbEUlT_E0_NS1_11comp_targetILNS1_3genE10ELNS1_11target_archE1200ELNS1_3gpuE4ELNS1_3repE0EEENS1_30default_config_static_selectorELNS0_4arch9wavefront6targetE1EEEvSF_
; %bb.0:
	.section	.rodata,"a",@progbits
	.p2align	6, 0x0
	.amdhsa_kernel _ZN7rocprim17ROCPRIM_400000_NS6detail17trampoline_kernelINS0_14default_configENS1_22reduce_config_selectorIiEEZNS1_11reduce_implILb1ES3_PiS7_iN6thrust23THRUST_200600_302600_NS7maximumIiEEEE10hipError_tPvRmT1_T2_T3_mT4_P12ihipStream_tbEUlT_E0_NS1_11comp_targetILNS1_3genE10ELNS1_11target_archE1200ELNS1_3gpuE4ELNS1_3repE0EEENS1_30default_config_static_selectorELNS0_4arch9wavefront6targetE1EEEvSF_
		.amdhsa_group_segment_fixed_size 0
		.amdhsa_private_segment_fixed_size 0
		.amdhsa_kernarg_size 56
		.amdhsa_user_sgpr_count 6
		.amdhsa_user_sgpr_private_segment_buffer 1
		.amdhsa_user_sgpr_dispatch_ptr 0
		.amdhsa_user_sgpr_queue_ptr 0
		.amdhsa_user_sgpr_kernarg_segment_ptr 1
		.amdhsa_user_sgpr_dispatch_id 0
		.amdhsa_user_sgpr_flat_scratch_init 0
		.amdhsa_user_sgpr_kernarg_preload_length 0
		.amdhsa_user_sgpr_kernarg_preload_offset 0
		.amdhsa_user_sgpr_private_segment_size 0
		.amdhsa_uses_dynamic_stack 0
		.amdhsa_system_sgpr_private_segment_wavefront_offset 0
		.amdhsa_system_sgpr_workgroup_id_x 1
		.amdhsa_system_sgpr_workgroup_id_y 0
		.amdhsa_system_sgpr_workgroup_id_z 0
		.amdhsa_system_sgpr_workgroup_info 0
		.amdhsa_system_vgpr_workitem_id 0
		.amdhsa_next_free_vgpr 1
		.amdhsa_next_free_sgpr 0
		.amdhsa_accum_offset 4
		.amdhsa_reserve_vcc 0
		.amdhsa_reserve_flat_scratch 0
		.amdhsa_float_round_mode_32 0
		.amdhsa_float_round_mode_16_64 0
		.amdhsa_float_denorm_mode_32 3
		.amdhsa_float_denorm_mode_16_64 3
		.amdhsa_dx10_clamp 1
		.amdhsa_ieee_mode 1
		.amdhsa_fp16_overflow 0
		.amdhsa_tg_split 0
		.amdhsa_exception_fp_ieee_invalid_op 0
		.amdhsa_exception_fp_denorm_src 0
		.amdhsa_exception_fp_ieee_div_zero 0
		.amdhsa_exception_fp_ieee_overflow 0
		.amdhsa_exception_fp_ieee_underflow 0
		.amdhsa_exception_fp_ieee_inexact 0
		.amdhsa_exception_int_div_zero 0
	.end_amdhsa_kernel
	.section	.text._ZN7rocprim17ROCPRIM_400000_NS6detail17trampoline_kernelINS0_14default_configENS1_22reduce_config_selectorIiEEZNS1_11reduce_implILb1ES3_PiS7_iN6thrust23THRUST_200600_302600_NS7maximumIiEEEE10hipError_tPvRmT1_T2_T3_mT4_P12ihipStream_tbEUlT_E0_NS1_11comp_targetILNS1_3genE10ELNS1_11target_archE1200ELNS1_3gpuE4ELNS1_3repE0EEENS1_30default_config_static_selectorELNS0_4arch9wavefront6targetE1EEEvSF_,"axG",@progbits,_ZN7rocprim17ROCPRIM_400000_NS6detail17trampoline_kernelINS0_14default_configENS1_22reduce_config_selectorIiEEZNS1_11reduce_implILb1ES3_PiS7_iN6thrust23THRUST_200600_302600_NS7maximumIiEEEE10hipError_tPvRmT1_T2_T3_mT4_P12ihipStream_tbEUlT_E0_NS1_11comp_targetILNS1_3genE10ELNS1_11target_archE1200ELNS1_3gpuE4ELNS1_3repE0EEENS1_30default_config_static_selectorELNS0_4arch9wavefront6targetE1EEEvSF_,comdat
.Lfunc_end391:
	.size	_ZN7rocprim17ROCPRIM_400000_NS6detail17trampoline_kernelINS0_14default_configENS1_22reduce_config_selectorIiEEZNS1_11reduce_implILb1ES3_PiS7_iN6thrust23THRUST_200600_302600_NS7maximumIiEEEE10hipError_tPvRmT1_T2_T3_mT4_P12ihipStream_tbEUlT_E0_NS1_11comp_targetILNS1_3genE10ELNS1_11target_archE1200ELNS1_3gpuE4ELNS1_3repE0EEENS1_30default_config_static_selectorELNS0_4arch9wavefront6targetE1EEEvSF_, .Lfunc_end391-_ZN7rocprim17ROCPRIM_400000_NS6detail17trampoline_kernelINS0_14default_configENS1_22reduce_config_selectorIiEEZNS1_11reduce_implILb1ES3_PiS7_iN6thrust23THRUST_200600_302600_NS7maximumIiEEEE10hipError_tPvRmT1_T2_T3_mT4_P12ihipStream_tbEUlT_E0_NS1_11comp_targetILNS1_3genE10ELNS1_11target_archE1200ELNS1_3gpuE4ELNS1_3repE0EEENS1_30default_config_static_selectorELNS0_4arch9wavefront6targetE1EEEvSF_
                                        ; -- End function
	.section	.AMDGPU.csdata,"",@progbits
; Kernel info:
; codeLenInByte = 0
; NumSgprs: 4
; NumVgprs: 0
; NumAgprs: 0
; TotalNumVgprs: 0
; ScratchSize: 0
; MemoryBound: 0
; FloatMode: 240
; IeeeMode: 1
; LDSByteSize: 0 bytes/workgroup (compile time only)
; SGPRBlocks: 0
; VGPRBlocks: 0
; NumSGPRsForWavesPerEU: 4
; NumVGPRsForWavesPerEU: 1
; AccumOffset: 4
; Occupancy: 8
; WaveLimiterHint : 0
; COMPUTE_PGM_RSRC2:SCRATCH_EN: 0
; COMPUTE_PGM_RSRC2:USER_SGPR: 6
; COMPUTE_PGM_RSRC2:TRAP_HANDLER: 0
; COMPUTE_PGM_RSRC2:TGID_X_EN: 1
; COMPUTE_PGM_RSRC2:TGID_Y_EN: 0
; COMPUTE_PGM_RSRC2:TGID_Z_EN: 0
; COMPUTE_PGM_RSRC2:TIDIG_COMP_CNT: 0
; COMPUTE_PGM_RSRC3_GFX90A:ACCUM_OFFSET: 0
; COMPUTE_PGM_RSRC3_GFX90A:TG_SPLIT: 0
	.section	.text._ZN7rocprim17ROCPRIM_400000_NS6detail17trampoline_kernelINS0_14default_configENS1_22reduce_config_selectorIiEEZNS1_11reduce_implILb1ES3_PiS7_iN6thrust23THRUST_200600_302600_NS7maximumIiEEEE10hipError_tPvRmT1_T2_T3_mT4_P12ihipStream_tbEUlT_E0_NS1_11comp_targetILNS1_3genE9ELNS1_11target_archE1100ELNS1_3gpuE3ELNS1_3repE0EEENS1_30default_config_static_selectorELNS0_4arch9wavefront6targetE1EEEvSF_,"axG",@progbits,_ZN7rocprim17ROCPRIM_400000_NS6detail17trampoline_kernelINS0_14default_configENS1_22reduce_config_selectorIiEEZNS1_11reduce_implILb1ES3_PiS7_iN6thrust23THRUST_200600_302600_NS7maximumIiEEEE10hipError_tPvRmT1_T2_T3_mT4_P12ihipStream_tbEUlT_E0_NS1_11comp_targetILNS1_3genE9ELNS1_11target_archE1100ELNS1_3gpuE3ELNS1_3repE0EEENS1_30default_config_static_selectorELNS0_4arch9wavefront6targetE1EEEvSF_,comdat
	.protected	_ZN7rocprim17ROCPRIM_400000_NS6detail17trampoline_kernelINS0_14default_configENS1_22reduce_config_selectorIiEEZNS1_11reduce_implILb1ES3_PiS7_iN6thrust23THRUST_200600_302600_NS7maximumIiEEEE10hipError_tPvRmT1_T2_T3_mT4_P12ihipStream_tbEUlT_E0_NS1_11comp_targetILNS1_3genE9ELNS1_11target_archE1100ELNS1_3gpuE3ELNS1_3repE0EEENS1_30default_config_static_selectorELNS0_4arch9wavefront6targetE1EEEvSF_ ; -- Begin function _ZN7rocprim17ROCPRIM_400000_NS6detail17trampoline_kernelINS0_14default_configENS1_22reduce_config_selectorIiEEZNS1_11reduce_implILb1ES3_PiS7_iN6thrust23THRUST_200600_302600_NS7maximumIiEEEE10hipError_tPvRmT1_T2_T3_mT4_P12ihipStream_tbEUlT_E0_NS1_11comp_targetILNS1_3genE9ELNS1_11target_archE1100ELNS1_3gpuE3ELNS1_3repE0EEENS1_30default_config_static_selectorELNS0_4arch9wavefront6targetE1EEEvSF_
	.globl	_ZN7rocprim17ROCPRIM_400000_NS6detail17trampoline_kernelINS0_14default_configENS1_22reduce_config_selectorIiEEZNS1_11reduce_implILb1ES3_PiS7_iN6thrust23THRUST_200600_302600_NS7maximumIiEEEE10hipError_tPvRmT1_T2_T3_mT4_P12ihipStream_tbEUlT_E0_NS1_11comp_targetILNS1_3genE9ELNS1_11target_archE1100ELNS1_3gpuE3ELNS1_3repE0EEENS1_30default_config_static_selectorELNS0_4arch9wavefront6targetE1EEEvSF_
	.p2align	8
	.type	_ZN7rocprim17ROCPRIM_400000_NS6detail17trampoline_kernelINS0_14default_configENS1_22reduce_config_selectorIiEEZNS1_11reduce_implILb1ES3_PiS7_iN6thrust23THRUST_200600_302600_NS7maximumIiEEEE10hipError_tPvRmT1_T2_T3_mT4_P12ihipStream_tbEUlT_E0_NS1_11comp_targetILNS1_3genE9ELNS1_11target_archE1100ELNS1_3gpuE3ELNS1_3repE0EEENS1_30default_config_static_selectorELNS0_4arch9wavefront6targetE1EEEvSF_,@function
_ZN7rocprim17ROCPRIM_400000_NS6detail17trampoline_kernelINS0_14default_configENS1_22reduce_config_selectorIiEEZNS1_11reduce_implILb1ES3_PiS7_iN6thrust23THRUST_200600_302600_NS7maximumIiEEEE10hipError_tPvRmT1_T2_T3_mT4_P12ihipStream_tbEUlT_E0_NS1_11comp_targetILNS1_3genE9ELNS1_11target_archE1100ELNS1_3gpuE3ELNS1_3repE0EEENS1_30default_config_static_selectorELNS0_4arch9wavefront6targetE1EEEvSF_: ; @_ZN7rocprim17ROCPRIM_400000_NS6detail17trampoline_kernelINS0_14default_configENS1_22reduce_config_selectorIiEEZNS1_11reduce_implILb1ES3_PiS7_iN6thrust23THRUST_200600_302600_NS7maximumIiEEEE10hipError_tPvRmT1_T2_T3_mT4_P12ihipStream_tbEUlT_E0_NS1_11comp_targetILNS1_3genE9ELNS1_11target_archE1100ELNS1_3gpuE3ELNS1_3repE0EEENS1_30default_config_static_selectorELNS0_4arch9wavefront6targetE1EEEvSF_
; %bb.0:
	.section	.rodata,"a",@progbits
	.p2align	6, 0x0
	.amdhsa_kernel _ZN7rocprim17ROCPRIM_400000_NS6detail17trampoline_kernelINS0_14default_configENS1_22reduce_config_selectorIiEEZNS1_11reduce_implILb1ES3_PiS7_iN6thrust23THRUST_200600_302600_NS7maximumIiEEEE10hipError_tPvRmT1_T2_T3_mT4_P12ihipStream_tbEUlT_E0_NS1_11comp_targetILNS1_3genE9ELNS1_11target_archE1100ELNS1_3gpuE3ELNS1_3repE0EEENS1_30default_config_static_selectorELNS0_4arch9wavefront6targetE1EEEvSF_
		.amdhsa_group_segment_fixed_size 0
		.amdhsa_private_segment_fixed_size 0
		.amdhsa_kernarg_size 56
		.amdhsa_user_sgpr_count 6
		.amdhsa_user_sgpr_private_segment_buffer 1
		.amdhsa_user_sgpr_dispatch_ptr 0
		.amdhsa_user_sgpr_queue_ptr 0
		.amdhsa_user_sgpr_kernarg_segment_ptr 1
		.amdhsa_user_sgpr_dispatch_id 0
		.amdhsa_user_sgpr_flat_scratch_init 0
		.amdhsa_user_sgpr_kernarg_preload_length 0
		.amdhsa_user_sgpr_kernarg_preload_offset 0
		.amdhsa_user_sgpr_private_segment_size 0
		.amdhsa_uses_dynamic_stack 0
		.amdhsa_system_sgpr_private_segment_wavefront_offset 0
		.amdhsa_system_sgpr_workgroup_id_x 1
		.amdhsa_system_sgpr_workgroup_id_y 0
		.amdhsa_system_sgpr_workgroup_id_z 0
		.amdhsa_system_sgpr_workgroup_info 0
		.amdhsa_system_vgpr_workitem_id 0
		.amdhsa_next_free_vgpr 1
		.amdhsa_next_free_sgpr 0
		.amdhsa_accum_offset 4
		.amdhsa_reserve_vcc 0
		.amdhsa_reserve_flat_scratch 0
		.amdhsa_float_round_mode_32 0
		.amdhsa_float_round_mode_16_64 0
		.amdhsa_float_denorm_mode_32 3
		.amdhsa_float_denorm_mode_16_64 3
		.amdhsa_dx10_clamp 1
		.amdhsa_ieee_mode 1
		.amdhsa_fp16_overflow 0
		.amdhsa_tg_split 0
		.amdhsa_exception_fp_ieee_invalid_op 0
		.amdhsa_exception_fp_denorm_src 0
		.amdhsa_exception_fp_ieee_div_zero 0
		.amdhsa_exception_fp_ieee_overflow 0
		.amdhsa_exception_fp_ieee_underflow 0
		.amdhsa_exception_fp_ieee_inexact 0
		.amdhsa_exception_int_div_zero 0
	.end_amdhsa_kernel
	.section	.text._ZN7rocprim17ROCPRIM_400000_NS6detail17trampoline_kernelINS0_14default_configENS1_22reduce_config_selectorIiEEZNS1_11reduce_implILb1ES3_PiS7_iN6thrust23THRUST_200600_302600_NS7maximumIiEEEE10hipError_tPvRmT1_T2_T3_mT4_P12ihipStream_tbEUlT_E0_NS1_11comp_targetILNS1_3genE9ELNS1_11target_archE1100ELNS1_3gpuE3ELNS1_3repE0EEENS1_30default_config_static_selectorELNS0_4arch9wavefront6targetE1EEEvSF_,"axG",@progbits,_ZN7rocprim17ROCPRIM_400000_NS6detail17trampoline_kernelINS0_14default_configENS1_22reduce_config_selectorIiEEZNS1_11reduce_implILb1ES3_PiS7_iN6thrust23THRUST_200600_302600_NS7maximumIiEEEE10hipError_tPvRmT1_T2_T3_mT4_P12ihipStream_tbEUlT_E0_NS1_11comp_targetILNS1_3genE9ELNS1_11target_archE1100ELNS1_3gpuE3ELNS1_3repE0EEENS1_30default_config_static_selectorELNS0_4arch9wavefront6targetE1EEEvSF_,comdat
.Lfunc_end392:
	.size	_ZN7rocprim17ROCPRIM_400000_NS6detail17trampoline_kernelINS0_14default_configENS1_22reduce_config_selectorIiEEZNS1_11reduce_implILb1ES3_PiS7_iN6thrust23THRUST_200600_302600_NS7maximumIiEEEE10hipError_tPvRmT1_T2_T3_mT4_P12ihipStream_tbEUlT_E0_NS1_11comp_targetILNS1_3genE9ELNS1_11target_archE1100ELNS1_3gpuE3ELNS1_3repE0EEENS1_30default_config_static_selectorELNS0_4arch9wavefront6targetE1EEEvSF_, .Lfunc_end392-_ZN7rocprim17ROCPRIM_400000_NS6detail17trampoline_kernelINS0_14default_configENS1_22reduce_config_selectorIiEEZNS1_11reduce_implILb1ES3_PiS7_iN6thrust23THRUST_200600_302600_NS7maximumIiEEEE10hipError_tPvRmT1_T2_T3_mT4_P12ihipStream_tbEUlT_E0_NS1_11comp_targetILNS1_3genE9ELNS1_11target_archE1100ELNS1_3gpuE3ELNS1_3repE0EEENS1_30default_config_static_selectorELNS0_4arch9wavefront6targetE1EEEvSF_
                                        ; -- End function
	.section	.AMDGPU.csdata,"",@progbits
; Kernel info:
; codeLenInByte = 0
; NumSgprs: 4
; NumVgprs: 0
; NumAgprs: 0
; TotalNumVgprs: 0
; ScratchSize: 0
; MemoryBound: 0
; FloatMode: 240
; IeeeMode: 1
; LDSByteSize: 0 bytes/workgroup (compile time only)
; SGPRBlocks: 0
; VGPRBlocks: 0
; NumSGPRsForWavesPerEU: 4
; NumVGPRsForWavesPerEU: 1
; AccumOffset: 4
; Occupancy: 8
; WaveLimiterHint : 0
; COMPUTE_PGM_RSRC2:SCRATCH_EN: 0
; COMPUTE_PGM_RSRC2:USER_SGPR: 6
; COMPUTE_PGM_RSRC2:TRAP_HANDLER: 0
; COMPUTE_PGM_RSRC2:TGID_X_EN: 1
; COMPUTE_PGM_RSRC2:TGID_Y_EN: 0
; COMPUTE_PGM_RSRC2:TGID_Z_EN: 0
; COMPUTE_PGM_RSRC2:TIDIG_COMP_CNT: 0
; COMPUTE_PGM_RSRC3_GFX90A:ACCUM_OFFSET: 0
; COMPUTE_PGM_RSRC3_GFX90A:TG_SPLIT: 0
	.section	.text._ZN7rocprim17ROCPRIM_400000_NS6detail17trampoline_kernelINS0_14default_configENS1_22reduce_config_selectorIiEEZNS1_11reduce_implILb1ES3_PiS7_iN6thrust23THRUST_200600_302600_NS7maximumIiEEEE10hipError_tPvRmT1_T2_T3_mT4_P12ihipStream_tbEUlT_E0_NS1_11comp_targetILNS1_3genE8ELNS1_11target_archE1030ELNS1_3gpuE2ELNS1_3repE0EEENS1_30default_config_static_selectorELNS0_4arch9wavefront6targetE1EEEvSF_,"axG",@progbits,_ZN7rocprim17ROCPRIM_400000_NS6detail17trampoline_kernelINS0_14default_configENS1_22reduce_config_selectorIiEEZNS1_11reduce_implILb1ES3_PiS7_iN6thrust23THRUST_200600_302600_NS7maximumIiEEEE10hipError_tPvRmT1_T2_T3_mT4_P12ihipStream_tbEUlT_E0_NS1_11comp_targetILNS1_3genE8ELNS1_11target_archE1030ELNS1_3gpuE2ELNS1_3repE0EEENS1_30default_config_static_selectorELNS0_4arch9wavefront6targetE1EEEvSF_,comdat
	.protected	_ZN7rocprim17ROCPRIM_400000_NS6detail17trampoline_kernelINS0_14default_configENS1_22reduce_config_selectorIiEEZNS1_11reduce_implILb1ES3_PiS7_iN6thrust23THRUST_200600_302600_NS7maximumIiEEEE10hipError_tPvRmT1_T2_T3_mT4_P12ihipStream_tbEUlT_E0_NS1_11comp_targetILNS1_3genE8ELNS1_11target_archE1030ELNS1_3gpuE2ELNS1_3repE0EEENS1_30default_config_static_selectorELNS0_4arch9wavefront6targetE1EEEvSF_ ; -- Begin function _ZN7rocprim17ROCPRIM_400000_NS6detail17trampoline_kernelINS0_14default_configENS1_22reduce_config_selectorIiEEZNS1_11reduce_implILb1ES3_PiS7_iN6thrust23THRUST_200600_302600_NS7maximumIiEEEE10hipError_tPvRmT1_T2_T3_mT4_P12ihipStream_tbEUlT_E0_NS1_11comp_targetILNS1_3genE8ELNS1_11target_archE1030ELNS1_3gpuE2ELNS1_3repE0EEENS1_30default_config_static_selectorELNS0_4arch9wavefront6targetE1EEEvSF_
	.globl	_ZN7rocprim17ROCPRIM_400000_NS6detail17trampoline_kernelINS0_14default_configENS1_22reduce_config_selectorIiEEZNS1_11reduce_implILb1ES3_PiS7_iN6thrust23THRUST_200600_302600_NS7maximumIiEEEE10hipError_tPvRmT1_T2_T3_mT4_P12ihipStream_tbEUlT_E0_NS1_11comp_targetILNS1_3genE8ELNS1_11target_archE1030ELNS1_3gpuE2ELNS1_3repE0EEENS1_30default_config_static_selectorELNS0_4arch9wavefront6targetE1EEEvSF_
	.p2align	8
	.type	_ZN7rocprim17ROCPRIM_400000_NS6detail17trampoline_kernelINS0_14default_configENS1_22reduce_config_selectorIiEEZNS1_11reduce_implILb1ES3_PiS7_iN6thrust23THRUST_200600_302600_NS7maximumIiEEEE10hipError_tPvRmT1_T2_T3_mT4_P12ihipStream_tbEUlT_E0_NS1_11comp_targetILNS1_3genE8ELNS1_11target_archE1030ELNS1_3gpuE2ELNS1_3repE0EEENS1_30default_config_static_selectorELNS0_4arch9wavefront6targetE1EEEvSF_,@function
_ZN7rocprim17ROCPRIM_400000_NS6detail17trampoline_kernelINS0_14default_configENS1_22reduce_config_selectorIiEEZNS1_11reduce_implILb1ES3_PiS7_iN6thrust23THRUST_200600_302600_NS7maximumIiEEEE10hipError_tPvRmT1_T2_T3_mT4_P12ihipStream_tbEUlT_E0_NS1_11comp_targetILNS1_3genE8ELNS1_11target_archE1030ELNS1_3gpuE2ELNS1_3repE0EEENS1_30default_config_static_selectorELNS0_4arch9wavefront6targetE1EEEvSF_: ; @_ZN7rocprim17ROCPRIM_400000_NS6detail17trampoline_kernelINS0_14default_configENS1_22reduce_config_selectorIiEEZNS1_11reduce_implILb1ES3_PiS7_iN6thrust23THRUST_200600_302600_NS7maximumIiEEEE10hipError_tPvRmT1_T2_T3_mT4_P12ihipStream_tbEUlT_E0_NS1_11comp_targetILNS1_3genE8ELNS1_11target_archE1030ELNS1_3gpuE2ELNS1_3repE0EEENS1_30default_config_static_selectorELNS0_4arch9wavefront6targetE1EEEvSF_
; %bb.0:
	.section	.rodata,"a",@progbits
	.p2align	6, 0x0
	.amdhsa_kernel _ZN7rocprim17ROCPRIM_400000_NS6detail17trampoline_kernelINS0_14default_configENS1_22reduce_config_selectorIiEEZNS1_11reduce_implILb1ES3_PiS7_iN6thrust23THRUST_200600_302600_NS7maximumIiEEEE10hipError_tPvRmT1_T2_T3_mT4_P12ihipStream_tbEUlT_E0_NS1_11comp_targetILNS1_3genE8ELNS1_11target_archE1030ELNS1_3gpuE2ELNS1_3repE0EEENS1_30default_config_static_selectorELNS0_4arch9wavefront6targetE1EEEvSF_
		.amdhsa_group_segment_fixed_size 0
		.amdhsa_private_segment_fixed_size 0
		.amdhsa_kernarg_size 56
		.amdhsa_user_sgpr_count 6
		.amdhsa_user_sgpr_private_segment_buffer 1
		.amdhsa_user_sgpr_dispatch_ptr 0
		.amdhsa_user_sgpr_queue_ptr 0
		.amdhsa_user_sgpr_kernarg_segment_ptr 1
		.amdhsa_user_sgpr_dispatch_id 0
		.amdhsa_user_sgpr_flat_scratch_init 0
		.amdhsa_user_sgpr_kernarg_preload_length 0
		.amdhsa_user_sgpr_kernarg_preload_offset 0
		.amdhsa_user_sgpr_private_segment_size 0
		.amdhsa_uses_dynamic_stack 0
		.amdhsa_system_sgpr_private_segment_wavefront_offset 0
		.amdhsa_system_sgpr_workgroup_id_x 1
		.amdhsa_system_sgpr_workgroup_id_y 0
		.amdhsa_system_sgpr_workgroup_id_z 0
		.amdhsa_system_sgpr_workgroup_info 0
		.amdhsa_system_vgpr_workitem_id 0
		.amdhsa_next_free_vgpr 1
		.amdhsa_next_free_sgpr 0
		.amdhsa_accum_offset 4
		.amdhsa_reserve_vcc 0
		.amdhsa_reserve_flat_scratch 0
		.amdhsa_float_round_mode_32 0
		.amdhsa_float_round_mode_16_64 0
		.amdhsa_float_denorm_mode_32 3
		.amdhsa_float_denorm_mode_16_64 3
		.amdhsa_dx10_clamp 1
		.amdhsa_ieee_mode 1
		.amdhsa_fp16_overflow 0
		.amdhsa_tg_split 0
		.amdhsa_exception_fp_ieee_invalid_op 0
		.amdhsa_exception_fp_denorm_src 0
		.amdhsa_exception_fp_ieee_div_zero 0
		.amdhsa_exception_fp_ieee_overflow 0
		.amdhsa_exception_fp_ieee_underflow 0
		.amdhsa_exception_fp_ieee_inexact 0
		.amdhsa_exception_int_div_zero 0
	.end_amdhsa_kernel
	.section	.text._ZN7rocprim17ROCPRIM_400000_NS6detail17trampoline_kernelINS0_14default_configENS1_22reduce_config_selectorIiEEZNS1_11reduce_implILb1ES3_PiS7_iN6thrust23THRUST_200600_302600_NS7maximumIiEEEE10hipError_tPvRmT1_T2_T3_mT4_P12ihipStream_tbEUlT_E0_NS1_11comp_targetILNS1_3genE8ELNS1_11target_archE1030ELNS1_3gpuE2ELNS1_3repE0EEENS1_30default_config_static_selectorELNS0_4arch9wavefront6targetE1EEEvSF_,"axG",@progbits,_ZN7rocprim17ROCPRIM_400000_NS6detail17trampoline_kernelINS0_14default_configENS1_22reduce_config_selectorIiEEZNS1_11reduce_implILb1ES3_PiS7_iN6thrust23THRUST_200600_302600_NS7maximumIiEEEE10hipError_tPvRmT1_T2_T3_mT4_P12ihipStream_tbEUlT_E0_NS1_11comp_targetILNS1_3genE8ELNS1_11target_archE1030ELNS1_3gpuE2ELNS1_3repE0EEENS1_30default_config_static_selectorELNS0_4arch9wavefront6targetE1EEEvSF_,comdat
.Lfunc_end393:
	.size	_ZN7rocprim17ROCPRIM_400000_NS6detail17trampoline_kernelINS0_14default_configENS1_22reduce_config_selectorIiEEZNS1_11reduce_implILb1ES3_PiS7_iN6thrust23THRUST_200600_302600_NS7maximumIiEEEE10hipError_tPvRmT1_T2_T3_mT4_P12ihipStream_tbEUlT_E0_NS1_11comp_targetILNS1_3genE8ELNS1_11target_archE1030ELNS1_3gpuE2ELNS1_3repE0EEENS1_30default_config_static_selectorELNS0_4arch9wavefront6targetE1EEEvSF_, .Lfunc_end393-_ZN7rocprim17ROCPRIM_400000_NS6detail17trampoline_kernelINS0_14default_configENS1_22reduce_config_selectorIiEEZNS1_11reduce_implILb1ES3_PiS7_iN6thrust23THRUST_200600_302600_NS7maximumIiEEEE10hipError_tPvRmT1_T2_T3_mT4_P12ihipStream_tbEUlT_E0_NS1_11comp_targetILNS1_3genE8ELNS1_11target_archE1030ELNS1_3gpuE2ELNS1_3repE0EEENS1_30default_config_static_selectorELNS0_4arch9wavefront6targetE1EEEvSF_
                                        ; -- End function
	.section	.AMDGPU.csdata,"",@progbits
; Kernel info:
; codeLenInByte = 0
; NumSgprs: 4
; NumVgprs: 0
; NumAgprs: 0
; TotalNumVgprs: 0
; ScratchSize: 0
; MemoryBound: 0
; FloatMode: 240
; IeeeMode: 1
; LDSByteSize: 0 bytes/workgroup (compile time only)
; SGPRBlocks: 0
; VGPRBlocks: 0
; NumSGPRsForWavesPerEU: 4
; NumVGPRsForWavesPerEU: 1
; AccumOffset: 4
; Occupancy: 8
; WaveLimiterHint : 0
; COMPUTE_PGM_RSRC2:SCRATCH_EN: 0
; COMPUTE_PGM_RSRC2:USER_SGPR: 6
; COMPUTE_PGM_RSRC2:TRAP_HANDLER: 0
; COMPUTE_PGM_RSRC2:TGID_X_EN: 1
; COMPUTE_PGM_RSRC2:TGID_Y_EN: 0
; COMPUTE_PGM_RSRC2:TGID_Z_EN: 0
; COMPUTE_PGM_RSRC2:TIDIG_COMP_CNT: 0
; COMPUTE_PGM_RSRC3_GFX90A:ACCUM_OFFSET: 0
; COMPUTE_PGM_RSRC3_GFX90A:TG_SPLIT: 0
	.section	.text._ZN7rocprim17ROCPRIM_400000_NS6detail17trampoline_kernelINS0_14default_configENS1_22reduce_config_selectorIiEEZNS1_11reduce_implILb1ES3_PiS7_iN6thrust23THRUST_200600_302600_NS7maximumIiEEEE10hipError_tPvRmT1_T2_T3_mT4_P12ihipStream_tbEUlT_E1_NS1_11comp_targetILNS1_3genE0ELNS1_11target_archE4294967295ELNS1_3gpuE0ELNS1_3repE0EEENS1_30default_config_static_selectorELNS0_4arch9wavefront6targetE1EEEvSF_,"axG",@progbits,_ZN7rocprim17ROCPRIM_400000_NS6detail17trampoline_kernelINS0_14default_configENS1_22reduce_config_selectorIiEEZNS1_11reduce_implILb1ES3_PiS7_iN6thrust23THRUST_200600_302600_NS7maximumIiEEEE10hipError_tPvRmT1_T2_T3_mT4_P12ihipStream_tbEUlT_E1_NS1_11comp_targetILNS1_3genE0ELNS1_11target_archE4294967295ELNS1_3gpuE0ELNS1_3repE0EEENS1_30default_config_static_selectorELNS0_4arch9wavefront6targetE1EEEvSF_,comdat
	.protected	_ZN7rocprim17ROCPRIM_400000_NS6detail17trampoline_kernelINS0_14default_configENS1_22reduce_config_selectorIiEEZNS1_11reduce_implILb1ES3_PiS7_iN6thrust23THRUST_200600_302600_NS7maximumIiEEEE10hipError_tPvRmT1_T2_T3_mT4_P12ihipStream_tbEUlT_E1_NS1_11comp_targetILNS1_3genE0ELNS1_11target_archE4294967295ELNS1_3gpuE0ELNS1_3repE0EEENS1_30default_config_static_selectorELNS0_4arch9wavefront6targetE1EEEvSF_ ; -- Begin function _ZN7rocprim17ROCPRIM_400000_NS6detail17trampoline_kernelINS0_14default_configENS1_22reduce_config_selectorIiEEZNS1_11reduce_implILb1ES3_PiS7_iN6thrust23THRUST_200600_302600_NS7maximumIiEEEE10hipError_tPvRmT1_T2_T3_mT4_P12ihipStream_tbEUlT_E1_NS1_11comp_targetILNS1_3genE0ELNS1_11target_archE4294967295ELNS1_3gpuE0ELNS1_3repE0EEENS1_30default_config_static_selectorELNS0_4arch9wavefront6targetE1EEEvSF_
	.globl	_ZN7rocprim17ROCPRIM_400000_NS6detail17trampoline_kernelINS0_14default_configENS1_22reduce_config_selectorIiEEZNS1_11reduce_implILb1ES3_PiS7_iN6thrust23THRUST_200600_302600_NS7maximumIiEEEE10hipError_tPvRmT1_T2_T3_mT4_P12ihipStream_tbEUlT_E1_NS1_11comp_targetILNS1_3genE0ELNS1_11target_archE4294967295ELNS1_3gpuE0ELNS1_3repE0EEENS1_30default_config_static_selectorELNS0_4arch9wavefront6targetE1EEEvSF_
	.p2align	8
	.type	_ZN7rocprim17ROCPRIM_400000_NS6detail17trampoline_kernelINS0_14default_configENS1_22reduce_config_selectorIiEEZNS1_11reduce_implILb1ES3_PiS7_iN6thrust23THRUST_200600_302600_NS7maximumIiEEEE10hipError_tPvRmT1_T2_T3_mT4_P12ihipStream_tbEUlT_E1_NS1_11comp_targetILNS1_3genE0ELNS1_11target_archE4294967295ELNS1_3gpuE0ELNS1_3repE0EEENS1_30default_config_static_selectorELNS0_4arch9wavefront6targetE1EEEvSF_,@function
_ZN7rocprim17ROCPRIM_400000_NS6detail17trampoline_kernelINS0_14default_configENS1_22reduce_config_selectorIiEEZNS1_11reduce_implILb1ES3_PiS7_iN6thrust23THRUST_200600_302600_NS7maximumIiEEEE10hipError_tPvRmT1_T2_T3_mT4_P12ihipStream_tbEUlT_E1_NS1_11comp_targetILNS1_3genE0ELNS1_11target_archE4294967295ELNS1_3gpuE0ELNS1_3repE0EEENS1_30default_config_static_selectorELNS0_4arch9wavefront6targetE1EEEvSF_: ; @_ZN7rocprim17ROCPRIM_400000_NS6detail17trampoline_kernelINS0_14default_configENS1_22reduce_config_selectorIiEEZNS1_11reduce_implILb1ES3_PiS7_iN6thrust23THRUST_200600_302600_NS7maximumIiEEEE10hipError_tPvRmT1_T2_T3_mT4_P12ihipStream_tbEUlT_E1_NS1_11comp_targetILNS1_3genE0ELNS1_11target_archE4294967295ELNS1_3gpuE0ELNS1_3repE0EEENS1_30default_config_static_selectorELNS0_4arch9wavefront6targetE1EEEvSF_
; %bb.0:
	.section	.rodata,"a",@progbits
	.p2align	6, 0x0
	.amdhsa_kernel _ZN7rocprim17ROCPRIM_400000_NS6detail17trampoline_kernelINS0_14default_configENS1_22reduce_config_selectorIiEEZNS1_11reduce_implILb1ES3_PiS7_iN6thrust23THRUST_200600_302600_NS7maximumIiEEEE10hipError_tPvRmT1_T2_T3_mT4_P12ihipStream_tbEUlT_E1_NS1_11comp_targetILNS1_3genE0ELNS1_11target_archE4294967295ELNS1_3gpuE0ELNS1_3repE0EEENS1_30default_config_static_selectorELNS0_4arch9wavefront6targetE1EEEvSF_
		.amdhsa_group_segment_fixed_size 0
		.amdhsa_private_segment_fixed_size 0
		.amdhsa_kernarg_size 40
		.amdhsa_user_sgpr_count 6
		.amdhsa_user_sgpr_private_segment_buffer 1
		.amdhsa_user_sgpr_dispatch_ptr 0
		.amdhsa_user_sgpr_queue_ptr 0
		.amdhsa_user_sgpr_kernarg_segment_ptr 1
		.amdhsa_user_sgpr_dispatch_id 0
		.amdhsa_user_sgpr_flat_scratch_init 0
		.amdhsa_user_sgpr_kernarg_preload_length 0
		.amdhsa_user_sgpr_kernarg_preload_offset 0
		.amdhsa_user_sgpr_private_segment_size 0
		.amdhsa_uses_dynamic_stack 0
		.amdhsa_system_sgpr_private_segment_wavefront_offset 0
		.amdhsa_system_sgpr_workgroup_id_x 1
		.amdhsa_system_sgpr_workgroup_id_y 0
		.amdhsa_system_sgpr_workgroup_id_z 0
		.amdhsa_system_sgpr_workgroup_info 0
		.amdhsa_system_vgpr_workitem_id 0
		.amdhsa_next_free_vgpr 1
		.amdhsa_next_free_sgpr 0
		.amdhsa_accum_offset 4
		.amdhsa_reserve_vcc 0
		.amdhsa_reserve_flat_scratch 0
		.amdhsa_float_round_mode_32 0
		.amdhsa_float_round_mode_16_64 0
		.amdhsa_float_denorm_mode_32 3
		.amdhsa_float_denorm_mode_16_64 3
		.amdhsa_dx10_clamp 1
		.amdhsa_ieee_mode 1
		.amdhsa_fp16_overflow 0
		.amdhsa_tg_split 0
		.amdhsa_exception_fp_ieee_invalid_op 0
		.amdhsa_exception_fp_denorm_src 0
		.amdhsa_exception_fp_ieee_div_zero 0
		.amdhsa_exception_fp_ieee_overflow 0
		.amdhsa_exception_fp_ieee_underflow 0
		.amdhsa_exception_fp_ieee_inexact 0
		.amdhsa_exception_int_div_zero 0
	.end_amdhsa_kernel
	.section	.text._ZN7rocprim17ROCPRIM_400000_NS6detail17trampoline_kernelINS0_14default_configENS1_22reduce_config_selectorIiEEZNS1_11reduce_implILb1ES3_PiS7_iN6thrust23THRUST_200600_302600_NS7maximumIiEEEE10hipError_tPvRmT1_T2_T3_mT4_P12ihipStream_tbEUlT_E1_NS1_11comp_targetILNS1_3genE0ELNS1_11target_archE4294967295ELNS1_3gpuE0ELNS1_3repE0EEENS1_30default_config_static_selectorELNS0_4arch9wavefront6targetE1EEEvSF_,"axG",@progbits,_ZN7rocprim17ROCPRIM_400000_NS6detail17trampoline_kernelINS0_14default_configENS1_22reduce_config_selectorIiEEZNS1_11reduce_implILb1ES3_PiS7_iN6thrust23THRUST_200600_302600_NS7maximumIiEEEE10hipError_tPvRmT1_T2_T3_mT4_P12ihipStream_tbEUlT_E1_NS1_11comp_targetILNS1_3genE0ELNS1_11target_archE4294967295ELNS1_3gpuE0ELNS1_3repE0EEENS1_30default_config_static_selectorELNS0_4arch9wavefront6targetE1EEEvSF_,comdat
.Lfunc_end394:
	.size	_ZN7rocprim17ROCPRIM_400000_NS6detail17trampoline_kernelINS0_14default_configENS1_22reduce_config_selectorIiEEZNS1_11reduce_implILb1ES3_PiS7_iN6thrust23THRUST_200600_302600_NS7maximumIiEEEE10hipError_tPvRmT1_T2_T3_mT4_P12ihipStream_tbEUlT_E1_NS1_11comp_targetILNS1_3genE0ELNS1_11target_archE4294967295ELNS1_3gpuE0ELNS1_3repE0EEENS1_30default_config_static_selectorELNS0_4arch9wavefront6targetE1EEEvSF_, .Lfunc_end394-_ZN7rocprim17ROCPRIM_400000_NS6detail17trampoline_kernelINS0_14default_configENS1_22reduce_config_selectorIiEEZNS1_11reduce_implILb1ES3_PiS7_iN6thrust23THRUST_200600_302600_NS7maximumIiEEEE10hipError_tPvRmT1_T2_T3_mT4_P12ihipStream_tbEUlT_E1_NS1_11comp_targetILNS1_3genE0ELNS1_11target_archE4294967295ELNS1_3gpuE0ELNS1_3repE0EEENS1_30default_config_static_selectorELNS0_4arch9wavefront6targetE1EEEvSF_
                                        ; -- End function
	.section	.AMDGPU.csdata,"",@progbits
; Kernel info:
; codeLenInByte = 0
; NumSgprs: 4
; NumVgprs: 0
; NumAgprs: 0
; TotalNumVgprs: 0
; ScratchSize: 0
; MemoryBound: 0
; FloatMode: 240
; IeeeMode: 1
; LDSByteSize: 0 bytes/workgroup (compile time only)
; SGPRBlocks: 0
; VGPRBlocks: 0
; NumSGPRsForWavesPerEU: 4
; NumVGPRsForWavesPerEU: 1
; AccumOffset: 4
; Occupancy: 8
; WaveLimiterHint : 0
; COMPUTE_PGM_RSRC2:SCRATCH_EN: 0
; COMPUTE_PGM_RSRC2:USER_SGPR: 6
; COMPUTE_PGM_RSRC2:TRAP_HANDLER: 0
; COMPUTE_PGM_RSRC2:TGID_X_EN: 1
; COMPUTE_PGM_RSRC2:TGID_Y_EN: 0
; COMPUTE_PGM_RSRC2:TGID_Z_EN: 0
; COMPUTE_PGM_RSRC2:TIDIG_COMP_CNT: 0
; COMPUTE_PGM_RSRC3_GFX90A:ACCUM_OFFSET: 0
; COMPUTE_PGM_RSRC3_GFX90A:TG_SPLIT: 0
	.section	.text._ZN7rocprim17ROCPRIM_400000_NS6detail17trampoline_kernelINS0_14default_configENS1_22reduce_config_selectorIiEEZNS1_11reduce_implILb1ES3_PiS7_iN6thrust23THRUST_200600_302600_NS7maximumIiEEEE10hipError_tPvRmT1_T2_T3_mT4_P12ihipStream_tbEUlT_E1_NS1_11comp_targetILNS1_3genE5ELNS1_11target_archE942ELNS1_3gpuE9ELNS1_3repE0EEENS1_30default_config_static_selectorELNS0_4arch9wavefront6targetE1EEEvSF_,"axG",@progbits,_ZN7rocprim17ROCPRIM_400000_NS6detail17trampoline_kernelINS0_14default_configENS1_22reduce_config_selectorIiEEZNS1_11reduce_implILb1ES3_PiS7_iN6thrust23THRUST_200600_302600_NS7maximumIiEEEE10hipError_tPvRmT1_T2_T3_mT4_P12ihipStream_tbEUlT_E1_NS1_11comp_targetILNS1_3genE5ELNS1_11target_archE942ELNS1_3gpuE9ELNS1_3repE0EEENS1_30default_config_static_selectorELNS0_4arch9wavefront6targetE1EEEvSF_,comdat
	.protected	_ZN7rocprim17ROCPRIM_400000_NS6detail17trampoline_kernelINS0_14default_configENS1_22reduce_config_selectorIiEEZNS1_11reduce_implILb1ES3_PiS7_iN6thrust23THRUST_200600_302600_NS7maximumIiEEEE10hipError_tPvRmT1_T2_T3_mT4_P12ihipStream_tbEUlT_E1_NS1_11comp_targetILNS1_3genE5ELNS1_11target_archE942ELNS1_3gpuE9ELNS1_3repE0EEENS1_30default_config_static_selectorELNS0_4arch9wavefront6targetE1EEEvSF_ ; -- Begin function _ZN7rocprim17ROCPRIM_400000_NS6detail17trampoline_kernelINS0_14default_configENS1_22reduce_config_selectorIiEEZNS1_11reduce_implILb1ES3_PiS7_iN6thrust23THRUST_200600_302600_NS7maximumIiEEEE10hipError_tPvRmT1_T2_T3_mT4_P12ihipStream_tbEUlT_E1_NS1_11comp_targetILNS1_3genE5ELNS1_11target_archE942ELNS1_3gpuE9ELNS1_3repE0EEENS1_30default_config_static_selectorELNS0_4arch9wavefront6targetE1EEEvSF_
	.globl	_ZN7rocprim17ROCPRIM_400000_NS6detail17trampoline_kernelINS0_14default_configENS1_22reduce_config_selectorIiEEZNS1_11reduce_implILb1ES3_PiS7_iN6thrust23THRUST_200600_302600_NS7maximumIiEEEE10hipError_tPvRmT1_T2_T3_mT4_P12ihipStream_tbEUlT_E1_NS1_11comp_targetILNS1_3genE5ELNS1_11target_archE942ELNS1_3gpuE9ELNS1_3repE0EEENS1_30default_config_static_selectorELNS0_4arch9wavefront6targetE1EEEvSF_
	.p2align	8
	.type	_ZN7rocprim17ROCPRIM_400000_NS6detail17trampoline_kernelINS0_14default_configENS1_22reduce_config_selectorIiEEZNS1_11reduce_implILb1ES3_PiS7_iN6thrust23THRUST_200600_302600_NS7maximumIiEEEE10hipError_tPvRmT1_T2_T3_mT4_P12ihipStream_tbEUlT_E1_NS1_11comp_targetILNS1_3genE5ELNS1_11target_archE942ELNS1_3gpuE9ELNS1_3repE0EEENS1_30default_config_static_selectorELNS0_4arch9wavefront6targetE1EEEvSF_,@function
_ZN7rocprim17ROCPRIM_400000_NS6detail17trampoline_kernelINS0_14default_configENS1_22reduce_config_selectorIiEEZNS1_11reduce_implILb1ES3_PiS7_iN6thrust23THRUST_200600_302600_NS7maximumIiEEEE10hipError_tPvRmT1_T2_T3_mT4_P12ihipStream_tbEUlT_E1_NS1_11comp_targetILNS1_3genE5ELNS1_11target_archE942ELNS1_3gpuE9ELNS1_3repE0EEENS1_30default_config_static_selectorELNS0_4arch9wavefront6targetE1EEEvSF_: ; @_ZN7rocprim17ROCPRIM_400000_NS6detail17trampoline_kernelINS0_14default_configENS1_22reduce_config_selectorIiEEZNS1_11reduce_implILb1ES3_PiS7_iN6thrust23THRUST_200600_302600_NS7maximumIiEEEE10hipError_tPvRmT1_T2_T3_mT4_P12ihipStream_tbEUlT_E1_NS1_11comp_targetILNS1_3genE5ELNS1_11target_archE942ELNS1_3gpuE9ELNS1_3repE0EEENS1_30default_config_static_selectorELNS0_4arch9wavefront6targetE1EEEvSF_
; %bb.0:
	.section	.rodata,"a",@progbits
	.p2align	6, 0x0
	.amdhsa_kernel _ZN7rocprim17ROCPRIM_400000_NS6detail17trampoline_kernelINS0_14default_configENS1_22reduce_config_selectorIiEEZNS1_11reduce_implILb1ES3_PiS7_iN6thrust23THRUST_200600_302600_NS7maximumIiEEEE10hipError_tPvRmT1_T2_T3_mT4_P12ihipStream_tbEUlT_E1_NS1_11comp_targetILNS1_3genE5ELNS1_11target_archE942ELNS1_3gpuE9ELNS1_3repE0EEENS1_30default_config_static_selectorELNS0_4arch9wavefront6targetE1EEEvSF_
		.amdhsa_group_segment_fixed_size 0
		.amdhsa_private_segment_fixed_size 0
		.amdhsa_kernarg_size 40
		.amdhsa_user_sgpr_count 6
		.amdhsa_user_sgpr_private_segment_buffer 1
		.amdhsa_user_sgpr_dispatch_ptr 0
		.amdhsa_user_sgpr_queue_ptr 0
		.amdhsa_user_sgpr_kernarg_segment_ptr 1
		.amdhsa_user_sgpr_dispatch_id 0
		.amdhsa_user_sgpr_flat_scratch_init 0
		.amdhsa_user_sgpr_kernarg_preload_length 0
		.amdhsa_user_sgpr_kernarg_preload_offset 0
		.amdhsa_user_sgpr_private_segment_size 0
		.amdhsa_uses_dynamic_stack 0
		.amdhsa_system_sgpr_private_segment_wavefront_offset 0
		.amdhsa_system_sgpr_workgroup_id_x 1
		.amdhsa_system_sgpr_workgroup_id_y 0
		.amdhsa_system_sgpr_workgroup_id_z 0
		.amdhsa_system_sgpr_workgroup_info 0
		.amdhsa_system_vgpr_workitem_id 0
		.amdhsa_next_free_vgpr 1
		.amdhsa_next_free_sgpr 0
		.amdhsa_accum_offset 4
		.amdhsa_reserve_vcc 0
		.amdhsa_reserve_flat_scratch 0
		.amdhsa_float_round_mode_32 0
		.amdhsa_float_round_mode_16_64 0
		.amdhsa_float_denorm_mode_32 3
		.amdhsa_float_denorm_mode_16_64 3
		.amdhsa_dx10_clamp 1
		.amdhsa_ieee_mode 1
		.amdhsa_fp16_overflow 0
		.amdhsa_tg_split 0
		.amdhsa_exception_fp_ieee_invalid_op 0
		.amdhsa_exception_fp_denorm_src 0
		.amdhsa_exception_fp_ieee_div_zero 0
		.amdhsa_exception_fp_ieee_overflow 0
		.amdhsa_exception_fp_ieee_underflow 0
		.amdhsa_exception_fp_ieee_inexact 0
		.amdhsa_exception_int_div_zero 0
	.end_amdhsa_kernel
	.section	.text._ZN7rocprim17ROCPRIM_400000_NS6detail17trampoline_kernelINS0_14default_configENS1_22reduce_config_selectorIiEEZNS1_11reduce_implILb1ES3_PiS7_iN6thrust23THRUST_200600_302600_NS7maximumIiEEEE10hipError_tPvRmT1_T2_T3_mT4_P12ihipStream_tbEUlT_E1_NS1_11comp_targetILNS1_3genE5ELNS1_11target_archE942ELNS1_3gpuE9ELNS1_3repE0EEENS1_30default_config_static_selectorELNS0_4arch9wavefront6targetE1EEEvSF_,"axG",@progbits,_ZN7rocprim17ROCPRIM_400000_NS6detail17trampoline_kernelINS0_14default_configENS1_22reduce_config_selectorIiEEZNS1_11reduce_implILb1ES3_PiS7_iN6thrust23THRUST_200600_302600_NS7maximumIiEEEE10hipError_tPvRmT1_T2_T3_mT4_P12ihipStream_tbEUlT_E1_NS1_11comp_targetILNS1_3genE5ELNS1_11target_archE942ELNS1_3gpuE9ELNS1_3repE0EEENS1_30default_config_static_selectorELNS0_4arch9wavefront6targetE1EEEvSF_,comdat
.Lfunc_end395:
	.size	_ZN7rocprim17ROCPRIM_400000_NS6detail17trampoline_kernelINS0_14default_configENS1_22reduce_config_selectorIiEEZNS1_11reduce_implILb1ES3_PiS7_iN6thrust23THRUST_200600_302600_NS7maximumIiEEEE10hipError_tPvRmT1_T2_T3_mT4_P12ihipStream_tbEUlT_E1_NS1_11comp_targetILNS1_3genE5ELNS1_11target_archE942ELNS1_3gpuE9ELNS1_3repE0EEENS1_30default_config_static_selectorELNS0_4arch9wavefront6targetE1EEEvSF_, .Lfunc_end395-_ZN7rocprim17ROCPRIM_400000_NS6detail17trampoline_kernelINS0_14default_configENS1_22reduce_config_selectorIiEEZNS1_11reduce_implILb1ES3_PiS7_iN6thrust23THRUST_200600_302600_NS7maximumIiEEEE10hipError_tPvRmT1_T2_T3_mT4_P12ihipStream_tbEUlT_E1_NS1_11comp_targetILNS1_3genE5ELNS1_11target_archE942ELNS1_3gpuE9ELNS1_3repE0EEENS1_30default_config_static_selectorELNS0_4arch9wavefront6targetE1EEEvSF_
                                        ; -- End function
	.section	.AMDGPU.csdata,"",@progbits
; Kernel info:
; codeLenInByte = 0
; NumSgprs: 4
; NumVgprs: 0
; NumAgprs: 0
; TotalNumVgprs: 0
; ScratchSize: 0
; MemoryBound: 0
; FloatMode: 240
; IeeeMode: 1
; LDSByteSize: 0 bytes/workgroup (compile time only)
; SGPRBlocks: 0
; VGPRBlocks: 0
; NumSGPRsForWavesPerEU: 4
; NumVGPRsForWavesPerEU: 1
; AccumOffset: 4
; Occupancy: 8
; WaveLimiterHint : 0
; COMPUTE_PGM_RSRC2:SCRATCH_EN: 0
; COMPUTE_PGM_RSRC2:USER_SGPR: 6
; COMPUTE_PGM_RSRC2:TRAP_HANDLER: 0
; COMPUTE_PGM_RSRC2:TGID_X_EN: 1
; COMPUTE_PGM_RSRC2:TGID_Y_EN: 0
; COMPUTE_PGM_RSRC2:TGID_Z_EN: 0
; COMPUTE_PGM_RSRC2:TIDIG_COMP_CNT: 0
; COMPUTE_PGM_RSRC3_GFX90A:ACCUM_OFFSET: 0
; COMPUTE_PGM_RSRC3_GFX90A:TG_SPLIT: 0
	.section	.text._ZN7rocprim17ROCPRIM_400000_NS6detail17trampoline_kernelINS0_14default_configENS1_22reduce_config_selectorIiEEZNS1_11reduce_implILb1ES3_PiS7_iN6thrust23THRUST_200600_302600_NS7maximumIiEEEE10hipError_tPvRmT1_T2_T3_mT4_P12ihipStream_tbEUlT_E1_NS1_11comp_targetILNS1_3genE4ELNS1_11target_archE910ELNS1_3gpuE8ELNS1_3repE0EEENS1_30default_config_static_selectorELNS0_4arch9wavefront6targetE1EEEvSF_,"axG",@progbits,_ZN7rocprim17ROCPRIM_400000_NS6detail17trampoline_kernelINS0_14default_configENS1_22reduce_config_selectorIiEEZNS1_11reduce_implILb1ES3_PiS7_iN6thrust23THRUST_200600_302600_NS7maximumIiEEEE10hipError_tPvRmT1_T2_T3_mT4_P12ihipStream_tbEUlT_E1_NS1_11comp_targetILNS1_3genE4ELNS1_11target_archE910ELNS1_3gpuE8ELNS1_3repE0EEENS1_30default_config_static_selectorELNS0_4arch9wavefront6targetE1EEEvSF_,comdat
	.protected	_ZN7rocprim17ROCPRIM_400000_NS6detail17trampoline_kernelINS0_14default_configENS1_22reduce_config_selectorIiEEZNS1_11reduce_implILb1ES3_PiS7_iN6thrust23THRUST_200600_302600_NS7maximumIiEEEE10hipError_tPvRmT1_T2_T3_mT4_P12ihipStream_tbEUlT_E1_NS1_11comp_targetILNS1_3genE4ELNS1_11target_archE910ELNS1_3gpuE8ELNS1_3repE0EEENS1_30default_config_static_selectorELNS0_4arch9wavefront6targetE1EEEvSF_ ; -- Begin function _ZN7rocprim17ROCPRIM_400000_NS6detail17trampoline_kernelINS0_14default_configENS1_22reduce_config_selectorIiEEZNS1_11reduce_implILb1ES3_PiS7_iN6thrust23THRUST_200600_302600_NS7maximumIiEEEE10hipError_tPvRmT1_T2_T3_mT4_P12ihipStream_tbEUlT_E1_NS1_11comp_targetILNS1_3genE4ELNS1_11target_archE910ELNS1_3gpuE8ELNS1_3repE0EEENS1_30default_config_static_selectorELNS0_4arch9wavefront6targetE1EEEvSF_
	.globl	_ZN7rocprim17ROCPRIM_400000_NS6detail17trampoline_kernelINS0_14default_configENS1_22reduce_config_selectorIiEEZNS1_11reduce_implILb1ES3_PiS7_iN6thrust23THRUST_200600_302600_NS7maximumIiEEEE10hipError_tPvRmT1_T2_T3_mT4_P12ihipStream_tbEUlT_E1_NS1_11comp_targetILNS1_3genE4ELNS1_11target_archE910ELNS1_3gpuE8ELNS1_3repE0EEENS1_30default_config_static_selectorELNS0_4arch9wavefront6targetE1EEEvSF_
	.p2align	8
	.type	_ZN7rocprim17ROCPRIM_400000_NS6detail17trampoline_kernelINS0_14default_configENS1_22reduce_config_selectorIiEEZNS1_11reduce_implILb1ES3_PiS7_iN6thrust23THRUST_200600_302600_NS7maximumIiEEEE10hipError_tPvRmT1_T2_T3_mT4_P12ihipStream_tbEUlT_E1_NS1_11comp_targetILNS1_3genE4ELNS1_11target_archE910ELNS1_3gpuE8ELNS1_3repE0EEENS1_30default_config_static_selectorELNS0_4arch9wavefront6targetE1EEEvSF_,@function
_ZN7rocprim17ROCPRIM_400000_NS6detail17trampoline_kernelINS0_14default_configENS1_22reduce_config_selectorIiEEZNS1_11reduce_implILb1ES3_PiS7_iN6thrust23THRUST_200600_302600_NS7maximumIiEEEE10hipError_tPvRmT1_T2_T3_mT4_P12ihipStream_tbEUlT_E1_NS1_11comp_targetILNS1_3genE4ELNS1_11target_archE910ELNS1_3gpuE8ELNS1_3repE0EEENS1_30default_config_static_selectorELNS0_4arch9wavefront6targetE1EEEvSF_: ; @_ZN7rocprim17ROCPRIM_400000_NS6detail17trampoline_kernelINS0_14default_configENS1_22reduce_config_selectorIiEEZNS1_11reduce_implILb1ES3_PiS7_iN6thrust23THRUST_200600_302600_NS7maximumIiEEEE10hipError_tPvRmT1_T2_T3_mT4_P12ihipStream_tbEUlT_E1_NS1_11comp_targetILNS1_3genE4ELNS1_11target_archE910ELNS1_3gpuE8ELNS1_3repE0EEENS1_30default_config_static_selectorELNS0_4arch9wavefront6targetE1EEEvSF_
; %bb.0:
	s_load_dword s33, s[4:5], 0x4
	s_load_dwordx4 s[68:71], s[4:5], 0x8
	s_waitcnt lgkmcnt(0)
	s_cmp_lt_i32 s33, 8
	s_cbranch_scc1 .LBB396_11
; %bb.1:
	s_cmp_gt_i32 s33, 15
	s_cbranch_scc0 .LBB396_12
; %bb.2:
	s_cmp_gt_i32 s33, 31
	s_cbranch_scc0 .LBB396_13
; %bb.3:
	s_cmp_eq_u32 s33, 32
	s_mov_b64 s[66:67], 0
	s_cbranch_scc0 .LBB396_14
; %bb.4:
	s_mov_b32 s7, 0
	s_lshl_b32 s0, s6, 12
	s_mov_b32 s1, s7
	s_lshr_b64 s[2:3], s[70:71], 12
	s_lshl_b64 s[8:9], s[0:1], 2
	s_add_u32 s72, s68, s8
	s_addc_u32 s73, s69, s9
	s_cmp_lg_u64 s[2:3], s[6:7]
	s_cbranch_scc0 .LBB396_23
; %bb.5:
	v_lshlrev_b32_e32 v1, 2, v0
	v_mov_b32_e32 v2, s73
	v_add_co_u32_e32 v4, vcc, s72, v1
	global_load_dword v6, v1, s[72:73]
	global_load_dword v7, v1, s[72:73] offset:512
	global_load_dword v8, v1, s[72:73] offset:1024
	;; [unrolled: 1-line block ×7, first 2 shown]
	v_addc_co_u32_e32 v5, vcc, 0, v2, vcc
	v_add_co_u32_e32 v2, vcc, 0x1000, v4
	v_addc_co_u32_e32 v3, vcc, 0, v5, vcc
	global_load_dword v1, v[2:3], off
	global_load_dword v14, v[2:3], off offset:512
	global_load_dword v15, v[2:3], off offset:1024
	global_load_dword v16, v[2:3], off offset:1536
	global_load_dword v17, v[2:3], off offset:2048
	global_load_dword v18, v[2:3], off offset:2560
	global_load_dword v19, v[2:3], off offset:3072
	global_load_dword v20, v[2:3], off offset:3584
	v_add_co_u32_e32 v2, vcc, 0x2000, v4
	v_addc_co_u32_e32 v3, vcc, 0, v5, vcc
	global_load_dword v21, v[2:3], off
	global_load_dword v22, v[2:3], off offset:512
	global_load_dword v23, v[2:3], off offset:1024
	global_load_dword v24, v[2:3], off offset:1536
	global_load_dword v25, v[2:3], off offset:2048
	global_load_dword v26, v[2:3], off offset:2560
	global_load_dword v27, v[2:3], off offset:3072
	global_load_dword v28, v[2:3], off offset:3584
	;; [unrolled: 10-line block ×3, first 2 shown]
	v_mbcnt_lo_u32_b32 v2, -1, 0
	v_mbcnt_hi_u32_b32 v2, -1, v2
	v_lshlrev_b32_e32 v3, 2, v2
	v_cmp_eq_u32_e32 vcc, 0, v2
	s_waitcnt vmcnt(30)
	v_max_i32_e32 v6, v6, v7
	s_waitcnt vmcnt(28)
	v_max3_i32 v6, v6, v8, v9
	s_waitcnt vmcnt(26)
	v_max3_i32 v6, v6, v10, v11
	s_waitcnt vmcnt(24)
	v_max3_i32 v6, v6, v12, v13
	s_waitcnt vmcnt(22)
	v_max3_i32 v1, v6, v1, v14
	s_waitcnt vmcnt(20)
	v_max3_i32 v1, v1, v15, v16
	s_waitcnt vmcnt(18)
	v_max3_i32 v1, v1, v17, v18
	s_waitcnt vmcnt(16)
	v_max3_i32 v1, v1, v19, v20
	s_waitcnt vmcnt(14)
	v_max3_i32 v1, v1, v21, v22
	s_waitcnt vmcnt(12)
	v_max3_i32 v1, v1, v23, v24
	s_waitcnt vmcnt(10)
	v_max3_i32 v1, v1, v25, v26
	s_waitcnt vmcnt(8)
	v_max3_i32 v1, v1, v27, v28
	s_waitcnt vmcnt(6)
	v_max3_i32 v1, v1, v4, v5
	s_waitcnt vmcnt(4)
	v_max3_i32 v1, v1, v29, v30
	s_waitcnt vmcnt(2)
	v_max3_i32 v1, v1, v31, v32
	v_or_b32_e32 v4, 0xfc, v3
	s_waitcnt vmcnt(0)
	v_max3_i32 v1, v1, v33, v34
	s_nop 1
	v_max_i32_dpp v1, v1, v1 quad_perm:[1,0,3,2] row_mask:0xf bank_mask:0xf bound_ctrl:1
	s_nop 1
	v_max_i32_dpp v1, v1, v1 quad_perm:[2,3,0,1] row_mask:0xf bank_mask:0xf bound_ctrl:1
	s_nop 1
	v_max_i32_dpp v1, v1, v1 row_ror:4 row_mask:0xf bank_mask:0xf bound_ctrl:1
	s_nop 1
	v_max_i32_dpp v1, v1, v1 row_ror:8 row_mask:0xf bank_mask:0xf bound_ctrl:1
	s_nop 1
	v_max_i32_dpp v1, v1, v1 row_bcast:15 row_mask:0xf bank_mask:0xf bound_ctrl:1
	s_nop 1
	v_max_i32_dpp v1, v1, v1 row_bcast:31 row_mask:0xf bank_mask:0xf bound_ctrl:1
	ds_bpermute_b32 v1, v4, v1
	s_and_saveexec_b64 s[2:3], vcc
	s_cbranch_execz .LBB396_7
; %bb.6:
	v_lshrrev_b32_e32 v4, 4, v0
	v_and_b32_e32 v4, 4, v4
	s_waitcnt lgkmcnt(0)
	ds_write_b32 v4, v1 offset:24
.LBB396_7:
	s_or_b64 exec, exec, s[2:3]
	v_cmp_gt_u32_e32 vcc, 64, v0
	s_waitcnt lgkmcnt(0)
	s_barrier
	s_and_saveexec_b64 s[2:3], vcc
	s_cbranch_execz .LBB396_9
; %bb.8:
	v_and_b32_e32 v1, 1, v2
	v_lshlrev_b32_e32 v1, 2, v1
	ds_read_b32 v1, v1 offset:24
	v_or_b32_e32 v2, 4, v3
	s_waitcnt lgkmcnt(0)
	ds_bpermute_b32 v2, v2, v1
	s_waitcnt lgkmcnt(0)
	v_max_i32_e32 v1, v1, v2
.LBB396_9:
	s_or_b64 exec, exec, s[2:3]
.LBB396_10:
	v_cmp_eq_u32_e64 s[0:1], 0, v0
	s_and_b64 vcc, exec, s[66:67]
	s_cbranch_vccnz .LBB396_15
	s_branch .LBB396_93
.LBB396_11:
	s_mov_b64 s[0:1], 0
                                        ; implicit-def: $vgpr1
	s_cbranch_execnz .LBB396_166
	s_branch .LBB396_224
.LBB396_12:
	s_mov_b64 s[0:1], 0
                                        ; implicit-def: $vgpr1
	s_cbranch_execnz .LBB396_134
	s_branch .LBB396_142
.LBB396_13:
	s_mov_b64 s[66:67], -1
.LBB396_14:
	s_mov_b64 s[0:1], 0
                                        ; implicit-def: $vgpr1
	s_and_b64 vcc, exec, s[66:67]
	s_cbranch_vccz .LBB396_93
.LBB396_15:
	s_cmp_eq_u32 s33, 16
	s_cbranch_scc0 .LBB396_22
; %bb.16:
	s_mov_b32 s7, 0
	s_lshl_b32 s0, s6, 11
	s_mov_b32 s1, s7
	s_lshr_b64 s[2:3], s[70:71], 11
	s_lshl_b64 s[8:9], s[0:1], 2
	s_add_u32 s34, s68, s8
	s_addc_u32 s35, s69, s9
	s_cmp_lg_u64 s[2:3], s[6:7]
	s_cbranch_scc0 .LBB396_94
; %bb.17:
	v_lshlrev_b32_e32 v1, 2, v0
	v_mov_b32_e32 v2, s35
	v_add_co_u32_e32 v3, vcc, s34, v1
	global_load_dword v5, v1, s[34:35]
	global_load_dword v6, v1, s[34:35] offset:512
	global_load_dword v7, v1, s[34:35] offset:1024
	;; [unrolled: 1-line block ×7, first 2 shown]
	v_addc_co_u32_e32 v4, vcc, 0, v2, vcc
	v_add_co_u32_e32 v2, vcc, 0x1000, v3
	v_addc_co_u32_e32 v3, vcc, 0, v4, vcc
	global_load_dword v1, v[2:3], off
	global_load_dword v4, v[2:3], off offset:512
	global_load_dword v13, v[2:3], off offset:1024
	;; [unrolled: 1-line block ×7, first 2 shown]
	v_mbcnt_lo_u32_b32 v2, -1, 0
	v_mbcnt_hi_u32_b32 v2, -1, v2
	v_lshlrev_b32_e32 v3, 2, v2
	v_cmp_eq_u32_e32 vcc, 0, v2
	s_waitcnt vmcnt(14)
	v_max_i32_e32 v5, v5, v6
	s_waitcnt vmcnt(12)
	v_max3_i32 v5, v5, v7, v8
	s_waitcnt vmcnt(10)
	v_max3_i32 v5, v5, v9, v10
	;; [unrolled: 2-line block ×4, first 2 shown]
	v_or_b32_e32 v4, 0xfc, v3
	s_waitcnt vmcnt(4)
	v_max3_i32 v1, v1, v13, v14
	s_waitcnt vmcnt(2)
	v_max3_i32 v1, v1, v15, v16
	;; [unrolled: 2-line block ×3, first 2 shown]
	s_nop 1
	v_max_i32_dpp v1, v1, v1 quad_perm:[1,0,3,2] row_mask:0xf bank_mask:0xf bound_ctrl:1
	s_nop 1
	v_max_i32_dpp v1, v1, v1 quad_perm:[2,3,0,1] row_mask:0xf bank_mask:0xf bound_ctrl:1
	s_nop 1
	v_max_i32_dpp v1, v1, v1 row_ror:4 row_mask:0xf bank_mask:0xf bound_ctrl:1
	s_nop 1
	v_max_i32_dpp v1, v1, v1 row_ror:8 row_mask:0xf bank_mask:0xf bound_ctrl:1
	s_nop 1
	v_max_i32_dpp v1, v1, v1 row_bcast:15 row_mask:0xf bank_mask:0xf bound_ctrl:1
	s_nop 1
	v_max_i32_dpp v1, v1, v1 row_bcast:31 row_mask:0xf bank_mask:0xf bound_ctrl:1
	ds_bpermute_b32 v1, v4, v1
	s_and_saveexec_b64 s[2:3], vcc
	s_cbranch_execz .LBB396_19
; %bb.18:
	v_lshrrev_b32_e32 v4, 4, v0
	v_and_b32_e32 v4, 4, v4
	s_waitcnt lgkmcnt(0)
	ds_write_b32 v4, v1
.LBB396_19:
	s_or_b64 exec, exec, s[2:3]
	v_cmp_gt_u32_e32 vcc, 64, v0
	s_waitcnt lgkmcnt(0)
	s_barrier
	s_and_saveexec_b64 s[2:3], vcc
	s_cbranch_execz .LBB396_21
; %bb.20:
	v_and_b32_e32 v1, 1, v2
	v_lshlrev_b32_e32 v1, 2, v1
	ds_read_b32 v1, v1
	v_or_b32_e32 v2, 4, v3
	s_waitcnt lgkmcnt(0)
	ds_bpermute_b32 v2, v2, v1
	s_waitcnt lgkmcnt(0)
	v_max_i32_e32 v1, v1, v2
.LBB396_21:
	s_or_b64 exec, exec, s[2:3]
	s_mov_b64 s[2:3], 0
	s_branch .LBB396_95
.LBB396_22:
                                        ; implicit-def: $vgpr1
	s_branch .LBB396_142
.LBB396_23:
                                        ; implicit-def: $vgpr1
	s_cbranch_execz .LBB396_10
; %bb.24:
	s_sub_i32 s76, s70, s0
	v_cmp_gt_u32_e32 vcc, s76, v0
                                        ; implicit-def: $vgpr1
	s_and_saveexec_b64 s[0:1], vcc
	s_cbranch_execz .LBB396_26
; %bb.25:
	v_lshlrev_b32_e32 v1, 2, v0
	global_load_dword v1, v1, s[72:73]
.LBB396_26:
	s_or_b64 exec, exec, s[0:1]
	v_or_b32_e32 v2, 0x80, v0
	v_cmp_gt_u32_e32 vcc, s76, v2
                                        ; implicit-def: $vgpr2
	s_and_saveexec_b64 s[0:1], vcc
	s_cbranch_execz .LBB396_28
; %bb.27:
	v_lshlrev_b32_e32 v2, 2, v0
	global_load_dword v2, v2, s[72:73] offset:512
.LBB396_28:
	s_or_b64 exec, exec, s[0:1]
	v_or_b32_e32 v3, 0x100, v0
	v_cmp_gt_u32_e64 s[0:1], s76, v3
                                        ; implicit-def: $vgpr3
	s_and_saveexec_b64 s[2:3], s[0:1]
	s_cbranch_execz .LBB396_30
; %bb.29:
	v_lshlrev_b32_e32 v3, 2, v0
	global_load_dword v3, v3, s[72:73] offset:1024
.LBB396_30:
	s_or_b64 exec, exec, s[2:3]
	v_or_b32_e32 v4, 0x180, v0
	v_cmp_gt_u32_e64 s[2:3], s76, v4
                                        ; implicit-def: $vgpr4
	s_and_saveexec_b64 s[8:9], s[2:3]
	s_cbranch_execz .LBB396_32
; %bb.31:
	v_lshlrev_b32_e32 v4, 2, v0
	global_load_dword v4, v4, s[72:73] offset:1536
.LBB396_32:
	s_or_b64 exec, exec, s[8:9]
	v_or_b32_e32 v5, 0x200, v0
	v_cmp_gt_u32_e64 s[8:9], s76, v5
                                        ; implicit-def: $vgpr5
	s_and_saveexec_b64 s[10:11], s[8:9]
	s_cbranch_execz .LBB396_34
; %bb.33:
	v_lshlrev_b32_e32 v5, 2, v0
	global_load_dword v5, v5, s[72:73] offset:2048
.LBB396_34:
	s_or_b64 exec, exec, s[10:11]
	v_or_b32_e32 v6, 0x280, v0
	v_cmp_gt_u32_e64 s[10:11], s76, v6
                                        ; implicit-def: $vgpr6
	s_and_saveexec_b64 s[12:13], s[10:11]
	s_cbranch_execz .LBB396_36
; %bb.35:
	v_lshlrev_b32_e32 v6, 2, v0
	global_load_dword v6, v6, s[72:73] offset:2560
.LBB396_36:
	s_or_b64 exec, exec, s[12:13]
	v_or_b32_e32 v7, 0x300, v0
	v_cmp_gt_u32_e64 s[12:13], s76, v7
                                        ; implicit-def: $vgpr7
	s_and_saveexec_b64 s[14:15], s[12:13]
	s_cbranch_execz .LBB396_38
; %bb.37:
	v_lshlrev_b32_e32 v7, 2, v0
	global_load_dword v7, v7, s[72:73] offset:3072
.LBB396_38:
	s_or_b64 exec, exec, s[14:15]
	v_or_b32_e32 v8, 0x380, v0
	v_cmp_gt_u32_e64 s[14:15], s76, v8
                                        ; implicit-def: $vgpr8
	s_and_saveexec_b64 s[16:17], s[14:15]
	s_cbranch_execz .LBB396_40
; %bb.39:
	v_lshlrev_b32_e32 v8, 2, v0
	global_load_dword v8, v8, s[72:73] offset:3584
.LBB396_40:
	s_or_b64 exec, exec, s[16:17]
	v_or_b32_e32 v10, 0x400, v0
	v_cmp_gt_u32_e64 s[16:17], s76, v10
                                        ; implicit-def: $vgpr9
	s_and_saveexec_b64 s[18:19], s[16:17]
	s_cbranch_execz .LBB396_42
; %bb.41:
	v_lshlrev_b32_e32 v9, 2, v10
	global_load_dword v9, v9, s[72:73]
.LBB396_42:
	s_or_b64 exec, exec, s[18:19]
	v_or_b32_e32 v11, 0x480, v0
	v_cmp_gt_u32_e64 s[18:19], s76, v11
                                        ; implicit-def: $vgpr10
	s_and_saveexec_b64 s[20:21], s[18:19]
	s_cbranch_execz .LBB396_44
; %bb.43:
	v_lshlrev_b32_e32 v10, 2, v11
	global_load_dword v10, v10, s[72:73]
.LBB396_44:
	s_or_b64 exec, exec, s[20:21]
	v_or_b32_e32 v12, 0x500, v0
	v_cmp_gt_u32_e64 s[20:21], s76, v12
                                        ; implicit-def: $vgpr11
	s_and_saveexec_b64 s[22:23], s[20:21]
	s_cbranch_execz .LBB396_46
; %bb.45:
	v_lshlrev_b32_e32 v11, 2, v12
	global_load_dword v11, v11, s[72:73]
.LBB396_46:
	s_or_b64 exec, exec, s[22:23]
	v_or_b32_e32 v13, 0x580, v0
	v_cmp_gt_u32_e64 s[22:23], s76, v13
                                        ; implicit-def: $vgpr12
	s_and_saveexec_b64 s[24:25], s[22:23]
	s_cbranch_execz .LBB396_48
; %bb.47:
	v_lshlrev_b32_e32 v12, 2, v13
	global_load_dword v12, v12, s[72:73]
.LBB396_48:
	s_or_b64 exec, exec, s[24:25]
	v_or_b32_e32 v14, 0x600, v0
	v_cmp_gt_u32_e64 s[24:25], s76, v14
                                        ; implicit-def: $vgpr13
	s_and_saveexec_b64 s[26:27], s[24:25]
	s_cbranch_execz .LBB396_50
; %bb.49:
	v_lshlrev_b32_e32 v13, 2, v14
	global_load_dword v13, v13, s[72:73]
.LBB396_50:
	s_or_b64 exec, exec, s[26:27]
	v_or_b32_e32 v15, 0x680, v0
	v_cmp_gt_u32_e64 s[26:27], s76, v15
                                        ; implicit-def: $vgpr14
	s_and_saveexec_b64 s[28:29], s[26:27]
	s_cbranch_execz .LBB396_52
; %bb.51:
	v_lshlrev_b32_e32 v14, 2, v15
	global_load_dword v14, v14, s[72:73]
.LBB396_52:
	s_or_b64 exec, exec, s[28:29]
	v_or_b32_e32 v16, 0x700, v0
	v_cmp_gt_u32_e64 s[28:29], s76, v16
                                        ; implicit-def: $vgpr15
	s_and_saveexec_b64 s[30:31], s[28:29]
	s_cbranch_execz .LBB396_54
; %bb.53:
	v_lshlrev_b32_e32 v15, 2, v16
	global_load_dword v15, v15, s[72:73]
.LBB396_54:
	s_or_b64 exec, exec, s[30:31]
	v_or_b32_e32 v17, 0x780, v0
	v_cmp_gt_u32_e64 s[30:31], s76, v17
                                        ; implicit-def: $vgpr16
	s_and_saveexec_b64 s[34:35], s[30:31]
	s_cbranch_execz .LBB396_56
; %bb.55:
	v_lshlrev_b32_e32 v16, 2, v17
	global_load_dword v16, v16, s[72:73]
.LBB396_56:
	s_or_b64 exec, exec, s[34:35]
	v_or_b32_e32 v18, 0x800, v0
	v_cmp_gt_u32_e64 s[34:35], s76, v18
                                        ; implicit-def: $vgpr17
	s_and_saveexec_b64 s[36:37], s[34:35]
	s_cbranch_execz .LBB396_58
; %bb.57:
	v_lshlrev_b32_e32 v17, 2, v18
	global_load_dword v17, v17, s[72:73]
.LBB396_58:
	s_or_b64 exec, exec, s[36:37]
	v_or_b32_e32 v19, 0x880, v0
	v_cmp_gt_u32_e64 s[36:37], s76, v19
                                        ; implicit-def: $vgpr18
	s_and_saveexec_b64 s[38:39], s[36:37]
	s_cbranch_execz .LBB396_60
; %bb.59:
	v_lshlrev_b32_e32 v18, 2, v19
	global_load_dword v18, v18, s[72:73]
.LBB396_60:
	s_or_b64 exec, exec, s[38:39]
	v_or_b32_e32 v20, 0x900, v0
	v_cmp_gt_u32_e64 s[38:39], s76, v20
                                        ; implicit-def: $vgpr19
	s_and_saveexec_b64 s[40:41], s[38:39]
	s_cbranch_execz .LBB396_62
; %bb.61:
	v_lshlrev_b32_e32 v19, 2, v20
	global_load_dword v19, v19, s[72:73]
.LBB396_62:
	s_or_b64 exec, exec, s[40:41]
	v_or_b32_e32 v21, 0x980, v0
	v_cmp_gt_u32_e64 s[40:41], s76, v21
                                        ; implicit-def: $vgpr20
	s_and_saveexec_b64 s[42:43], s[40:41]
	s_cbranch_execz .LBB396_64
; %bb.63:
	v_lshlrev_b32_e32 v20, 2, v21
	global_load_dword v20, v20, s[72:73]
.LBB396_64:
	s_or_b64 exec, exec, s[42:43]
	v_or_b32_e32 v22, 0xa00, v0
	v_cmp_gt_u32_e64 s[42:43], s76, v22
                                        ; implicit-def: $vgpr21
	s_and_saveexec_b64 s[44:45], s[42:43]
	s_cbranch_execz .LBB396_66
; %bb.65:
	v_lshlrev_b32_e32 v21, 2, v22
	global_load_dword v21, v21, s[72:73]
.LBB396_66:
	s_or_b64 exec, exec, s[44:45]
	v_or_b32_e32 v23, 0xa80, v0
	v_cmp_gt_u32_e64 s[44:45], s76, v23
                                        ; implicit-def: $vgpr22
	s_and_saveexec_b64 s[46:47], s[44:45]
	s_cbranch_execz .LBB396_68
; %bb.67:
	v_lshlrev_b32_e32 v22, 2, v23
	global_load_dword v22, v22, s[72:73]
.LBB396_68:
	s_or_b64 exec, exec, s[46:47]
	v_or_b32_e32 v24, 0xb00, v0
	v_cmp_gt_u32_e64 s[46:47], s76, v24
                                        ; implicit-def: $vgpr23
	s_and_saveexec_b64 s[48:49], s[46:47]
	s_cbranch_execz .LBB396_70
; %bb.69:
	v_lshlrev_b32_e32 v23, 2, v24
	global_load_dword v23, v23, s[72:73]
.LBB396_70:
	s_or_b64 exec, exec, s[48:49]
	v_or_b32_e32 v25, 0xb80, v0
	v_cmp_gt_u32_e64 s[48:49], s76, v25
                                        ; implicit-def: $vgpr24
	s_and_saveexec_b64 s[50:51], s[48:49]
	s_cbranch_execz .LBB396_72
; %bb.71:
	v_lshlrev_b32_e32 v24, 2, v25
	global_load_dword v24, v24, s[72:73]
.LBB396_72:
	s_or_b64 exec, exec, s[50:51]
	v_or_b32_e32 v26, 0xc00, v0
	v_cmp_gt_u32_e64 s[50:51], s76, v26
                                        ; implicit-def: $vgpr25
	s_and_saveexec_b64 s[52:53], s[50:51]
	s_cbranch_execz .LBB396_74
; %bb.73:
	v_lshlrev_b32_e32 v25, 2, v26
	global_load_dword v25, v25, s[72:73]
.LBB396_74:
	s_or_b64 exec, exec, s[52:53]
	v_or_b32_e32 v27, 0xc80, v0
	v_cmp_gt_u32_e64 s[52:53], s76, v27
                                        ; implicit-def: $vgpr26
	s_and_saveexec_b64 s[54:55], s[52:53]
	s_cbranch_execz .LBB396_76
; %bb.75:
	v_lshlrev_b32_e32 v26, 2, v27
	global_load_dword v26, v26, s[72:73]
.LBB396_76:
	s_or_b64 exec, exec, s[54:55]
	v_or_b32_e32 v28, 0xd00, v0
	v_cmp_gt_u32_e64 s[54:55], s76, v28
                                        ; implicit-def: $vgpr27
	s_and_saveexec_b64 s[56:57], s[54:55]
	s_cbranch_execz .LBB396_78
; %bb.77:
	v_lshlrev_b32_e32 v27, 2, v28
	global_load_dword v27, v27, s[72:73]
.LBB396_78:
	s_or_b64 exec, exec, s[56:57]
	v_or_b32_e32 v29, 0xd80, v0
	v_cmp_gt_u32_e64 s[56:57], s76, v29
                                        ; implicit-def: $vgpr28
	s_and_saveexec_b64 s[58:59], s[56:57]
	s_cbranch_execz .LBB396_80
; %bb.79:
	v_lshlrev_b32_e32 v28, 2, v29
	global_load_dword v28, v28, s[72:73]
.LBB396_80:
	s_or_b64 exec, exec, s[58:59]
	v_or_b32_e32 v30, 0xe00, v0
	v_cmp_gt_u32_e64 s[58:59], s76, v30
                                        ; implicit-def: $vgpr29
	s_and_saveexec_b64 s[60:61], s[58:59]
	s_cbranch_execz .LBB396_82
; %bb.81:
	v_lshlrev_b32_e32 v29, 2, v30
	global_load_dword v29, v29, s[72:73]
.LBB396_82:
	s_or_b64 exec, exec, s[60:61]
	v_or_b32_e32 v31, 0xe80, v0
	v_cmp_gt_u32_e64 s[60:61], s76, v31
                                        ; implicit-def: $vgpr30
	s_and_saveexec_b64 s[62:63], s[60:61]
	s_cbranch_execz .LBB396_84
; %bb.83:
	v_lshlrev_b32_e32 v30, 2, v31
	global_load_dword v30, v30, s[72:73]
.LBB396_84:
	s_or_b64 exec, exec, s[62:63]
	v_or_b32_e32 v32, 0xf00, v0
	v_cmp_gt_u32_e64 s[62:63], s76, v32
                                        ; implicit-def: $vgpr31
	s_and_saveexec_b64 s[64:65], s[62:63]
	s_cbranch_execz .LBB396_86
; %bb.85:
	v_lshlrev_b32_e32 v31, 2, v32
	global_load_dword v31, v31, s[72:73]
.LBB396_86:
	s_or_b64 exec, exec, s[64:65]
	v_or_b32_e32 v33, 0xf80, v0
	v_cmp_gt_u32_e64 s[64:65], s76, v33
                                        ; implicit-def: $vgpr32
	s_and_saveexec_b64 s[74:75], s[64:65]
	s_cbranch_execz .LBB396_88
; %bb.87:
	v_lshlrev_b32_e32 v32, 2, v33
	global_load_dword v32, v32, s[72:73]
.LBB396_88:
	s_or_b64 exec, exec, s[74:75]
	s_waitcnt vmcnt(0)
	v_max_i32_e32 v2, v1, v2
	v_cndmask_b32_e32 v1, v1, v2, vcc
	v_max_i32_e32 v2, v1, v3
	v_cndmask_b32_e64 v1, v1, v2, s[0:1]
	v_max_i32_e32 v2, v1, v4
	v_cndmask_b32_e64 v1, v1, v2, s[2:3]
	;; [unrolled: 2-line block ×30, first 2 shown]
	v_mbcnt_lo_u32_b32 v2, -1, 0
	v_mbcnt_hi_u32_b32 v2, -1, v2
	v_and_b32_e32 v3, 63, v2
	v_cmp_ne_u32_e32 vcc, 63, v3
	v_addc_co_u32_e32 v4, vcc, 0, v2, vcc
	v_lshlrev_b32_e32 v4, 2, v4
	ds_bpermute_b32 v4, v4, v1
	s_min_u32 s2, s76, 0x80
	v_and_b32_e32 v5, 64, v0
	v_sub_u32_e64 v5, s2, v5 clamp
	v_add_u32_e32 v6, 1, v3
	s_waitcnt lgkmcnt(0)
	v_max_i32_e32 v4, v1, v4
	v_cmp_lt_u32_e32 vcc, v6, v5
	v_cndmask_b32_e32 v1, v1, v4, vcc
	v_cmp_gt_u32_e32 vcc, 62, v3
	v_cndmask_b32_e64 v4, 0, 1, vcc
	v_lshlrev_b32_e32 v4, 1, v4
	v_add_lshl_u32 v4, v4, v2, 2
	ds_bpermute_b32 v4, v4, v1
	v_add_u32_e32 v6, 2, v3
	v_cmp_lt_u32_e32 vcc, v6, v5
	v_add_u32_e32 v6, 4, v3
	s_waitcnt lgkmcnt(0)
	v_max_i32_e32 v4, v1, v4
	v_cndmask_b32_e32 v1, v1, v4, vcc
	v_cmp_gt_u32_e32 vcc, 60, v3
	v_cndmask_b32_e64 v4, 0, 1, vcc
	v_lshlrev_b32_e32 v4, 2, v4
	v_add_lshl_u32 v4, v4, v2, 2
	ds_bpermute_b32 v4, v4, v1
	v_cmp_lt_u32_e32 vcc, v6, v5
	v_add_u32_e32 v6, 8, v3
	s_waitcnt lgkmcnt(0)
	v_max_i32_e32 v4, v1, v4
	v_cndmask_b32_e32 v1, v1, v4, vcc
	v_cmp_gt_u32_e32 vcc, 56, v3
	v_cndmask_b32_e64 v4, 0, 1, vcc
	v_lshlrev_b32_e32 v4, 3, v4
	v_add_lshl_u32 v4, v4, v2, 2
	ds_bpermute_b32 v4, v4, v1
	v_cmp_lt_u32_e32 vcc, v6, v5
	v_add_u32_e32 v6, 16, v3
	s_waitcnt lgkmcnt(0)
	v_max_i32_e32 v4, v1, v4
	v_cndmask_b32_e32 v1, v1, v4, vcc
	v_cmp_gt_u32_e32 vcc, 48, v3
	v_cndmask_b32_e64 v4, 0, 1, vcc
	v_lshlrev_b32_e32 v4, 4, v4
	v_add_lshl_u32 v4, v4, v2, 2
	ds_bpermute_b32 v4, v4, v1
	v_cmp_lt_u32_e32 vcc, v6, v5
	s_waitcnt lgkmcnt(0)
	v_max_i32_e32 v4, v1, v4
	v_cndmask_b32_e32 v1, v1, v4, vcc
	v_cmp_gt_u32_e32 vcc, 32, v3
	v_cndmask_b32_e64 v4, 0, 1, vcc
	v_lshlrev_b32_e32 v4, 5, v4
	v_add_lshl_u32 v4, v4, v2, 2
	ds_bpermute_b32 v4, v4, v1
	v_add_u32_e32 v3, 32, v3
	v_cmp_lt_u32_e32 vcc, v3, v5
	s_waitcnt lgkmcnt(0)
	v_max_i32_e32 v4, v1, v4
	v_cndmask_b32_e32 v1, v1, v4, vcc
	v_cmp_eq_u32_e32 vcc, 0, v2
	s_and_saveexec_b64 s[0:1], vcc
	s_cbranch_execz .LBB396_90
; %bb.89:
	v_lshrrev_b32_e32 v3, 4, v0
	v_and_b32_e32 v3, 4, v3
	ds_write_b32 v3, v1 offset:48
.LBB396_90:
	s_or_b64 exec, exec, s[0:1]
	v_cmp_gt_u32_e32 vcc, 2, v0
	s_waitcnt lgkmcnt(0)
	s_barrier
	s_and_saveexec_b64 s[0:1], vcc
	s_cbranch_execz .LBB396_92
; %bb.91:
	v_lshlrev_b32_e32 v1, 2, v2
	ds_read_b32 v3, v1 offset:48
	v_or_b32_e32 v1, 4, v1
	s_add_i32 s2, s2, 63
	v_and_b32_e32 v2, 1, v2
	s_lshr_b32 s2, s2, 6
	s_waitcnt lgkmcnt(0)
	ds_bpermute_b32 v1, v1, v3
	v_add_u32_e32 v2, 1, v2
	v_cmp_gt_u32_e32 vcc, s2, v2
	s_waitcnt lgkmcnt(0)
	v_max_i32_e32 v1, v3, v1
	v_cndmask_b32_e32 v1, v3, v1, vcc
.LBB396_92:
	s_or_b64 exec, exec, s[0:1]
	v_cmp_eq_u32_e64 s[0:1], 0, v0
	s_and_b64 vcc, exec, s[66:67]
	s_cbranch_vccnz .LBB396_15
.LBB396_93:
	s_branch .LBB396_142
.LBB396_94:
	s_mov_b64 s[2:3], -1
                                        ; implicit-def: $vgpr1
.LBB396_95:
	s_and_b64 vcc, exec, s[2:3]
	s_cbranch_vccz .LBB396_133
; %bb.96:
	s_sub_i32 s38, s70, s0
	v_cmp_gt_u32_e32 vcc, s38, v0
                                        ; implicit-def: $vgpr2_vgpr3_vgpr4_vgpr5_vgpr6_vgpr7_vgpr8_vgpr9_vgpr10_vgpr11_vgpr12_vgpr13_vgpr14_vgpr15_vgpr16_vgpr17
	s_and_saveexec_b64 s[0:1], vcc
	s_cbranch_execz .LBB396_98
; %bb.97:
	v_lshlrev_b32_e32 v1, 2, v0
	global_load_dword v2, v1, s[34:35]
.LBB396_98:
	s_or_b64 exec, exec, s[0:1]
	v_or_b32_e32 v1, 0x80, v0
	v_cmp_gt_u32_e32 vcc, s38, v1
	s_and_saveexec_b64 s[0:1], vcc
	s_cbranch_execz .LBB396_100
; %bb.99:
	v_lshlrev_b32_e32 v1, 2, v0
	global_load_dword v3, v1, s[34:35] offset:512
.LBB396_100:
	s_or_b64 exec, exec, s[0:1]
	v_or_b32_e32 v1, 0x100, v0
	v_cmp_gt_u32_e64 s[0:1], s38, v1
	s_and_saveexec_b64 s[2:3], s[0:1]
	s_cbranch_execz .LBB396_102
; %bb.101:
	v_lshlrev_b32_e32 v1, 2, v0
	global_load_dword v4, v1, s[34:35] offset:1024
.LBB396_102:
	s_or_b64 exec, exec, s[2:3]
	v_or_b32_e32 v1, 0x180, v0
	v_cmp_gt_u32_e64 s[2:3], s38, v1
	s_and_saveexec_b64 s[8:9], s[2:3]
	;; [unrolled: 9-line block ×7, first 2 shown]
	s_cbranch_execz .LBB396_114
; %bb.113:
	v_lshlrev_b32_e32 v1, 2, v1
	global_load_dword v10, v1, s[34:35]
.LBB396_114:
	s_or_b64 exec, exec, s[18:19]
	v_or_b32_e32 v1, 0x480, v0
	v_cmp_gt_u32_e64 s[18:19], s38, v1
	s_and_saveexec_b64 s[20:21], s[18:19]
	s_cbranch_execz .LBB396_116
; %bb.115:
	v_lshlrev_b32_e32 v1, 2, v1
	global_load_dword v11, v1, s[34:35]
.LBB396_116:
	s_or_b64 exec, exec, s[20:21]
	v_or_b32_e32 v1, 0x500, v0
	v_cmp_gt_u32_e64 s[20:21], s38, v1
	s_and_saveexec_b64 s[22:23], s[20:21]
	;; [unrolled: 9-line block ×7, first 2 shown]
	s_cbranch_execz .LBB396_128
; %bb.127:
	v_lshlrev_b32_e32 v1, 2, v1
	global_load_dword v17, v1, s[34:35]
.LBB396_128:
	s_or_b64 exec, exec, s[36:37]
	s_waitcnt vmcnt(0)
	v_max_i32_e32 v1, v2, v3
	v_cndmask_b32_e32 v1, v2, v1, vcc
	v_max_i32_e32 v2, v1, v4
	v_cndmask_b32_e64 v1, v1, v2, s[0:1]
	v_max_i32_e32 v2, v1, v5
	v_cndmask_b32_e64 v1, v1, v2, s[2:3]
	;; [unrolled: 2-line block ×14, first 2 shown]
	v_mbcnt_lo_u32_b32 v2, -1, 0
	v_mbcnt_hi_u32_b32 v2, -1, v2
	v_and_b32_e32 v3, 63, v2
	v_cmp_ne_u32_e32 vcc, 63, v3
	v_addc_co_u32_e32 v4, vcc, 0, v2, vcc
	v_lshlrev_b32_e32 v4, 2, v4
	ds_bpermute_b32 v4, v4, v1
	s_min_u32 s2, s38, 0x80
	v_and_b32_e32 v5, 64, v0
	v_sub_u32_e64 v5, s2, v5 clamp
	v_add_u32_e32 v6, 1, v3
	s_waitcnt lgkmcnt(0)
	v_max_i32_e32 v4, v1, v4
	v_cmp_lt_u32_e32 vcc, v6, v5
	v_cndmask_b32_e32 v1, v1, v4, vcc
	v_cmp_gt_u32_e32 vcc, 62, v3
	v_cndmask_b32_e64 v4, 0, 1, vcc
	v_lshlrev_b32_e32 v4, 1, v4
	v_add_lshl_u32 v4, v4, v2, 2
	ds_bpermute_b32 v4, v4, v1
	v_add_u32_e32 v6, 2, v3
	v_cmp_lt_u32_e32 vcc, v6, v5
	v_add_u32_e32 v6, 4, v3
	s_waitcnt lgkmcnt(0)
	v_max_i32_e32 v4, v1, v4
	v_cndmask_b32_e32 v1, v1, v4, vcc
	v_cmp_gt_u32_e32 vcc, 60, v3
	v_cndmask_b32_e64 v4, 0, 1, vcc
	v_lshlrev_b32_e32 v4, 2, v4
	v_add_lshl_u32 v4, v4, v2, 2
	ds_bpermute_b32 v4, v4, v1
	v_cmp_lt_u32_e32 vcc, v6, v5
	v_add_u32_e32 v6, 8, v3
	s_waitcnt lgkmcnt(0)
	v_max_i32_e32 v4, v1, v4
	v_cndmask_b32_e32 v1, v1, v4, vcc
	v_cmp_gt_u32_e32 vcc, 56, v3
	v_cndmask_b32_e64 v4, 0, 1, vcc
	v_lshlrev_b32_e32 v4, 3, v4
	v_add_lshl_u32 v4, v4, v2, 2
	ds_bpermute_b32 v4, v4, v1
	;; [unrolled: 10-line block ×3, first 2 shown]
	v_cmp_lt_u32_e32 vcc, v6, v5
	s_waitcnt lgkmcnt(0)
	v_max_i32_e32 v4, v1, v4
	v_cndmask_b32_e32 v1, v1, v4, vcc
	v_cmp_gt_u32_e32 vcc, 32, v3
	v_cndmask_b32_e64 v4, 0, 1, vcc
	v_lshlrev_b32_e32 v4, 5, v4
	v_add_lshl_u32 v4, v4, v2, 2
	ds_bpermute_b32 v4, v4, v1
	v_add_u32_e32 v3, 32, v3
	v_cmp_lt_u32_e32 vcc, v3, v5
	s_waitcnt lgkmcnt(0)
	v_max_i32_e32 v4, v1, v4
	v_cndmask_b32_e32 v1, v1, v4, vcc
	v_cmp_eq_u32_e32 vcc, 0, v2
	s_and_saveexec_b64 s[0:1], vcc
	s_cbranch_execz .LBB396_130
; %bb.129:
	v_lshrrev_b32_e32 v3, 4, v0
	v_and_b32_e32 v3, 4, v3
	ds_write_b32 v3, v1 offset:48
.LBB396_130:
	s_or_b64 exec, exec, s[0:1]
	v_cmp_gt_u32_e32 vcc, 2, v0
	s_waitcnt lgkmcnt(0)
	s_barrier
	s_and_saveexec_b64 s[0:1], vcc
	s_cbranch_execz .LBB396_132
; %bb.131:
	v_lshlrev_b32_e32 v1, 2, v2
	ds_read_b32 v3, v1 offset:48
	v_or_b32_e32 v1, 4, v1
	s_add_i32 s2, s2, 63
	v_and_b32_e32 v2, 1, v2
	s_lshr_b32 s2, s2, 6
	s_waitcnt lgkmcnt(0)
	ds_bpermute_b32 v1, v1, v3
	v_add_u32_e32 v2, 1, v2
	v_cmp_gt_u32_e32 vcc, s2, v2
	s_waitcnt lgkmcnt(0)
	v_max_i32_e32 v1, v3, v1
	v_cndmask_b32_e32 v1, v3, v1, vcc
.LBB396_132:
	s_or_b64 exec, exec, s[0:1]
.LBB396_133:
	v_cmp_eq_u32_e64 s[0:1], 0, v0
	s_branch .LBB396_142
.LBB396_134:
	s_cmp_eq_u32 s33, 8
	s_cbranch_scc0 .LBB396_141
; %bb.135:
	s_mov_b32 s7, 0
	s_lshl_b32 s0, s6, 10
	s_mov_b32 s1, s7
	s_lshr_b64 s[2:3], s[70:71], 10
	s_lshl_b64 s[8:9], s[0:1], 2
	s_add_u32 s16, s68, s8
	s_addc_u32 s17, s69, s9
	s_cmp_lg_u64 s[2:3], s[6:7]
	s_cbranch_scc0 .LBB396_143
; %bb.136:
	v_lshlrev_b32_e32 v1, 2, v0
	global_load_dword v4, v1, s[16:17]
	global_load_dword v5, v1, s[16:17] offset:512
	global_load_dword v6, v1, s[16:17] offset:1024
	;; [unrolled: 1-line block ×7, first 2 shown]
	v_mbcnt_lo_u32_b32 v1, -1, 0
	v_mbcnt_hi_u32_b32 v2, -1, v1
	v_lshlrev_b32_e32 v3, 2, v2
	v_cmp_eq_u32_e32 vcc, 0, v2
	s_waitcnt vmcnt(6)
	v_max_i32_e32 v1, v4, v5
	v_or_b32_e32 v4, 0xfc, v3
	s_waitcnt vmcnt(4)
	v_max3_i32 v1, v1, v6, v7
	s_waitcnt vmcnt(2)
	v_max3_i32 v1, v1, v8, v9
	;; [unrolled: 2-line block ×3, first 2 shown]
	s_nop 1
	v_max_i32_dpp v1, v1, v1 quad_perm:[1,0,3,2] row_mask:0xf bank_mask:0xf bound_ctrl:1
	s_nop 1
	v_max_i32_dpp v1, v1, v1 quad_perm:[2,3,0,1] row_mask:0xf bank_mask:0xf bound_ctrl:1
	s_nop 1
	v_max_i32_dpp v1, v1, v1 row_ror:4 row_mask:0xf bank_mask:0xf bound_ctrl:1
	s_nop 1
	v_max_i32_dpp v1, v1, v1 row_ror:8 row_mask:0xf bank_mask:0xf bound_ctrl:1
	s_nop 1
	v_max_i32_dpp v1, v1, v1 row_bcast:15 row_mask:0xf bank_mask:0xf bound_ctrl:1
	s_nop 1
	v_max_i32_dpp v1, v1, v1 row_bcast:31 row_mask:0xf bank_mask:0xf bound_ctrl:1
	ds_bpermute_b32 v1, v4, v1
	s_and_saveexec_b64 s[2:3], vcc
	s_cbranch_execz .LBB396_138
; %bb.137:
	v_lshrrev_b32_e32 v4, 4, v0
	v_and_b32_e32 v4, 4, v4
	s_waitcnt lgkmcnt(0)
	ds_write_b32 v4, v1 offset:40
.LBB396_138:
	s_or_b64 exec, exec, s[2:3]
	v_cmp_gt_u32_e32 vcc, 64, v0
	s_waitcnt lgkmcnt(0)
	s_barrier
	s_and_saveexec_b64 s[2:3], vcc
	s_cbranch_execz .LBB396_140
; %bb.139:
	v_and_b32_e32 v1, 1, v2
	v_lshlrev_b32_e32 v1, 2, v1
	ds_read_b32 v1, v1 offset:40
	v_or_b32_e32 v2, 4, v3
	s_waitcnt lgkmcnt(0)
	ds_bpermute_b32 v2, v2, v1
	s_waitcnt lgkmcnt(0)
	v_max_i32_e32 v1, v1, v2
.LBB396_140:
	s_or_b64 exec, exec, s[2:3]
	s_branch .LBB396_165
.LBB396_141:
                                        ; implicit-def: $vgpr1
.LBB396_142:
	s_branch .LBB396_224
.LBB396_143:
                                        ; implicit-def: $vgpr1
	s_cbranch_execz .LBB396_165
; %bb.144:
	s_sub_i32 s20, s70, s0
	v_cmp_gt_u32_e32 vcc, s20, v0
                                        ; implicit-def: $vgpr2_vgpr3_vgpr4_vgpr5_vgpr6_vgpr7_vgpr8_vgpr9
	s_and_saveexec_b64 s[0:1], vcc
	s_cbranch_execz .LBB396_146
; %bb.145:
	v_lshlrev_b32_e32 v1, 2, v0
	global_load_dword v2, v1, s[16:17]
.LBB396_146:
	s_or_b64 exec, exec, s[0:1]
	v_or_b32_e32 v1, 0x80, v0
	v_cmp_gt_u32_e32 vcc, s20, v1
	s_and_saveexec_b64 s[0:1], vcc
	s_cbranch_execz .LBB396_148
; %bb.147:
	v_lshlrev_b32_e32 v1, 2, v0
	global_load_dword v3, v1, s[16:17] offset:512
.LBB396_148:
	s_or_b64 exec, exec, s[0:1]
	v_or_b32_e32 v1, 0x100, v0
	v_cmp_gt_u32_e64 s[0:1], s20, v1
	s_and_saveexec_b64 s[2:3], s[0:1]
	s_cbranch_execz .LBB396_150
; %bb.149:
	v_lshlrev_b32_e32 v1, 2, v0
	global_load_dword v4, v1, s[16:17] offset:1024
.LBB396_150:
	s_or_b64 exec, exec, s[2:3]
	v_or_b32_e32 v1, 0x180, v0
	v_cmp_gt_u32_e64 s[2:3], s20, v1
	s_and_saveexec_b64 s[8:9], s[2:3]
	;; [unrolled: 9-line block ×6, first 2 shown]
	s_cbranch_execz .LBB396_160
; %bb.159:
	v_lshlrev_b32_e32 v1, 2, v0
	global_load_dword v9, v1, s[16:17] offset:3584
.LBB396_160:
	s_or_b64 exec, exec, s[18:19]
	s_waitcnt vmcnt(0)
	v_max_i32_e32 v1, v2, v3
	v_cndmask_b32_e32 v1, v2, v1, vcc
	v_max_i32_e32 v2, v1, v4
	v_cndmask_b32_e64 v1, v1, v2, s[0:1]
	v_max_i32_e32 v2, v1, v5
	v_cndmask_b32_e64 v1, v1, v2, s[2:3]
	;; [unrolled: 2-line block ×6, first 2 shown]
	v_mbcnt_lo_u32_b32 v2, -1, 0
	v_mbcnt_hi_u32_b32 v2, -1, v2
	v_and_b32_e32 v3, 63, v2
	v_cmp_ne_u32_e32 vcc, 63, v3
	v_addc_co_u32_e32 v4, vcc, 0, v2, vcc
	v_lshlrev_b32_e32 v4, 2, v4
	ds_bpermute_b32 v4, v4, v1
	s_min_u32 s2, s20, 0x80
	v_and_b32_e32 v5, 64, v0
	v_sub_u32_e64 v5, s2, v5 clamp
	v_add_u32_e32 v6, 1, v3
	s_waitcnt lgkmcnt(0)
	v_max_i32_e32 v4, v1, v4
	v_cmp_lt_u32_e32 vcc, v6, v5
	v_cndmask_b32_e32 v1, v1, v4, vcc
	v_cmp_gt_u32_e32 vcc, 62, v3
	v_cndmask_b32_e64 v4, 0, 1, vcc
	v_lshlrev_b32_e32 v4, 1, v4
	v_add_lshl_u32 v4, v4, v2, 2
	ds_bpermute_b32 v4, v4, v1
	v_add_u32_e32 v6, 2, v3
	v_cmp_lt_u32_e32 vcc, v6, v5
	v_add_u32_e32 v6, 4, v3
	s_waitcnt lgkmcnt(0)
	v_max_i32_e32 v4, v1, v4
	v_cndmask_b32_e32 v1, v1, v4, vcc
	v_cmp_gt_u32_e32 vcc, 60, v3
	v_cndmask_b32_e64 v4, 0, 1, vcc
	v_lshlrev_b32_e32 v4, 2, v4
	v_add_lshl_u32 v4, v4, v2, 2
	ds_bpermute_b32 v4, v4, v1
	v_cmp_lt_u32_e32 vcc, v6, v5
	v_add_u32_e32 v6, 8, v3
	s_waitcnt lgkmcnt(0)
	v_max_i32_e32 v4, v1, v4
	v_cndmask_b32_e32 v1, v1, v4, vcc
	v_cmp_gt_u32_e32 vcc, 56, v3
	v_cndmask_b32_e64 v4, 0, 1, vcc
	v_lshlrev_b32_e32 v4, 3, v4
	v_add_lshl_u32 v4, v4, v2, 2
	ds_bpermute_b32 v4, v4, v1
	;; [unrolled: 10-line block ×3, first 2 shown]
	v_cmp_lt_u32_e32 vcc, v6, v5
	s_waitcnt lgkmcnt(0)
	v_max_i32_e32 v4, v1, v4
	v_cndmask_b32_e32 v1, v1, v4, vcc
	v_cmp_gt_u32_e32 vcc, 32, v3
	v_cndmask_b32_e64 v4, 0, 1, vcc
	v_lshlrev_b32_e32 v4, 5, v4
	v_add_lshl_u32 v4, v4, v2, 2
	ds_bpermute_b32 v4, v4, v1
	v_add_u32_e32 v3, 32, v3
	v_cmp_lt_u32_e32 vcc, v3, v5
	s_waitcnt lgkmcnt(0)
	v_max_i32_e32 v4, v1, v4
	v_cndmask_b32_e32 v1, v1, v4, vcc
	v_cmp_eq_u32_e32 vcc, 0, v2
	s_and_saveexec_b64 s[0:1], vcc
	s_cbranch_execz .LBB396_162
; %bb.161:
	v_lshrrev_b32_e32 v3, 4, v0
	v_and_b32_e32 v3, 4, v3
	ds_write_b32 v3, v1 offset:48
.LBB396_162:
	s_or_b64 exec, exec, s[0:1]
	v_cmp_gt_u32_e32 vcc, 2, v0
	s_waitcnt lgkmcnt(0)
	s_barrier
	s_and_saveexec_b64 s[0:1], vcc
	s_cbranch_execz .LBB396_164
; %bb.163:
	v_lshlrev_b32_e32 v1, 2, v2
	ds_read_b32 v3, v1 offset:48
	v_or_b32_e32 v1, 4, v1
	s_add_i32 s2, s2, 63
	v_and_b32_e32 v2, 1, v2
	s_lshr_b32 s2, s2, 6
	s_waitcnt lgkmcnt(0)
	ds_bpermute_b32 v1, v1, v3
	v_add_u32_e32 v2, 1, v2
	v_cmp_gt_u32_e32 vcc, s2, v2
	s_waitcnt lgkmcnt(0)
	v_max_i32_e32 v1, v3, v1
	v_cndmask_b32_e32 v1, v3, v1, vcc
.LBB396_164:
	s_or_b64 exec, exec, s[0:1]
.LBB396_165:
	v_cmp_eq_u32_e64 s[0:1], 0, v0
	s_branch .LBB396_224
.LBB396_166:
	s_cmp_gt_i32 s33, 1
	s_cbranch_scc0 .LBB396_175
; %bb.167:
	s_cmp_gt_i32 s33, 3
	s_cbranch_scc0 .LBB396_176
; %bb.168:
	s_cmp_eq_u32 s33, 4
	s_cbranch_scc0 .LBB396_177
; %bb.169:
	s_mov_b32 s7, 0
	s_lshl_b32 s0, s6, 9
	s_mov_b32 s1, s7
	s_lshr_b64 s[2:3], s[70:71], 9
	s_lshl_b64 s[8:9], s[0:1], 2
	s_add_u32 s8, s68, s8
	s_addc_u32 s9, s69, s9
	s_cmp_lg_u64 s[2:3], s[6:7]
	s_cbranch_scc0 .LBB396_179
; %bb.170:
	v_lshlrev_b32_e32 v1, 2, v0
	global_load_dword v4, v1, s[8:9]
	global_load_dword v5, v1, s[8:9] offset:512
	global_load_dword v6, v1, s[8:9] offset:1024
	;; [unrolled: 1-line block ×3, first 2 shown]
	v_mbcnt_lo_u32_b32 v1, -1, 0
	v_mbcnt_hi_u32_b32 v2, -1, v1
	v_lshlrev_b32_e32 v3, 2, v2
	v_cmp_eq_u32_e32 vcc, 0, v2
	s_waitcnt vmcnt(2)
	v_max_i32_e32 v1, v4, v5
	v_or_b32_e32 v4, 0xfc, v3
	s_waitcnt vmcnt(0)
	v_max3_i32 v1, v1, v6, v7
	s_nop 1
	v_max_i32_dpp v1, v1, v1 quad_perm:[1,0,3,2] row_mask:0xf bank_mask:0xf bound_ctrl:1
	s_nop 1
	v_max_i32_dpp v1, v1, v1 quad_perm:[2,3,0,1] row_mask:0xf bank_mask:0xf bound_ctrl:1
	s_nop 1
	v_max_i32_dpp v1, v1, v1 row_ror:4 row_mask:0xf bank_mask:0xf bound_ctrl:1
	s_nop 1
	v_max_i32_dpp v1, v1, v1 row_ror:8 row_mask:0xf bank_mask:0xf bound_ctrl:1
	s_nop 1
	v_max_i32_dpp v1, v1, v1 row_bcast:15 row_mask:0xf bank_mask:0xf bound_ctrl:1
	s_nop 1
	v_max_i32_dpp v1, v1, v1 row_bcast:31 row_mask:0xf bank_mask:0xf bound_ctrl:1
	ds_bpermute_b32 v1, v4, v1
	s_and_saveexec_b64 s[2:3], vcc
	s_cbranch_execz .LBB396_172
; %bb.171:
	v_lshrrev_b32_e32 v4, 4, v0
	v_and_b32_e32 v4, 4, v4
	s_waitcnt lgkmcnt(0)
	ds_write_b32 v4, v1 offset:32
.LBB396_172:
	s_or_b64 exec, exec, s[2:3]
	v_cmp_gt_u32_e32 vcc, 64, v0
	s_waitcnt lgkmcnt(0)
	s_barrier
	s_and_saveexec_b64 s[2:3], vcc
	s_cbranch_execz .LBB396_174
; %bb.173:
	v_and_b32_e32 v1, 1, v2
	v_lshlrev_b32_e32 v1, 2, v1
	ds_read_b32 v1, v1 offset:32
	v_or_b32_e32 v2, 4, v3
	s_waitcnt lgkmcnt(0)
	ds_bpermute_b32 v2, v2, v1
	s_waitcnt lgkmcnt(0)
	v_max_i32_e32 v1, v1, v2
.LBB396_174:
	s_or_b64 exec, exec, s[2:3]
	s_mov_b64 s[2:3], 0
	s_branch .LBB396_180
.LBB396_175:
                                        ; implicit-def: $vgpr1
	s_cbranch_execnz .LBB396_215
	s_branch .LBB396_224
.LBB396_176:
                                        ; implicit-def: $vgpr1
	s_cbranch_execz .LBB396_178
	s_branch .LBB396_195
.LBB396_177:
                                        ; implicit-def: $vgpr1
.LBB396_178:
	s_branch .LBB396_224
.LBB396_179:
	s_mov_b64 s[2:3], -1
                                        ; implicit-def: $vgpr1
.LBB396_180:
	s_and_b64 vcc, exec, s[2:3]
	s_cbranch_vccz .LBB396_194
; %bb.181:
	s_sub_i32 s12, s70, s0
	v_cmp_gt_u32_e32 vcc, s12, v0
                                        ; implicit-def: $vgpr2_vgpr3_vgpr4_vgpr5
	s_and_saveexec_b64 s[0:1], vcc
	s_cbranch_execz .LBB396_183
; %bb.182:
	v_lshlrev_b32_e32 v1, 2, v0
	global_load_dword v2, v1, s[8:9]
.LBB396_183:
	s_or_b64 exec, exec, s[0:1]
	v_or_b32_e32 v1, 0x80, v0
	v_cmp_gt_u32_e32 vcc, s12, v1
	s_and_saveexec_b64 s[0:1], vcc
	s_cbranch_execz .LBB396_185
; %bb.184:
	v_lshlrev_b32_e32 v1, 2, v0
	global_load_dword v3, v1, s[8:9] offset:512
.LBB396_185:
	s_or_b64 exec, exec, s[0:1]
	v_or_b32_e32 v1, 0x100, v0
	v_cmp_gt_u32_e64 s[0:1], s12, v1
	s_and_saveexec_b64 s[2:3], s[0:1]
	s_cbranch_execz .LBB396_187
; %bb.186:
	v_lshlrev_b32_e32 v1, 2, v0
	global_load_dword v4, v1, s[8:9] offset:1024
.LBB396_187:
	s_or_b64 exec, exec, s[2:3]
	v_or_b32_e32 v1, 0x180, v0
	v_cmp_gt_u32_e64 s[2:3], s12, v1
	s_and_saveexec_b64 s[10:11], s[2:3]
	s_cbranch_execz .LBB396_189
; %bb.188:
	v_lshlrev_b32_e32 v1, 2, v0
	global_load_dword v5, v1, s[8:9] offset:1536
.LBB396_189:
	s_or_b64 exec, exec, s[10:11]
	s_waitcnt vmcnt(0)
	v_max_i32_e32 v1, v2, v3
	v_cndmask_b32_e32 v1, v2, v1, vcc
	v_max_i32_e32 v2, v1, v4
	v_cndmask_b32_e64 v1, v1, v2, s[0:1]
	v_max_i32_e32 v2, v1, v5
	v_cndmask_b32_e64 v1, v1, v2, s[2:3]
	v_mbcnt_lo_u32_b32 v2, -1, 0
	v_mbcnt_hi_u32_b32 v2, -1, v2
	v_and_b32_e32 v3, 63, v2
	v_cmp_ne_u32_e32 vcc, 63, v3
	v_addc_co_u32_e32 v4, vcc, 0, v2, vcc
	v_lshlrev_b32_e32 v4, 2, v4
	ds_bpermute_b32 v4, v4, v1
	s_min_u32 s2, s12, 0x80
	v_and_b32_e32 v5, 64, v0
	v_sub_u32_e64 v5, s2, v5 clamp
	v_add_u32_e32 v6, 1, v3
	s_waitcnt lgkmcnt(0)
	v_max_i32_e32 v4, v1, v4
	v_cmp_lt_u32_e32 vcc, v6, v5
	v_cndmask_b32_e32 v1, v1, v4, vcc
	v_cmp_gt_u32_e32 vcc, 62, v3
	v_cndmask_b32_e64 v4, 0, 1, vcc
	v_lshlrev_b32_e32 v4, 1, v4
	v_add_lshl_u32 v4, v4, v2, 2
	ds_bpermute_b32 v4, v4, v1
	v_add_u32_e32 v6, 2, v3
	v_cmp_lt_u32_e32 vcc, v6, v5
	v_add_u32_e32 v6, 4, v3
	s_waitcnt lgkmcnt(0)
	v_max_i32_e32 v4, v1, v4
	v_cndmask_b32_e32 v1, v1, v4, vcc
	v_cmp_gt_u32_e32 vcc, 60, v3
	v_cndmask_b32_e64 v4, 0, 1, vcc
	v_lshlrev_b32_e32 v4, 2, v4
	v_add_lshl_u32 v4, v4, v2, 2
	ds_bpermute_b32 v4, v4, v1
	v_cmp_lt_u32_e32 vcc, v6, v5
	v_add_u32_e32 v6, 8, v3
	s_waitcnt lgkmcnt(0)
	v_max_i32_e32 v4, v1, v4
	v_cndmask_b32_e32 v1, v1, v4, vcc
	v_cmp_gt_u32_e32 vcc, 56, v3
	v_cndmask_b32_e64 v4, 0, 1, vcc
	v_lshlrev_b32_e32 v4, 3, v4
	v_add_lshl_u32 v4, v4, v2, 2
	ds_bpermute_b32 v4, v4, v1
	;; [unrolled: 10-line block ×3, first 2 shown]
	v_cmp_lt_u32_e32 vcc, v6, v5
	s_waitcnt lgkmcnt(0)
	v_max_i32_e32 v4, v1, v4
	v_cndmask_b32_e32 v1, v1, v4, vcc
	v_cmp_gt_u32_e32 vcc, 32, v3
	v_cndmask_b32_e64 v4, 0, 1, vcc
	v_lshlrev_b32_e32 v4, 5, v4
	v_add_lshl_u32 v4, v4, v2, 2
	ds_bpermute_b32 v4, v4, v1
	v_add_u32_e32 v3, 32, v3
	v_cmp_lt_u32_e32 vcc, v3, v5
	s_waitcnt lgkmcnt(0)
	v_max_i32_e32 v4, v1, v4
	v_cndmask_b32_e32 v1, v1, v4, vcc
	v_cmp_eq_u32_e32 vcc, 0, v2
	s_and_saveexec_b64 s[0:1], vcc
	s_cbranch_execz .LBB396_191
; %bb.190:
	v_lshrrev_b32_e32 v3, 4, v0
	v_and_b32_e32 v3, 4, v3
	ds_write_b32 v3, v1 offset:48
.LBB396_191:
	s_or_b64 exec, exec, s[0:1]
	v_cmp_gt_u32_e32 vcc, 2, v0
	s_waitcnt lgkmcnt(0)
	s_barrier
	s_and_saveexec_b64 s[0:1], vcc
	s_cbranch_execz .LBB396_193
; %bb.192:
	v_lshlrev_b32_e32 v1, 2, v2
	ds_read_b32 v3, v1 offset:48
	v_or_b32_e32 v1, 4, v1
	s_add_i32 s2, s2, 63
	v_and_b32_e32 v2, 1, v2
	s_lshr_b32 s2, s2, 6
	s_waitcnt lgkmcnt(0)
	ds_bpermute_b32 v1, v1, v3
	v_add_u32_e32 v2, 1, v2
	v_cmp_gt_u32_e32 vcc, s2, v2
	s_waitcnt lgkmcnt(0)
	v_max_i32_e32 v1, v3, v1
	v_cndmask_b32_e32 v1, v3, v1, vcc
.LBB396_193:
	s_or_b64 exec, exec, s[0:1]
.LBB396_194:
	v_cmp_eq_u32_e64 s[0:1], 0, v0
	s_branch .LBB396_178
.LBB396_195:
	s_cmp_eq_u32 s33, 2
	s_cbranch_scc0 .LBB396_202
; %bb.196:
	s_mov_b32 s7, 0
	s_lshl_b32 s2, s6, 8
	s_mov_b32 s3, s7
	s_lshr_b64 s[8:9], s[70:71], 8
	s_lshl_b64 s[0:1], s[2:3], 2
	s_add_u32 s0, s68, s0
	s_addc_u32 s1, s69, s1
	s_cmp_lg_u64 s[8:9], s[6:7]
	s_cbranch_scc0 .LBB396_203
; %bb.197:
	v_lshlrev_b32_e32 v1, 2, v0
	global_load_dword v4, v1, s[0:1]
	global_load_dword v5, v1, s[0:1] offset:512
	v_mbcnt_lo_u32_b32 v1, -1, 0
	v_mbcnt_hi_u32_b32 v2, -1, v1
	v_lshlrev_b32_e32 v3, 2, v2
	v_cmp_eq_u32_e32 vcc, 0, v2
	s_waitcnt vmcnt(0)
	v_max_i32_e32 v1, v4, v5
	s_nop 1
	v_max_i32_dpp v1, v1, v1 quad_perm:[1,0,3,2] row_mask:0xf bank_mask:0xf bound_ctrl:1
	v_or_b32_e32 v4, 0xfc, v3
	s_nop 0
	v_max_i32_dpp v1, v1, v1 quad_perm:[2,3,0,1] row_mask:0xf bank_mask:0xf bound_ctrl:1
	s_nop 1
	v_max_i32_dpp v1, v1, v1 row_ror:4 row_mask:0xf bank_mask:0xf bound_ctrl:1
	s_nop 1
	v_max_i32_dpp v1, v1, v1 row_ror:8 row_mask:0xf bank_mask:0xf bound_ctrl:1
	s_nop 1
	v_max_i32_dpp v1, v1, v1 row_bcast:15 row_mask:0xf bank_mask:0xf bound_ctrl:1
	s_nop 1
	v_max_i32_dpp v1, v1, v1 row_bcast:31 row_mask:0xf bank_mask:0xf bound_ctrl:1
	ds_bpermute_b32 v1, v4, v1
	s_and_saveexec_b64 s[8:9], vcc
	s_cbranch_execz .LBB396_199
; %bb.198:
	v_lshrrev_b32_e32 v4, 4, v0
	v_and_b32_e32 v4, 4, v4
	s_waitcnt lgkmcnt(0)
	ds_write_b32 v4, v1 offset:16
.LBB396_199:
	s_or_b64 exec, exec, s[8:9]
	v_cmp_gt_u32_e32 vcc, 64, v0
	s_waitcnt lgkmcnt(0)
	s_barrier
	s_and_saveexec_b64 s[8:9], vcc
	s_cbranch_execz .LBB396_201
; %bb.200:
	v_and_b32_e32 v1, 1, v2
	v_lshlrev_b32_e32 v1, 2, v1
	ds_read_b32 v1, v1 offset:16
	v_or_b32_e32 v2, 4, v3
	s_waitcnt lgkmcnt(0)
	ds_bpermute_b32 v2, v2, v1
	s_waitcnt lgkmcnt(0)
	v_max_i32_e32 v1, v1, v2
.LBB396_201:
	s_or_b64 exec, exec, s[8:9]
	s_mov_b64 s[8:9], 0
	s_branch .LBB396_204
.LBB396_202:
                                        ; implicit-def: $vgpr1
	s_branch .LBB396_224
.LBB396_203:
	s_mov_b64 s[8:9], -1
                                        ; implicit-def: $vgpr1
.LBB396_204:
	s_and_b64 vcc, exec, s[8:9]
	s_cbranch_vccz .LBB396_214
; %bb.205:
	s_sub_i32 s8, s70, s2
	v_cmp_gt_u32_e32 vcc, s8, v0
                                        ; implicit-def: $vgpr2_vgpr3
	s_and_saveexec_b64 s[2:3], vcc
	s_cbranch_execz .LBB396_207
; %bb.206:
	v_lshlrev_b32_e32 v1, 2, v0
	global_load_dword v2, v1, s[0:1]
.LBB396_207:
	s_or_b64 exec, exec, s[2:3]
	v_or_b32_e32 v1, 0x80, v0
	v_cmp_gt_u32_e32 vcc, s8, v1
	s_and_saveexec_b64 s[2:3], vcc
	s_cbranch_execz .LBB396_209
; %bb.208:
	v_lshlrev_b32_e32 v1, 2, v0
	global_load_dword v3, v1, s[0:1] offset:512
.LBB396_209:
	s_or_b64 exec, exec, s[2:3]
	s_waitcnt vmcnt(0)
	v_max_i32_e32 v1, v2, v3
	v_cndmask_b32_e32 v1, v2, v1, vcc
	v_mbcnt_lo_u32_b32 v2, -1, 0
	v_mbcnt_hi_u32_b32 v2, -1, v2
	v_and_b32_e32 v3, 63, v2
	v_cmp_ne_u32_e32 vcc, 63, v3
	v_addc_co_u32_e32 v4, vcc, 0, v2, vcc
	v_lshlrev_b32_e32 v4, 2, v4
	ds_bpermute_b32 v4, v4, v1
	s_min_u32 s2, s8, 0x80
	v_and_b32_e32 v5, 64, v0
	v_sub_u32_e64 v5, s2, v5 clamp
	v_add_u32_e32 v6, 1, v3
	s_waitcnt lgkmcnt(0)
	v_max_i32_e32 v4, v1, v4
	v_cmp_lt_u32_e32 vcc, v6, v5
	v_cndmask_b32_e32 v1, v1, v4, vcc
	v_cmp_gt_u32_e32 vcc, 62, v3
	v_cndmask_b32_e64 v4, 0, 1, vcc
	v_lshlrev_b32_e32 v4, 1, v4
	v_add_lshl_u32 v4, v4, v2, 2
	ds_bpermute_b32 v4, v4, v1
	v_add_u32_e32 v6, 2, v3
	v_cmp_lt_u32_e32 vcc, v6, v5
	v_add_u32_e32 v6, 4, v3
	s_waitcnt lgkmcnt(0)
	v_max_i32_e32 v4, v1, v4
	v_cndmask_b32_e32 v1, v1, v4, vcc
	v_cmp_gt_u32_e32 vcc, 60, v3
	v_cndmask_b32_e64 v4, 0, 1, vcc
	v_lshlrev_b32_e32 v4, 2, v4
	v_add_lshl_u32 v4, v4, v2, 2
	ds_bpermute_b32 v4, v4, v1
	v_cmp_lt_u32_e32 vcc, v6, v5
	v_add_u32_e32 v6, 8, v3
	s_waitcnt lgkmcnt(0)
	v_max_i32_e32 v4, v1, v4
	v_cndmask_b32_e32 v1, v1, v4, vcc
	v_cmp_gt_u32_e32 vcc, 56, v3
	v_cndmask_b32_e64 v4, 0, 1, vcc
	v_lshlrev_b32_e32 v4, 3, v4
	v_add_lshl_u32 v4, v4, v2, 2
	ds_bpermute_b32 v4, v4, v1
	;; [unrolled: 10-line block ×3, first 2 shown]
	v_cmp_lt_u32_e32 vcc, v6, v5
	s_waitcnt lgkmcnt(0)
	v_max_i32_e32 v4, v1, v4
	v_cndmask_b32_e32 v1, v1, v4, vcc
	v_cmp_gt_u32_e32 vcc, 32, v3
	v_cndmask_b32_e64 v4, 0, 1, vcc
	v_lshlrev_b32_e32 v4, 5, v4
	v_add_lshl_u32 v4, v4, v2, 2
	ds_bpermute_b32 v4, v4, v1
	v_add_u32_e32 v3, 32, v3
	v_cmp_lt_u32_e32 vcc, v3, v5
	s_waitcnt lgkmcnt(0)
	v_max_i32_e32 v4, v1, v4
	v_cndmask_b32_e32 v1, v1, v4, vcc
	v_cmp_eq_u32_e32 vcc, 0, v2
	s_and_saveexec_b64 s[0:1], vcc
	s_cbranch_execz .LBB396_211
; %bb.210:
	v_lshrrev_b32_e32 v3, 4, v0
	v_and_b32_e32 v3, 4, v3
	ds_write_b32 v3, v1 offset:48
.LBB396_211:
	s_or_b64 exec, exec, s[0:1]
	v_cmp_gt_u32_e32 vcc, 2, v0
	s_waitcnt lgkmcnt(0)
	s_barrier
	s_and_saveexec_b64 s[0:1], vcc
	s_cbranch_execz .LBB396_213
; %bb.212:
	v_lshlrev_b32_e32 v1, 2, v2
	ds_read_b32 v3, v1 offset:48
	v_or_b32_e32 v1, 4, v1
	s_add_i32 s2, s2, 63
	v_and_b32_e32 v2, 1, v2
	s_lshr_b32 s2, s2, 6
	s_waitcnt lgkmcnt(0)
	ds_bpermute_b32 v1, v1, v3
	v_add_u32_e32 v2, 1, v2
	v_cmp_gt_u32_e32 vcc, s2, v2
	s_waitcnt lgkmcnt(0)
	v_max_i32_e32 v1, v3, v1
	v_cndmask_b32_e32 v1, v3, v1, vcc
.LBB396_213:
	s_or_b64 exec, exec, s[0:1]
.LBB396_214:
	v_cmp_eq_u32_e64 s[0:1], 0, v0
	s_branch .LBB396_224
.LBB396_215:
	s_cmp_eq_u32 s33, 1
	s_cbranch_scc0 .LBB396_223
; %bb.216:
	s_mov_b32 s1, 0
	s_lshl_b32 s0, s6, 7
	s_mov_b32 s7, s1
	s_lshr_b64 s[2:3], s[70:71], 7
	s_cmp_lg_u64 s[2:3], s[6:7]
	v_mbcnt_lo_u32_b32 v2, -1, 0
	s_cbranch_scc0 .LBB396_227
; %bb.217:
	s_lshl_b64 s[2:3], s[0:1], 2
	s_add_u32 s2, s68, s2
	s_addc_u32 s3, s69, s3
	v_lshlrev_b32_e32 v1, 2, v0
	global_load_dword v1, v1, s[2:3]
	v_mbcnt_hi_u32_b32 v3, -1, v2
	v_lshlrev_b32_e32 v4, 2, v3
	v_or_b32_e32 v5, 0xfc, v4
	v_cmp_eq_u32_e32 vcc, 0, v3
	s_waitcnt vmcnt(0)
	v_max_i32_dpp v1, v1, v1 quad_perm:[1,0,3,2] row_mask:0xf bank_mask:0xf bound_ctrl:1
	s_nop 1
	v_max_i32_dpp v1, v1, v1 quad_perm:[2,3,0,1] row_mask:0xf bank_mask:0xf bound_ctrl:1
	s_nop 1
	v_max_i32_dpp v1, v1, v1 row_ror:4 row_mask:0xf bank_mask:0xf bound_ctrl:1
	s_nop 1
	v_max_i32_dpp v1, v1, v1 row_ror:8 row_mask:0xf bank_mask:0xf bound_ctrl:1
	s_nop 1
	v_max_i32_dpp v1, v1, v1 row_bcast:15 row_mask:0xf bank_mask:0xf bound_ctrl:1
	s_nop 1
	v_max_i32_dpp v1, v1, v1 row_bcast:31 row_mask:0xf bank_mask:0xf bound_ctrl:1
	ds_bpermute_b32 v1, v5, v1
	s_and_saveexec_b64 s[2:3], vcc
	s_cbranch_execz .LBB396_219
; %bb.218:
	v_lshrrev_b32_e32 v5, 4, v0
	v_and_b32_e32 v5, 4, v5
	s_waitcnt lgkmcnt(0)
	ds_write_b32 v5, v1 offset:8
.LBB396_219:
	s_or_b64 exec, exec, s[2:3]
	v_cmp_gt_u32_e32 vcc, 64, v0
	s_waitcnt lgkmcnt(0)
	s_barrier
	s_and_saveexec_b64 s[2:3], vcc
	s_cbranch_execz .LBB396_221
; %bb.220:
	v_and_b32_e32 v1, 1, v3
	v_lshlrev_b32_e32 v1, 2, v1
	ds_read_b32 v1, v1 offset:8
	v_or_b32_e32 v3, 4, v4
	s_waitcnt lgkmcnt(0)
	ds_bpermute_b32 v3, v3, v1
	s_waitcnt lgkmcnt(0)
	v_max_i32_e32 v1, v1, v3
.LBB396_221:
	s_or_b64 exec, exec, s[2:3]
.LBB396_222:
	v_cmp_eq_u32_e64 s[0:1], 0, v0
	s_and_saveexec_b64 s[2:3], s[0:1]
	s_cbranch_execnz .LBB396_225
	s_branch .LBB396_226
.LBB396_223:
                                        ; implicit-def: $vgpr1
                                        ; implicit-def: $sgpr6_sgpr7
.LBB396_224:
	s_and_saveexec_b64 s[2:3], s[0:1]
	s_cbranch_execz .LBB396_226
.LBB396_225:
	s_load_dwordx2 s[0:1], s[4:5], 0x18
	s_load_dword s8, s[4:5], 0x20
	s_lshl_b64 s[2:3], s[6:7], 2
	v_mov_b32_e32 v0, 0
	s_waitcnt lgkmcnt(0)
	s_add_u32 s0, s0, s2
	s_addc_u32 s1, s1, s3
	s_cmp_eq_u64 s[70:71], 0
	v_max_i32_e32 v1, s8, v1
	v_mov_b32_e32 v2, s8
	s_cselect_b64 vcc, -1, 0
	v_cndmask_b32_e32 v1, v1, v2, vcc
	global_store_dword v0, v1, s[0:1]
.LBB396_226:
	s_endpgm
.LBB396_227:
                                        ; implicit-def: $vgpr1
	s_cbranch_execz .LBB396_222
; %bb.228:
	s_sub_i32 s8, s70, s0
	v_cmp_gt_u32_e32 vcc, s8, v0
                                        ; implicit-def: $vgpr1
	s_and_saveexec_b64 s[2:3], vcc
	s_cbranch_execz .LBB396_230
; %bb.229:
	s_lshl_b64 s[0:1], s[0:1], 2
	s_add_u32 s0, s68, s0
	s_addc_u32 s1, s69, s1
	v_lshlrev_b32_e32 v1, 2, v0
	global_load_dword v1, v1, s[0:1]
.LBB396_230:
	s_or_b64 exec, exec, s[2:3]
	v_mbcnt_hi_u32_b32 v2, -1, v2
	v_and_b32_e32 v3, 63, v2
	v_cmp_ne_u32_e32 vcc, 63, v3
	v_addc_co_u32_e32 v4, vcc, 0, v2, vcc
	v_lshlrev_b32_e32 v4, 2, v4
	s_waitcnt vmcnt(0)
	ds_bpermute_b32 v4, v4, v1
	s_min_u32 s2, s8, 0x80
	v_and_b32_e32 v5, 64, v0
	v_sub_u32_e64 v5, s2, v5 clamp
	v_add_u32_e32 v6, 1, v3
	s_waitcnt lgkmcnt(0)
	v_max_i32_e32 v4, v1, v4
	v_cmp_lt_u32_e32 vcc, v6, v5
	v_cndmask_b32_e32 v1, v1, v4, vcc
	v_cmp_gt_u32_e32 vcc, 62, v3
	v_cndmask_b32_e64 v4, 0, 1, vcc
	v_lshlrev_b32_e32 v4, 1, v4
	v_add_lshl_u32 v4, v4, v2, 2
	ds_bpermute_b32 v4, v4, v1
	v_add_u32_e32 v6, 2, v3
	v_cmp_lt_u32_e32 vcc, v6, v5
	v_add_u32_e32 v6, 4, v3
	s_waitcnt lgkmcnt(0)
	v_max_i32_e32 v4, v1, v4
	v_cndmask_b32_e32 v1, v1, v4, vcc
	v_cmp_gt_u32_e32 vcc, 60, v3
	v_cndmask_b32_e64 v4, 0, 1, vcc
	v_lshlrev_b32_e32 v4, 2, v4
	v_add_lshl_u32 v4, v4, v2, 2
	ds_bpermute_b32 v4, v4, v1
	v_cmp_lt_u32_e32 vcc, v6, v5
	v_add_u32_e32 v6, 8, v3
	s_waitcnt lgkmcnt(0)
	v_max_i32_e32 v4, v1, v4
	v_cndmask_b32_e32 v1, v1, v4, vcc
	v_cmp_gt_u32_e32 vcc, 56, v3
	v_cndmask_b32_e64 v4, 0, 1, vcc
	v_lshlrev_b32_e32 v4, 3, v4
	v_add_lshl_u32 v4, v4, v2, 2
	ds_bpermute_b32 v4, v4, v1
	;; [unrolled: 10-line block ×3, first 2 shown]
	v_cmp_lt_u32_e32 vcc, v6, v5
	s_waitcnt lgkmcnt(0)
	v_max_i32_e32 v4, v1, v4
	v_cndmask_b32_e32 v1, v1, v4, vcc
	v_cmp_gt_u32_e32 vcc, 32, v3
	v_cndmask_b32_e64 v4, 0, 1, vcc
	v_lshlrev_b32_e32 v4, 5, v4
	v_add_lshl_u32 v4, v4, v2, 2
	ds_bpermute_b32 v4, v4, v1
	v_add_u32_e32 v3, 32, v3
	v_cmp_lt_u32_e32 vcc, v3, v5
	s_waitcnt lgkmcnt(0)
	v_max_i32_e32 v4, v1, v4
	v_cndmask_b32_e32 v1, v1, v4, vcc
	v_cmp_eq_u32_e32 vcc, 0, v2
	s_and_saveexec_b64 s[0:1], vcc
	s_cbranch_execz .LBB396_232
; %bb.231:
	v_lshrrev_b32_e32 v3, 4, v0
	v_and_b32_e32 v3, 4, v3
	ds_write_b32 v3, v1 offset:48
.LBB396_232:
	s_or_b64 exec, exec, s[0:1]
	v_cmp_gt_u32_e32 vcc, 2, v0
	s_waitcnt lgkmcnt(0)
	s_barrier
	s_and_saveexec_b64 s[0:1], vcc
	s_cbranch_execz .LBB396_234
; %bb.233:
	v_lshlrev_b32_e32 v1, 2, v2
	ds_read_b32 v3, v1 offset:48
	v_or_b32_e32 v1, 4, v1
	s_add_i32 s2, s2, 63
	v_and_b32_e32 v2, 1, v2
	s_lshr_b32 s2, s2, 6
	s_waitcnt lgkmcnt(0)
	ds_bpermute_b32 v1, v1, v3
	v_add_u32_e32 v2, 1, v2
	v_cmp_gt_u32_e32 vcc, s2, v2
	s_waitcnt lgkmcnt(0)
	v_max_i32_e32 v1, v3, v1
	v_cndmask_b32_e32 v1, v3, v1, vcc
.LBB396_234:
	s_or_b64 exec, exec, s[0:1]
	v_cmp_eq_u32_e64 s[0:1], 0, v0
	s_and_saveexec_b64 s[2:3], s[0:1]
	s_cbranch_execnz .LBB396_225
	s_branch .LBB396_226
	.section	.rodata,"a",@progbits
	.p2align	6, 0x0
	.amdhsa_kernel _ZN7rocprim17ROCPRIM_400000_NS6detail17trampoline_kernelINS0_14default_configENS1_22reduce_config_selectorIiEEZNS1_11reduce_implILb1ES3_PiS7_iN6thrust23THRUST_200600_302600_NS7maximumIiEEEE10hipError_tPvRmT1_T2_T3_mT4_P12ihipStream_tbEUlT_E1_NS1_11comp_targetILNS1_3genE4ELNS1_11target_archE910ELNS1_3gpuE8ELNS1_3repE0EEENS1_30default_config_static_selectorELNS0_4arch9wavefront6targetE1EEEvSF_
		.amdhsa_group_segment_fixed_size 56
		.amdhsa_private_segment_fixed_size 0
		.amdhsa_kernarg_size 40
		.amdhsa_user_sgpr_count 6
		.amdhsa_user_sgpr_private_segment_buffer 1
		.amdhsa_user_sgpr_dispatch_ptr 0
		.amdhsa_user_sgpr_queue_ptr 0
		.amdhsa_user_sgpr_kernarg_segment_ptr 1
		.amdhsa_user_sgpr_dispatch_id 0
		.amdhsa_user_sgpr_flat_scratch_init 0
		.amdhsa_user_sgpr_kernarg_preload_length 0
		.amdhsa_user_sgpr_kernarg_preload_offset 0
		.amdhsa_user_sgpr_private_segment_size 0
		.amdhsa_uses_dynamic_stack 0
		.amdhsa_system_sgpr_private_segment_wavefront_offset 0
		.amdhsa_system_sgpr_workgroup_id_x 1
		.amdhsa_system_sgpr_workgroup_id_y 0
		.amdhsa_system_sgpr_workgroup_id_z 0
		.amdhsa_system_sgpr_workgroup_info 0
		.amdhsa_system_vgpr_workitem_id 0
		.amdhsa_next_free_vgpr 35
		.amdhsa_next_free_sgpr 77
		.amdhsa_accum_offset 36
		.amdhsa_reserve_vcc 1
		.amdhsa_reserve_flat_scratch 0
		.amdhsa_float_round_mode_32 0
		.amdhsa_float_round_mode_16_64 0
		.amdhsa_float_denorm_mode_32 3
		.amdhsa_float_denorm_mode_16_64 3
		.amdhsa_dx10_clamp 1
		.amdhsa_ieee_mode 1
		.amdhsa_fp16_overflow 0
		.amdhsa_tg_split 0
		.amdhsa_exception_fp_ieee_invalid_op 0
		.amdhsa_exception_fp_denorm_src 0
		.amdhsa_exception_fp_ieee_div_zero 0
		.amdhsa_exception_fp_ieee_overflow 0
		.amdhsa_exception_fp_ieee_underflow 0
		.amdhsa_exception_fp_ieee_inexact 0
		.amdhsa_exception_int_div_zero 0
	.end_amdhsa_kernel
	.section	.text._ZN7rocprim17ROCPRIM_400000_NS6detail17trampoline_kernelINS0_14default_configENS1_22reduce_config_selectorIiEEZNS1_11reduce_implILb1ES3_PiS7_iN6thrust23THRUST_200600_302600_NS7maximumIiEEEE10hipError_tPvRmT1_T2_T3_mT4_P12ihipStream_tbEUlT_E1_NS1_11comp_targetILNS1_3genE4ELNS1_11target_archE910ELNS1_3gpuE8ELNS1_3repE0EEENS1_30default_config_static_selectorELNS0_4arch9wavefront6targetE1EEEvSF_,"axG",@progbits,_ZN7rocprim17ROCPRIM_400000_NS6detail17trampoline_kernelINS0_14default_configENS1_22reduce_config_selectorIiEEZNS1_11reduce_implILb1ES3_PiS7_iN6thrust23THRUST_200600_302600_NS7maximumIiEEEE10hipError_tPvRmT1_T2_T3_mT4_P12ihipStream_tbEUlT_E1_NS1_11comp_targetILNS1_3genE4ELNS1_11target_archE910ELNS1_3gpuE8ELNS1_3repE0EEENS1_30default_config_static_selectorELNS0_4arch9wavefront6targetE1EEEvSF_,comdat
.Lfunc_end396:
	.size	_ZN7rocprim17ROCPRIM_400000_NS6detail17trampoline_kernelINS0_14default_configENS1_22reduce_config_selectorIiEEZNS1_11reduce_implILb1ES3_PiS7_iN6thrust23THRUST_200600_302600_NS7maximumIiEEEE10hipError_tPvRmT1_T2_T3_mT4_P12ihipStream_tbEUlT_E1_NS1_11comp_targetILNS1_3genE4ELNS1_11target_archE910ELNS1_3gpuE8ELNS1_3repE0EEENS1_30default_config_static_selectorELNS0_4arch9wavefront6targetE1EEEvSF_, .Lfunc_end396-_ZN7rocprim17ROCPRIM_400000_NS6detail17trampoline_kernelINS0_14default_configENS1_22reduce_config_selectorIiEEZNS1_11reduce_implILb1ES3_PiS7_iN6thrust23THRUST_200600_302600_NS7maximumIiEEEE10hipError_tPvRmT1_T2_T3_mT4_P12ihipStream_tbEUlT_E1_NS1_11comp_targetILNS1_3genE4ELNS1_11target_archE910ELNS1_3gpuE8ELNS1_3repE0EEENS1_30default_config_static_selectorELNS0_4arch9wavefront6targetE1EEEvSF_
                                        ; -- End function
	.section	.AMDGPU.csdata,"",@progbits
; Kernel info:
; codeLenInByte = 8760
; NumSgprs: 81
; NumVgprs: 35
; NumAgprs: 0
; TotalNumVgprs: 35
; ScratchSize: 0
; MemoryBound: 0
; FloatMode: 240
; IeeeMode: 1
; LDSByteSize: 56 bytes/workgroup (compile time only)
; SGPRBlocks: 10
; VGPRBlocks: 4
; NumSGPRsForWavesPerEU: 81
; NumVGPRsForWavesPerEU: 35
; AccumOffset: 36
; Occupancy: 8
; WaveLimiterHint : 1
; COMPUTE_PGM_RSRC2:SCRATCH_EN: 0
; COMPUTE_PGM_RSRC2:USER_SGPR: 6
; COMPUTE_PGM_RSRC2:TRAP_HANDLER: 0
; COMPUTE_PGM_RSRC2:TGID_X_EN: 1
; COMPUTE_PGM_RSRC2:TGID_Y_EN: 0
; COMPUTE_PGM_RSRC2:TGID_Z_EN: 0
; COMPUTE_PGM_RSRC2:TIDIG_COMP_CNT: 0
; COMPUTE_PGM_RSRC3_GFX90A:ACCUM_OFFSET: 8
; COMPUTE_PGM_RSRC3_GFX90A:TG_SPLIT: 0
	.section	.text._ZN7rocprim17ROCPRIM_400000_NS6detail17trampoline_kernelINS0_14default_configENS1_22reduce_config_selectorIiEEZNS1_11reduce_implILb1ES3_PiS7_iN6thrust23THRUST_200600_302600_NS7maximumIiEEEE10hipError_tPvRmT1_T2_T3_mT4_P12ihipStream_tbEUlT_E1_NS1_11comp_targetILNS1_3genE3ELNS1_11target_archE908ELNS1_3gpuE7ELNS1_3repE0EEENS1_30default_config_static_selectorELNS0_4arch9wavefront6targetE1EEEvSF_,"axG",@progbits,_ZN7rocprim17ROCPRIM_400000_NS6detail17trampoline_kernelINS0_14default_configENS1_22reduce_config_selectorIiEEZNS1_11reduce_implILb1ES3_PiS7_iN6thrust23THRUST_200600_302600_NS7maximumIiEEEE10hipError_tPvRmT1_T2_T3_mT4_P12ihipStream_tbEUlT_E1_NS1_11comp_targetILNS1_3genE3ELNS1_11target_archE908ELNS1_3gpuE7ELNS1_3repE0EEENS1_30default_config_static_selectorELNS0_4arch9wavefront6targetE1EEEvSF_,comdat
	.protected	_ZN7rocprim17ROCPRIM_400000_NS6detail17trampoline_kernelINS0_14default_configENS1_22reduce_config_selectorIiEEZNS1_11reduce_implILb1ES3_PiS7_iN6thrust23THRUST_200600_302600_NS7maximumIiEEEE10hipError_tPvRmT1_T2_T3_mT4_P12ihipStream_tbEUlT_E1_NS1_11comp_targetILNS1_3genE3ELNS1_11target_archE908ELNS1_3gpuE7ELNS1_3repE0EEENS1_30default_config_static_selectorELNS0_4arch9wavefront6targetE1EEEvSF_ ; -- Begin function _ZN7rocprim17ROCPRIM_400000_NS6detail17trampoline_kernelINS0_14default_configENS1_22reduce_config_selectorIiEEZNS1_11reduce_implILb1ES3_PiS7_iN6thrust23THRUST_200600_302600_NS7maximumIiEEEE10hipError_tPvRmT1_T2_T3_mT4_P12ihipStream_tbEUlT_E1_NS1_11comp_targetILNS1_3genE3ELNS1_11target_archE908ELNS1_3gpuE7ELNS1_3repE0EEENS1_30default_config_static_selectorELNS0_4arch9wavefront6targetE1EEEvSF_
	.globl	_ZN7rocprim17ROCPRIM_400000_NS6detail17trampoline_kernelINS0_14default_configENS1_22reduce_config_selectorIiEEZNS1_11reduce_implILb1ES3_PiS7_iN6thrust23THRUST_200600_302600_NS7maximumIiEEEE10hipError_tPvRmT1_T2_T3_mT4_P12ihipStream_tbEUlT_E1_NS1_11comp_targetILNS1_3genE3ELNS1_11target_archE908ELNS1_3gpuE7ELNS1_3repE0EEENS1_30default_config_static_selectorELNS0_4arch9wavefront6targetE1EEEvSF_
	.p2align	8
	.type	_ZN7rocprim17ROCPRIM_400000_NS6detail17trampoline_kernelINS0_14default_configENS1_22reduce_config_selectorIiEEZNS1_11reduce_implILb1ES3_PiS7_iN6thrust23THRUST_200600_302600_NS7maximumIiEEEE10hipError_tPvRmT1_T2_T3_mT4_P12ihipStream_tbEUlT_E1_NS1_11comp_targetILNS1_3genE3ELNS1_11target_archE908ELNS1_3gpuE7ELNS1_3repE0EEENS1_30default_config_static_selectorELNS0_4arch9wavefront6targetE1EEEvSF_,@function
_ZN7rocprim17ROCPRIM_400000_NS6detail17trampoline_kernelINS0_14default_configENS1_22reduce_config_selectorIiEEZNS1_11reduce_implILb1ES3_PiS7_iN6thrust23THRUST_200600_302600_NS7maximumIiEEEE10hipError_tPvRmT1_T2_T3_mT4_P12ihipStream_tbEUlT_E1_NS1_11comp_targetILNS1_3genE3ELNS1_11target_archE908ELNS1_3gpuE7ELNS1_3repE0EEENS1_30default_config_static_selectorELNS0_4arch9wavefront6targetE1EEEvSF_: ; @_ZN7rocprim17ROCPRIM_400000_NS6detail17trampoline_kernelINS0_14default_configENS1_22reduce_config_selectorIiEEZNS1_11reduce_implILb1ES3_PiS7_iN6thrust23THRUST_200600_302600_NS7maximumIiEEEE10hipError_tPvRmT1_T2_T3_mT4_P12ihipStream_tbEUlT_E1_NS1_11comp_targetILNS1_3genE3ELNS1_11target_archE908ELNS1_3gpuE7ELNS1_3repE0EEENS1_30default_config_static_selectorELNS0_4arch9wavefront6targetE1EEEvSF_
; %bb.0:
	.section	.rodata,"a",@progbits
	.p2align	6, 0x0
	.amdhsa_kernel _ZN7rocprim17ROCPRIM_400000_NS6detail17trampoline_kernelINS0_14default_configENS1_22reduce_config_selectorIiEEZNS1_11reduce_implILb1ES3_PiS7_iN6thrust23THRUST_200600_302600_NS7maximumIiEEEE10hipError_tPvRmT1_T2_T3_mT4_P12ihipStream_tbEUlT_E1_NS1_11comp_targetILNS1_3genE3ELNS1_11target_archE908ELNS1_3gpuE7ELNS1_3repE0EEENS1_30default_config_static_selectorELNS0_4arch9wavefront6targetE1EEEvSF_
		.amdhsa_group_segment_fixed_size 0
		.amdhsa_private_segment_fixed_size 0
		.amdhsa_kernarg_size 40
		.amdhsa_user_sgpr_count 6
		.amdhsa_user_sgpr_private_segment_buffer 1
		.amdhsa_user_sgpr_dispatch_ptr 0
		.amdhsa_user_sgpr_queue_ptr 0
		.amdhsa_user_sgpr_kernarg_segment_ptr 1
		.amdhsa_user_sgpr_dispatch_id 0
		.amdhsa_user_sgpr_flat_scratch_init 0
		.amdhsa_user_sgpr_kernarg_preload_length 0
		.amdhsa_user_sgpr_kernarg_preload_offset 0
		.amdhsa_user_sgpr_private_segment_size 0
		.amdhsa_uses_dynamic_stack 0
		.amdhsa_system_sgpr_private_segment_wavefront_offset 0
		.amdhsa_system_sgpr_workgroup_id_x 1
		.amdhsa_system_sgpr_workgroup_id_y 0
		.amdhsa_system_sgpr_workgroup_id_z 0
		.amdhsa_system_sgpr_workgroup_info 0
		.amdhsa_system_vgpr_workitem_id 0
		.amdhsa_next_free_vgpr 1
		.amdhsa_next_free_sgpr 0
		.amdhsa_accum_offset 4
		.amdhsa_reserve_vcc 0
		.amdhsa_reserve_flat_scratch 0
		.amdhsa_float_round_mode_32 0
		.amdhsa_float_round_mode_16_64 0
		.amdhsa_float_denorm_mode_32 3
		.amdhsa_float_denorm_mode_16_64 3
		.amdhsa_dx10_clamp 1
		.amdhsa_ieee_mode 1
		.amdhsa_fp16_overflow 0
		.amdhsa_tg_split 0
		.amdhsa_exception_fp_ieee_invalid_op 0
		.amdhsa_exception_fp_denorm_src 0
		.amdhsa_exception_fp_ieee_div_zero 0
		.amdhsa_exception_fp_ieee_overflow 0
		.amdhsa_exception_fp_ieee_underflow 0
		.amdhsa_exception_fp_ieee_inexact 0
		.amdhsa_exception_int_div_zero 0
	.end_amdhsa_kernel
	.section	.text._ZN7rocprim17ROCPRIM_400000_NS6detail17trampoline_kernelINS0_14default_configENS1_22reduce_config_selectorIiEEZNS1_11reduce_implILb1ES3_PiS7_iN6thrust23THRUST_200600_302600_NS7maximumIiEEEE10hipError_tPvRmT1_T2_T3_mT4_P12ihipStream_tbEUlT_E1_NS1_11comp_targetILNS1_3genE3ELNS1_11target_archE908ELNS1_3gpuE7ELNS1_3repE0EEENS1_30default_config_static_selectorELNS0_4arch9wavefront6targetE1EEEvSF_,"axG",@progbits,_ZN7rocprim17ROCPRIM_400000_NS6detail17trampoline_kernelINS0_14default_configENS1_22reduce_config_selectorIiEEZNS1_11reduce_implILb1ES3_PiS7_iN6thrust23THRUST_200600_302600_NS7maximumIiEEEE10hipError_tPvRmT1_T2_T3_mT4_P12ihipStream_tbEUlT_E1_NS1_11comp_targetILNS1_3genE3ELNS1_11target_archE908ELNS1_3gpuE7ELNS1_3repE0EEENS1_30default_config_static_selectorELNS0_4arch9wavefront6targetE1EEEvSF_,comdat
.Lfunc_end397:
	.size	_ZN7rocprim17ROCPRIM_400000_NS6detail17trampoline_kernelINS0_14default_configENS1_22reduce_config_selectorIiEEZNS1_11reduce_implILb1ES3_PiS7_iN6thrust23THRUST_200600_302600_NS7maximumIiEEEE10hipError_tPvRmT1_T2_T3_mT4_P12ihipStream_tbEUlT_E1_NS1_11comp_targetILNS1_3genE3ELNS1_11target_archE908ELNS1_3gpuE7ELNS1_3repE0EEENS1_30default_config_static_selectorELNS0_4arch9wavefront6targetE1EEEvSF_, .Lfunc_end397-_ZN7rocprim17ROCPRIM_400000_NS6detail17trampoline_kernelINS0_14default_configENS1_22reduce_config_selectorIiEEZNS1_11reduce_implILb1ES3_PiS7_iN6thrust23THRUST_200600_302600_NS7maximumIiEEEE10hipError_tPvRmT1_T2_T3_mT4_P12ihipStream_tbEUlT_E1_NS1_11comp_targetILNS1_3genE3ELNS1_11target_archE908ELNS1_3gpuE7ELNS1_3repE0EEENS1_30default_config_static_selectorELNS0_4arch9wavefront6targetE1EEEvSF_
                                        ; -- End function
	.section	.AMDGPU.csdata,"",@progbits
; Kernel info:
; codeLenInByte = 0
; NumSgprs: 4
; NumVgprs: 0
; NumAgprs: 0
; TotalNumVgprs: 0
; ScratchSize: 0
; MemoryBound: 0
; FloatMode: 240
; IeeeMode: 1
; LDSByteSize: 0 bytes/workgroup (compile time only)
; SGPRBlocks: 0
; VGPRBlocks: 0
; NumSGPRsForWavesPerEU: 4
; NumVGPRsForWavesPerEU: 1
; AccumOffset: 4
; Occupancy: 8
; WaveLimiterHint : 0
; COMPUTE_PGM_RSRC2:SCRATCH_EN: 0
; COMPUTE_PGM_RSRC2:USER_SGPR: 6
; COMPUTE_PGM_RSRC2:TRAP_HANDLER: 0
; COMPUTE_PGM_RSRC2:TGID_X_EN: 1
; COMPUTE_PGM_RSRC2:TGID_Y_EN: 0
; COMPUTE_PGM_RSRC2:TGID_Z_EN: 0
; COMPUTE_PGM_RSRC2:TIDIG_COMP_CNT: 0
; COMPUTE_PGM_RSRC3_GFX90A:ACCUM_OFFSET: 0
; COMPUTE_PGM_RSRC3_GFX90A:TG_SPLIT: 0
	.section	.text._ZN7rocprim17ROCPRIM_400000_NS6detail17trampoline_kernelINS0_14default_configENS1_22reduce_config_selectorIiEEZNS1_11reduce_implILb1ES3_PiS7_iN6thrust23THRUST_200600_302600_NS7maximumIiEEEE10hipError_tPvRmT1_T2_T3_mT4_P12ihipStream_tbEUlT_E1_NS1_11comp_targetILNS1_3genE2ELNS1_11target_archE906ELNS1_3gpuE6ELNS1_3repE0EEENS1_30default_config_static_selectorELNS0_4arch9wavefront6targetE1EEEvSF_,"axG",@progbits,_ZN7rocprim17ROCPRIM_400000_NS6detail17trampoline_kernelINS0_14default_configENS1_22reduce_config_selectorIiEEZNS1_11reduce_implILb1ES3_PiS7_iN6thrust23THRUST_200600_302600_NS7maximumIiEEEE10hipError_tPvRmT1_T2_T3_mT4_P12ihipStream_tbEUlT_E1_NS1_11comp_targetILNS1_3genE2ELNS1_11target_archE906ELNS1_3gpuE6ELNS1_3repE0EEENS1_30default_config_static_selectorELNS0_4arch9wavefront6targetE1EEEvSF_,comdat
	.protected	_ZN7rocprim17ROCPRIM_400000_NS6detail17trampoline_kernelINS0_14default_configENS1_22reduce_config_selectorIiEEZNS1_11reduce_implILb1ES3_PiS7_iN6thrust23THRUST_200600_302600_NS7maximumIiEEEE10hipError_tPvRmT1_T2_T3_mT4_P12ihipStream_tbEUlT_E1_NS1_11comp_targetILNS1_3genE2ELNS1_11target_archE906ELNS1_3gpuE6ELNS1_3repE0EEENS1_30default_config_static_selectorELNS0_4arch9wavefront6targetE1EEEvSF_ ; -- Begin function _ZN7rocprim17ROCPRIM_400000_NS6detail17trampoline_kernelINS0_14default_configENS1_22reduce_config_selectorIiEEZNS1_11reduce_implILb1ES3_PiS7_iN6thrust23THRUST_200600_302600_NS7maximumIiEEEE10hipError_tPvRmT1_T2_T3_mT4_P12ihipStream_tbEUlT_E1_NS1_11comp_targetILNS1_3genE2ELNS1_11target_archE906ELNS1_3gpuE6ELNS1_3repE0EEENS1_30default_config_static_selectorELNS0_4arch9wavefront6targetE1EEEvSF_
	.globl	_ZN7rocprim17ROCPRIM_400000_NS6detail17trampoline_kernelINS0_14default_configENS1_22reduce_config_selectorIiEEZNS1_11reduce_implILb1ES3_PiS7_iN6thrust23THRUST_200600_302600_NS7maximumIiEEEE10hipError_tPvRmT1_T2_T3_mT4_P12ihipStream_tbEUlT_E1_NS1_11comp_targetILNS1_3genE2ELNS1_11target_archE906ELNS1_3gpuE6ELNS1_3repE0EEENS1_30default_config_static_selectorELNS0_4arch9wavefront6targetE1EEEvSF_
	.p2align	8
	.type	_ZN7rocprim17ROCPRIM_400000_NS6detail17trampoline_kernelINS0_14default_configENS1_22reduce_config_selectorIiEEZNS1_11reduce_implILb1ES3_PiS7_iN6thrust23THRUST_200600_302600_NS7maximumIiEEEE10hipError_tPvRmT1_T2_T3_mT4_P12ihipStream_tbEUlT_E1_NS1_11comp_targetILNS1_3genE2ELNS1_11target_archE906ELNS1_3gpuE6ELNS1_3repE0EEENS1_30default_config_static_selectorELNS0_4arch9wavefront6targetE1EEEvSF_,@function
_ZN7rocprim17ROCPRIM_400000_NS6detail17trampoline_kernelINS0_14default_configENS1_22reduce_config_selectorIiEEZNS1_11reduce_implILb1ES3_PiS7_iN6thrust23THRUST_200600_302600_NS7maximumIiEEEE10hipError_tPvRmT1_T2_T3_mT4_P12ihipStream_tbEUlT_E1_NS1_11comp_targetILNS1_3genE2ELNS1_11target_archE906ELNS1_3gpuE6ELNS1_3repE0EEENS1_30default_config_static_selectorELNS0_4arch9wavefront6targetE1EEEvSF_: ; @_ZN7rocprim17ROCPRIM_400000_NS6detail17trampoline_kernelINS0_14default_configENS1_22reduce_config_selectorIiEEZNS1_11reduce_implILb1ES3_PiS7_iN6thrust23THRUST_200600_302600_NS7maximumIiEEEE10hipError_tPvRmT1_T2_T3_mT4_P12ihipStream_tbEUlT_E1_NS1_11comp_targetILNS1_3genE2ELNS1_11target_archE906ELNS1_3gpuE6ELNS1_3repE0EEENS1_30default_config_static_selectorELNS0_4arch9wavefront6targetE1EEEvSF_
; %bb.0:
	.section	.rodata,"a",@progbits
	.p2align	6, 0x0
	.amdhsa_kernel _ZN7rocprim17ROCPRIM_400000_NS6detail17trampoline_kernelINS0_14default_configENS1_22reduce_config_selectorIiEEZNS1_11reduce_implILb1ES3_PiS7_iN6thrust23THRUST_200600_302600_NS7maximumIiEEEE10hipError_tPvRmT1_T2_T3_mT4_P12ihipStream_tbEUlT_E1_NS1_11comp_targetILNS1_3genE2ELNS1_11target_archE906ELNS1_3gpuE6ELNS1_3repE0EEENS1_30default_config_static_selectorELNS0_4arch9wavefront6targetE1EEEvSF_
		.amdhsa_group_segment_fixed_size 0
		.amdhsa_private_segment_fixed_size 0
		.amdhsa_kernarg_size 40
		.amdhsa_user_sgpr_count 6
		.amdhsa_user_sgpr_private_segment_buffer 1
		.amdhsa_user_sgpr_dispatch_ptr 0
		.amdhsa_user_sgpr_queue_ptr 0
		.amdhsa_user_sgpr_kernarg_segment_ptr 1
		.amdhsa_user_sgpr_dispatch_id 0
		.amdhsa_user_sgpr_flat_scratch_init 0
		.amdhsa_user_sgpr_kernarg_preload_length 0
		.amdhsa_user_sgpr_kernarg_preload_offset 0
		.amdhsa_user_sgpr_private_segment_size 0
		.amdhsa_uses_dynamic_stack 0
		.amdhsa_system_sgpr_private_segment_wavefront_offset 0
		.amdhsa_system_sgpr_workgroup_id_x 1
		.amdhsa_system_sgpr_workgroup_id_y 0
		.amdhsa_system_sgpr_workgroup_id_z 0
		.amdhsa_system_sgpr_workgroup_info 0
		.amdhsa_system_vgpr_workitem_id 0
		.amdhsa_next_free_vgpr 1
		.amdhsa_next_free_sgpr 0
		.amdhsa_accum_offset 4
		.amdhsa_reserve_vcc 0
		.amdhsa_reserve_flat_scratch 0
		.amdhsa_float_round_mode_32 0
		.amdhsa_float_round_mode_16_64 0
		.amdhsa_float_denorm_mode_32 3
		.amdhsa_float_denorm_mode_16_64 3
		.amdhsa_dx10_clamp 1
		.amdhsa_ieee_mode 1
		.amdhsa_fp16_overflow 0
		.amdhsa_tg_split 0
		.amdhsa_exception_fp_ieee_invalid_op 0
		.amdhsa_exception_fp_denorm_src 0
		.amdhsa_exception_fp_ieee_div_zero 0
		.amdhsa_exception_fp_ieee_overflow 0
		.amdhsa_exception_fp_ieee_underflow 0
		.amdhsa_exception_fp_ieee_inexact 0
		.amdhsa_exception_int_div_zero 0
	.end_amdhsa_kernel
	.section	.text._ZN7rocprim17ROCPRIM_400000_NS6detail17trampoline_kernelINS0_14default_configENS1_22reduce_config_selectorIiEEZNS1_11reduce_implILb1ES3_PiS7_iN6thrust23THRUST_200600_302600_NS7maximumIiEEEE10hipError_tPvRmT1_T2_T3_mT4_P12ihipStream_tbEUlT_E1_NS1_11comp_targetILNS1_3genE2ELNS1_11target_archE906ELNS1_3gpuE6ELNS1_3repE0EEENS1_30default_config_static_selectorELNS0_4arch9wavefront6targetE1EEEvSF_,"axG",@progbits,_ZN7rocprim17ROCPRIM_400000_NS6detail17trampoline_kernelINS0_14default_configENS1_22reduce_config_selectorIiEEZNS1_11reduce_implILb1ES3_PiS7_iN6thrust23THRUST_200600_302600_NS7maximumIiEEEE10hipError_tPvRmT1_T2_T3_mT4_P12ihipStream_tbEUlT_E1_NS1_11comp_targetILNS1_3genE2ELNS1_11target_archE906ELNS1_3gpuE6ELNS1_3repE0EEENS1_30default_config_static_selectorELNS0_4arch9wavefront6targetE1EEEvSF_,comdat
.Lfunc_end398:
	.size	_ZN7rocprim17ROCPRIM_400000_NS6detail17trampoline_kernelINS0_14default_configENS1_22reduce_config_selectorIiEEZNS1_11reduce_implILb1ES3_PiS7_iN6thrust23THRUST_200600_302600_NS7maximumIiEEEE10hipError_tPvRmT1_T2_T3_mT4_P12ihipStream_tbEUlT_E1_NS1_11comp_targetILNS1_3genE2ELNS1_11target_archE906ELNS1_3gpuE6ELNS1_3repE0EEENS1_30default_config_static_selectorELNS0_4arch9wavefront6targetE1EEEvSF_, .Lfunc_end398-_ZN7rocprim17ROCPRIM_400000_NS6detail17trampoline_kernelINS0_14default_configENS1_22reduce_config_selectorIiEEZNS1_11reduce_implILb1ES3_PiS7_iN6thrust23THRUST_200600_302600_NS7maximumIiEEEE10hipError_tPvRmT1_T2_T3_mT4_P12ihipStream_tbEUlT_E1_NS1_11comp_targetILNS1_3genE2ELNS1_11target_archE906ELNS1_3gpuE6ELNS1_3repE0EEENS1_30default_config_static_selectorELNS0_4arch9wavefront6targetE1EEEvSF_
                                        ; -- End function
	.section	.AMDGPU.csdata,"",@progbits
; Kernel info:
; codeLenInByte = 0
; NumSgprs: 4
; NumVgprs: 0
; NumAgprs: 0
; TotalNumVgprs: 0
; ScratchSize: 0
; MemoryBound: 0
; FloatMode: 240
; IeeeMode: 1
; LDSByteSize: 0 bytes/workgroup (compile time only)
; SGPRBlocks: 0
; VGPRBlocks: 0
; NumSGPRsForWavesPerEU: 4
; NumVGPRsForWavesPerEU: 1
; AccumOffset: 4
; Occupancy: 8
; WaveLimiterHint : 0
; COMPUTE_PGM_RSRC2:SCRATCH_EN: 0
; COMPUTE_PGM_RSRC2:USER_SGPR: 6
; COMPUTE_PGM_RSRC2:TRAP_HANDLER: 0
; COMPUTE_PGM_RSRC2:TGID_X_EN: 1
; COMPUTE_PGM_RSRC2:TGID_Y_EN: 0
; COMPUTE_PGM_RSRC2:TGID_Z_EN: 0
; COMPUTE_PGM_RSRC2:TIDIG_COMP_CNT: 0
; COMPUTE_PGM_RSRC3_GFX90A:ACCUM_OFFSET: 0
; COMPUTE_PGM_RSRC3_GFX90A:TG_SPLIT: 0
	.section	.text._ZN7rocprim17ROCPRIM_400000_NS6detail17trampoline_kernelINS0_14default_configENS1_22reduce_config_selectorIiEEZNS1_11reduce_implILb1ES3_PiS7_iN6thrust23THRUST_200600_302600_NS7maximumIiEEEE10hipError_tPvRmT1_T2_T3_mT4_P12ihipStream_tbEUlT_E1_NS1_11comp_targetILNS1_3genE10ELNS1_11target_archE1201ELNS1_3gpuE5ELNS1_3repE0EEENS1_30default_config_static_selectorELNS0_4arch9wavefront6targetE1EEEvSF_,"axG",@progbits,_ZN7rocprim17ROCPRIM_400000_NS6detail17trampoline_kernelINS0_14default_configENS1_22reduce_config_selectorIiEEZNS1_11reduce_implILb1ES3_PiS7_iN6thrust23THRUST_200600_302600_NS7maximumIiEEEE10hipError_tPvRmT1_T2_T3_mT4_P12ihipStream_tbEUlT_E1_NS1_11comp_targetILNS1_3genE10ELNS1_11target_archE1201ELNS1_3gpuE5ELNS1_3repE0EEENS1_30default_config_static_selectorELNS0_4arch9wavefront6targetE1EEEvSF_,comdat
	.protected	_ZN7rocprim17ROCPRIM_400000_NS6detail17trampoline_kernelINS0_14default_configENS1_22reduce_config_selectorIiEEZNS1_11reduce_implILb1ES3_PiS7_iN6thrust23THRUST_200600_302600_NS7maximumIiEEEE10hipError_tPvRmT1_T2_T3_mT4_P12ihipStream_tbEUlT_E1_NS1_11comp_targetILNS1_3genE10ELNS1_11target_archE1201ELNS1_3gpuE5ELNS1_3repE0EEENS1_30default_config_static_selectorELNS0_4arch9wavefront6targetE1EEEvSF_ ; -- Begin function _ZN7rocprim17ROCPRIM_400000_NS6detail17trampoline_kernelINS0_14default_configENS1_22reduce_config_selectorIiEEZNS1_11reduce_implILb1ES3_PiS7_iN6thrust23THRUST_200600_302600_NS7maximumIiEEEE10hipError_tPvRmT1_T2_T3_mT4_P12ihipStream_tbEUlT_E1_NS1_11comp_targetILNS1_3genE10ELNS1_11target_archE1201ELNS1_3gpuE5ELNS1_3repE0EEENS1_30default_config_static_selectorELNS0_4arch9wavefront6targetE1EEEvSF_
	.globl	_ZN7rocprim17ROCPRIM_400000_NS6detail17trampoline_kernelINS0_14default_configENS1_22reduce_config_selectorIiEEZNS1_11reduce_implILb1ES3_PiS7_iN6thrust23THRUST_200600_302600_NS7maximumIiEEEE10hipError_tPvRmT1_T2_T3_mT4_P12ihipStream_tbEUlT_E1_NS1_11comp_targetILNS1_3genE10ELNS1_11target_archE1201ELNS1_3gpuE5ELNS1_3repE0EEENS1_30default_config_static_selectorELNS0_4arch9wavefront6targetE1EEEvSF_
	.p2align	8
	.type	_ZN7rocprim17ROCPRIM_400000_NS6detail17trampoline_kernelINS0_14default_configENS1_22reduce_config_selectorIiEEZNS1_11reduce_implILb1ES3_PiS7_iN6thrust23THRUST_200600_302600_NS7maximumIiEEEE10hipError_tPvRmT1_T2_T3_mT4_P12ihipStream_tbEUlT_E1_NS1_11comp_targetILNS1_3genE10ELNS1_11target_archE1201ELNS1_3gpuE5ELNS1_3repE0EEENS1_30default_config_static_selectorELNS0_4arch9wavefront6targetE1EEEvSF_,@function
_ZN7rocprim17ROCPRIM_400000_NS6detail17trampoline_kernelINS0_14default_configENS1_22reduce_config_selectorIiEEZNS1_11reduce_implILb1ES3_PiS7_iN6thrust23THRUST_200600_302600_NS7maximumIiEEEE10hipError_tPvRmT1_T2_T3_mT4_P12ihipStream_tbEUlT_E1_NS1_11comp_targetILNS1_3genE10ELNS1_11target_archE1201ELNS1_3gpuE5ELNS1_3repE0EEENS1_30default_config_static_selectorELNS0_4arch9wavefront6targetE1EEEvSF_: ; @_ZN7rocprim17ROCPRIM_400000_NS6detail17trampoline_kernelINS0_14default_configENS1_22reduce_config_selectorIiEEZNS1_11reduce_implILb1ES3_PiS7_iN6thrust23THRUST_200600_302600_NS7maximumIiEEEE10hipError_tPvRmT1_T2_T3_mT4_P12ihipStream_tbEUlT_E1_NS1_11comp_targetILNS1_3genE10ELNS1_11target_archE1201ELNS1_3gpuE5ELNS1_3repE0EEENS1_30default_config_static_selectorELNS0_4arch9wavefront6targetE1EEEvSF_
; %bb.0:
	.section	.rodata,"a",@progbits
	.p2align	6, 0x0
	.amdhsa_kernel _ZN7rocprim17ROCPRIM_400000_NS6detail17trampoline_kernelINS0_14default_configENS1_22reduce_config_selectorIiEEZNS1_11reduce_implILb1ES3_PiS7_iN6thrust23THRUST_200600_302600_NS7maximumIiEEEE10hipError_tPvRmT1_T2_T3_mT4_P12ihipStream_tbEUlT_E1_NS1_11comp_targetILNS1_3genE10ELNS1_11target_archE1201ELNS1_3gpuE5ELNS1_3repE0EEENS1_30default_config_static_selectorELNS0_4arch9wavefront6targetE1EEEvSF_
		.amdhsa_group_segment_fixed_size 0
		.amdhsa_private_segment_fixed_size 0
		.amdhsa_kernarg_size 40
		.amdhsa_user_sgpr_count 6
		.amdhsa_user_sgpr_private_segment_buffer 1
		.amdhsa_user_sgpr_dispatch_ptr 0
		.amdhsa_user_sgpr_queue_ptr 0
		.amdhsa_user_sgpr_kernarg_segment_ptr 1
		.amdhsa_user_sgpr_dispatch_id 0
		.amdhsa_user_sgpr_flat_scratch_init 0
		.amdhsa_user_sgpr_kernarg_preload_length 0
		.amdhsa_user_sgpr_kernarg_preload_offset 0
		.amdhsa_user_sgpr_private_segment_size 0
		.amdhsa_uses_dynamic_stack 0
		.amdhsa_system_sgpr_private_segment_wavefront_offset 0
		.amdhsa_system_sgpr_workgroup_id_x 1
		.amdhsa_system_sgpr_workgroup_id_y 0
		.amdhsa_system_sgpr_workgroup_id_z 0
		.amdhsa_system_sgpr_workgroup_info 0
		.amdhsa_system_vgpr_workitem_id 0
		.amdhsa_next_free_vgpr 1
		.amdhsa_next_free_sgpr 0
		.amdhsa_accum_offset 4
		.amdhsa_reserve_vcc 0
		.amdhsa_reserve_flat_scratch 0
		.amdhsa_float_round_mode_32 0
		.amdhsa_float_round_mode_16_64 0
		.amdhsa_float_denorm_mode_32 3
		.amdhsa_float_denorm_mode_16_64 3
		.amdhsa_dx10_clamp 1
		.amdhsa_ieee_mode 1
		.amdhsa_fp16_overflow 0
		.amdhsa_tg_split 0
		.amdhsa_exception_fp_ieee_invalid_op 0
		.amdhsa_exception_fp_denorm_src 0
		.amdhsa_exception_fp_ieee_div_zero 0
		.amdhsa_exception_fp_ieee_overflow 0
		.amdhsa_exception_fp_ieee_underflow 0
		.amdhsa_exception_fp_ieee_inexact 0
		.amdhsa_exception_int_div_zero 0
	.end_amdhsa_kernel
	.section	.text._ZN7rocprim17ROCPRIM_400000_NS6detail17trampoline_kernelINS0_14default_configENS1_22reduce_config_selectorIiEEZNS1_11reduce_implILb1ES3_PiS7_iN6thrust23THRUST_200600_302600_NS7maximumIiEEEE10hipError_tPvRmT1_T2_T3_mT4_P12ihipStream_tbEUlT_E1_NS1_11comp_targetILNS1_3genE10ELNS1_11target_archE1201ELNS1_3gpuE5ELNS1_3repE0EEENS1_30default_config_static_selectorELNS0_4arch9wavefront6targetE1EEEvSF_,"axG",@progbits,_ZN7rocprim17ROCPRIM_400000_NS6detail17trampoline_kernelINS0_14default_configENS1_22reduce_config_selectorIiEEZNS1_11reduce_implILb1ES3_PiS7_iN6thrust23THRUST_200600_302600_NS7maximumIiEEEE10hipError_tPvRmT1_T2_T3_mT4_P12ihipStream_tbEUlT_E1_NS1_11comp_targetILNS1_3genE10ELNS1_11target_archE1201ELNS1_3gpuE5ELNS1_3repE0EEENS1_30default_config_static_selectorELNS0_4arch9wavefront6targetE1EEEvSF_,comdat
.Lfunc_end399:
	.size	_ZN7rocprim17ROCPRIM_400000_NS6detail17trampoline_kernelINS0_14default_configENS1_22reduce_config_selectorIiEEZNS1_11reduce_implILb1ES3_PiS7_iN6thrust23THRUST_200600_302600_NS7maximumIiEEEE10hipError_tPvRmT1_T2_T3_mT4_P12ihipStream_tbEUlT_E1_NS1_11comp_targetILNS1_3genE10ELNS1_11target_archE1201ELNS1_3gpuE5ELNS1_3repE0EEENS1_30default_config_static_selectorELNS0_4arch9wavefront6targetE1EEEvSF_, .Lfunc_end399-_ZN7rocprim17ROCPRIM_400000_NS6detail17trampoline_kernelINS0_14default_configENS1_22reduce_config_selectorIiEEZNS1_11reduce_implILb1ES3_PiS7_iN6thrust23THRUST_200600_302600_NS7maximumIiEEEE10hipError_tPvRmT1_T2_T3_mT4_P12ihipStream_tbEUlT_E1_NS1_11comp_targetILNS1_3genE10ELNS1_11target_archE1201ELNS1_3gpuE5ELNS1_3repE0EEENS1_30default_config_static_selectorELNS0_4arch9wavefront6targetE1EEEvSF_
                                        ; -- End function
	.section	.AMDGPU.csdata,"",@progbits
; Kernel info:
; codeLenInByte = 0
; NumSgprs: 4
; NumVgprs: 0
; NumAgprs: 0
; TotalNumVgprs: 0
; ScratchSize: 0
; MemoryBound: 0
; FloatMode: 240
; IeeeMode: 1
; LDSByteSize: 0 bytes/workgroup (compile time only)
; SGPRBlocks: 0
; VGPRBlocks: 0
; NumSGPRsForWavesPerEU: 4
; NumVGPRsForWavesPerEU: 1
; AccumOffset: 4
; Occupancy: 8
; WaveLimiterHint : 0
; COMPUTE_PGM_RSRC2:SCRATCH_EN: 0
; COMPUTE_PGM_RSRC2:USER_SGPR: 6
; COMPUTE_PGM_RSRC2:TRAP_HANDLER: 0
; COMPUTE_PGM_RSRC2:TGID_X_EN: 1
; COMPUTE_PGM_RSRC2:TGID_Y_EN: 0
; COMPUTE_PGM_RSRC2:TGID_Z_EN: 0
; COMPUTE_PGM_RSRC2:TIDIG_COMP_CNT: 0
; COMPUTE_PGM_RSRC3_GFX90A:ACCUM_OFFSET: 0
; COMPUTE_PGM_RSRC3_GFX90A:TG_SPLIT: 0
	.section	.text._ZN7rocprim17ROCPRIM_400000_NS6detail17trampoline_kernelINS0_14default_configENS1_22reduce_config_selectorIiEEZNS1_11reduce_implILb1ES3_PiS7_iN6thrust23THRUST_200600_302600_NS7maximumIiEEEE10hipError_tPvRmT1_T2_T3_mT4_P12ihipStream_tbEUlT_E1_NS1_11comp_targetILNS1_3genE10ELNS1_11target_archE1200ELNS1_3gpuE4ELNS1_3repE0EEENS1_30default_config_static_selectorELNS0_4arch9wavefront6targetE1EEEvSF_,"axG",@progbits,_ZN7rocprim17ROCPRIM_400000_NS6detail17trampoline_kernelINS0_14default_configENS1_22reduce_config_selectorIiEEZNS1_11reduce_implILb1ES3_PiS7_iN6thrust23THRUST_200600_302600_NS7maximumIiEEEE10hipError_tPvRmT1_T2_T3_mT4_P12ihipStream_tbEUlT_E1_NS1_11comp_targetILNS1_3genE10ELNS1_11target_archE1200ELNS1_3gpuE4ELNS1_3repE0EEENS1_30default_config_static_selectorELNS0_4arch9wavefront6targetE1EEEvSF_,comdat
	.protected	_ZN7rocprim17ROCPRIM_400000_NS6detail17trampoline_kernelINS0_14default_configENS1_22reduce_config_selectorIiEEZNS1_11reduce_implILb1ES3_PiS7_iN6thrust23THRUST_200600_302600_NS7maximumIiEEEE10hipError_tPvRmT1_T2_T3_mT4_P12ihipStream_tbEUlT_E1_NS1_11comp_targetILNS1_3genE10ELNS1_11target_archE1200ELNS1_3gpuE4ELNS1_3repE0EEENS1_30default_config_static_selectorELNS0_4arch9wavefront6targetE1EEEvSF_ ; -- Begin function _ZN7rocprim17ROCPRIM_400000_NS6detail17trampoline_kernelINS0_14default_configENS1_22reduce_config_selectorIiEEZNS1_11reduce_implILb1ES3_PiS7_iN6thrust23THRUST_200600_302600_NS7maximumIiEEEE10hipError_tPvRmT1_T2_T3_mT4_P12ihipStream_tbEUlT_E1_NS1_11comp_targetILNS1_3genE10ELNS1_11target_archE1200ELNS1_3gpuE4ELNS1_3repE0EEENS1_30default_config_static_selectorELNS0_4arch9wavefront6targetE1EEEvSF_
	.globl	_ZN7rocprim17ROCPRIM_400000_NS6detail17trampoline_kernelINS0_14default_configENS1_22reduce_config_selectorIiEEZNS1_11reduce_implILb1ES3_PiS7_iN6thrust23THRUST_200600_302600_NS7maximumIiEEEE10hipError_tPvRmT1_T2_T3_mT4_P12ihipStream_tbEUlT_E1_NS1_11comp_targetILNS1_3genE10ELNS1_11target_archE1200ELNS1_3gpuE4ELNS1_3repE0EEENS1_30default_config_static_selectorELNS0_4arch9wavefront6targetE1EEEvSF_
	.p2align	8
	.type	_ZN7rocprim17ROCPRIM_400000_NS6detail17trampoline_kernelINS0_14default_configENS1_22reduce_config_selectorIiEEZNS1_11reduce_implILb1ES3_PiS7_iN6thrust23THRUST_200600_302600_NS7maximumIiEEEE10hipError_tPvRmT1_T2_T3_mT4_P12ihipStream_tbEUlT_E1_NS1_11comp_targetILNS1_3genE10ELNS1_11target_archE1200ELNS1_3gpuE4ELNS1_3repE0EEENS1_30default_config_static_selectorELNS0_4arch9wavefront6targetE1EEEvSF_,@function
_ZN7rocprim17ROCPRIM_400000_NS6detail17trampoline_kernelINS0_14default_configENS1_22reduce_config_selectorIiEEZNS1_11reduce_implILb1ES3_PiS7_iN6thrust23THRUST_200600_302600_NS7maximumIiEEEE10hipError_tPvRmT1_T2_T3_mT4_P12ihipStream_tbEUlT_E1_NS1_11comp_targetILNS1_3genE10ELNS1_11target_archE1200ELNS1_3gpuE4ELNS1_3repE0EEENS1_30default_config_static_selectorELNS0_4arch9wavefront6targetE1EEEvSF_: ; @_ZN7rocprim17ROCPRIM_400000_NS6detail17trampoline_kernelINS0_14default_configENS1_22reduce_config_selectorIiEEZNS1_11reduce_implILb1ES3_PiS7_iN6thrust23THRUST_200600_302600_NS7maximumIiEEEE10hipError_tPvRmT1_T2_T3_mT4_P12ihipStream_tbEUlT_E1_NS1_11comp_targetILNS1_3genE10ELNS1_11target_archE1200ELNS1_3gpuE4ELNS1_3repE0EEENS1_30default_config_static_selectorELNS0_4arch9wavefront6targetE1EEEvSF_
; %bb.0:
	.section	.rodata,"a",@progbits
	.p2align	6, 0x0
	.amdhsa_kernel _ZN7rocprim17ROCPRIM_400000_NS6detail17trampoline_kernelINS0_14default_configENS1_22reduce_config_selectorIiEEZNS1_11reduce_implILb1ES3_PiS7_iN6thrust23THRUST_200600_302600_NS7maximumIiEEEE10hipError_tPvRmT1_T2_T3_mT4_P12ihipStream_tbEUlT_E1_NS1_11comp_targetILNS1_3genE10ELNS1_11target_archE1200ELNS1_3gpuE4ELNS1_3repE0EEENS1_30default_config_static_selectorELNS0_4arch9wavefront6targetE1EEEvSF_
		.amdhsa_group_segment_fixed_size 0
		.amdhsa_private_segment_fixed_size 0
		.amdhsa_kernarg_size 40
		.amdhsa_user_sgpr_count 6
		.amdhsa_user_sgpr_private_segment_buffer 1
		.amdhsa_user_sgpr_dispatch_ptr 0
		.amdhsa_user_sgpr_queue_ptr 0
		.amdhsa_user_sgpr_kernarg_segment_ptr 1
		.amdhsa_user_sgpr_dispatch_id 0
		.amdhsa_user_sgpr_flat_scratch_init 0
		.amdhsa_user_sgpr_kernarg_preload_length 0
		.amdhsa_user_sgpr_kernarg_preload_offset 0
		.amdhsa_user_sgpr_private_segment_size 0
		.amdhsa_uses_dynamic_stack 0
		.amdhsa_system_sgpr_private_segment_wavefront_offset 0
		.amdhsa_system_sgpr_workgroup_id_x 1
		.amdhsa_system_sgpr_workgroup_id_y 0
		.amdhsa_system_sgpr_workgroup_id_z 0
		.amdhsa_system_sgpr_workgroup_info 0
		.amdhsa_system_vgpr_workitem_id 0
		.amdhsa_next_free_vgpr 1
		.amdhsa_next_free_sgpr 0
		.amdhsa_accum_offset 4
		.amdhsa_reserve_vcc 0
		.amdhsa_reserve_flat_scratch 0
		.amdhsa_float_round_mode_32 0
		.amdhsa_float_round_mode_16_64 0
		.amdhsa_float_denorm_mode_32 3
		.amdhsa_float_denorm_mode_16_64 3
		.amdhsa_dx10_clamp 1
		.amdhsa_ieee_mode 1
		.amdhsa_fp16_overflow 0
		.amdhsa_tg_split 0
		.amdhsa_exception_fp_ieee_invalid_op 0
		.amdhsa_exception_fp_denorm_src 0
		.amdhsa_exception_fp_ieee_div_zero 0
		.amdhsa_exception_fp_ieee_overflow 0
		.amdhsa_exception_fp_ieee_underflow 0
		.amdhsa_exception_fp_ieee_inexact 0
		.amdhsa_exception_int_div_zero 0
	.end_amdhsa_kernel
	.section	.text._ZN7rocprim17ROCPRIM_400000_NS6detail17trampoline_kernelINS0_14default_configENS1_22reduce_config_selectorIiEEZNS1_11reduce_implILb1ES3_PiS7_iN6thrust23THRUST_200600_302600_NS7maximumIiEEEE10hipError_tPvRmT1_T2_T3_mT4_P12ihipStream_tbEUlT_E1_NS1_11comp_targetILNS1_3genE10ELNS1_11target_archE1200ELNS1_3gpuE4ELNS1_3repE0EEENS1_30default_config_static_selectorELNS0_4arch9wavefront6targetE1EEEvSF_,"axG",@progbits,_ZN7rocprim17ROCPRIM_400000_NS6detail17trampoline_kernelINS0_14default_configENS1_22reduce_config_selectorIiEEZNS1_11reduce_implILb1ES3_PiS7_iN6thrust23THRUST_200600_302600_NS7maximumIiEEEE10hipError_tPvRmT1_T2_T3_mT4_P12ihipStream_tbEUlT_E1_NS1_11comp_targetILNS1_3genE10ELNS1_11target_archE1200ELNS1_3gpuE4ELNS1_3repE0EEENS1_30default_config_static_selectorELNS0_4arch9wavefront6targetE1EEEvSF_,comdat
.Lfunc_end400:
	.size	_ZN7rocprim17ROCPRIM_400000_NS6detail17trampoline_kernelINS0_14default_configENS1_22reduce_config_selectorIiEEZNS1_11reduce_implILb1ES3_PiS7_iN6thrust23THRUST_200600_302600_NS7maximumIiEEEE10hipError_tPvRmT1_T2_T3_mT4_P12ihipStream_tbEUlT_E1_NS1_11comp_targetILNS1_3genE10ELNS1_11target_archE1200ELNS1_3gpuE4ELNS1_3repE0EEENS1_30default_config_static_selectorELNS0_4arch9wavefront6targetE1EEEvSF_, .Lfunc_end400-_ZN7rocprim17ROCPRIM_400000_NS6detail17trampoline_kernelINS0_14default_configENS1_22reduce_config_selectorIiEEZNS1_11reduce_implILb1ES3_PiS7_iN6thrust23THRUST_200600_302600_NS7maximumIiEEEE10hipError_tPvRmT1_T2_T3_mT4_P12ihipStream_tbEUlT_E1_NS1_11comp_targetILNS1_3genE10ELNS1_11target_archE1200ELNS1_3gpuE4ELNS1_3repE0EEENS1_30default_config_static_selectorELNS0_4arch9wavefront6targetE1EEEvSF_
                                        ; -- End function
	.section	.AMDGPU.csdata,"",@progbits
; Kernel info:
; codeLenInByte = 0
; NumSgprs: 4
; NumVgprs: 0
; NumAgprs: 0
; TotalNumVgprs: 0
; ScratchSize: 0
; MemoryBound: 0
; FloatMode: 240
; IeeeMode: 1
; LDSByteSize: 0 bytes/workgroup (compile time only)
; SGPRBlocks: 0
; VGPRBlocks: 0
; NumSGPRsForWavesPerEU: 4
; NumVGPRsForWavesPerEU: 1
; AccumOffset: 4
; Occupancy: 8
; WaveLimiterHint : 0
; COMPUTE_PGM_RSRC2:SCRATCH_EN: 0
; COMPUTE_PGM_RSRC2:USER_SGPR: 6
; COMPUTE_PGM_RSRC2:TRAP_HANDLER: 0
; COMPUTE_PGM_RSRC2:TGID_X_EN: 1
; COMPUTE_PGM_RSRC2:TGID_Y_EN: 0
; COMPUTE_PGM_RSRC2:TGID_Z_EN: 0
; COMPUTE_PGM_RSRC2:TIDIG_COMP_CNT: 0
; COMPUTE_PGM_RSRC3_GFX90A:ACCUM_OFFSET: 0
; COMPUTE_PGM_RSRC3_GFX90A:TG_SPLIT: 0
	.section	.text._ZN7rocprim17ROCPRIM_400000_NS6detail17trampoline_kernelINS0_14default_configENS1_22reduce_config_selectorIiEEZNS1_11reduce_implILb1ES3_PiS7_iN6thrust23THRUST_200600_302600_NS7maximumIiEEEE10hipError_tPvRmT1_T2_T3_mT4_P12ihipStream_tbEUlT_E1_NS1_11comp_targetILNS1_3genE9ELNS1_11target_archE1100ELNS1_3gpuE3ELNS1_3repE0EEENS1_30default_config_static_selectorELNS0_4arch9wavefront6targetE1EEEvSF_,"axG",@progbits,_ZN7rocprim17ROCPRIM_400000_NS6detail17trampoline_kernelINS0_14default_configENS1_22reduce_config_selectorIiEEZNS1_11reduce_implILb1ES3_PiS7_iN6thrust23THRUST_200600_302600_NS7maximumIiEEEE10hipError_tPvRmT1_T2_T3_mT4_P12ihipStream_tbEUlT_E1_NS1_11comp_targetILNS1_3genE9ELNS1_11target_archE1100ELNS1_3gpuE3ELNS1_3repE0EEENS1_30default_config_static_selectorELNS0_4arch9wavefront6targetE1EEEvSF_,comdat
	.protected	_ZN7rocprim17ROCPRIM_400000_NS6detail17trampoline_kernelINS0_14default_configENS1_22reduce_config_selectorIiEEZNS1_11reduce_implILb1ES3_PiS7_iN6thrust23THRUST_200600_302600_NS7maximumIiEEEE10hipError_tPvRmT1_T2_T3_mT4_P12ihipStream_tbEUlT_E1_NS1_11comp_targetILNS1_3genE9ELNS1_11target_archE1100ELNS1_3gpuE3ELNS1_3repE0EEENS1_30default_config_static_selectorELNS0_4arch9wavefront6targetE1EEEvSF_ ; -- Begin function _ZN7rocprim17ROCPRIM_400000_NS6detail17trampoline_kernelINS0_14default_configENS1_22reduce_config_selectorIiEEZNS1_11reduce_implILb1ES3_PiS7_iN6thrust23THRUST_200600_302600_NS7maximumIiEEEE10hipError_tPvRmT1_T2_T3_mT4_P12ihipStream_tbEUlT_E1_NS1_11comp_targetILNS1_3genE9ELNS1_11target_archE1100ELNS1_3gpuE3ELNS1_3repE0EEENS1_30default_config_static_selectorELNS0_4arch9wavefront6targetE1EEEvSF_
	.globl	_ZN7rocprim17ROCPRIM_400000_NS6detail17trampoline_kernelINS0_14default_configENS1_22reduce_config_selectorIiEEZNS1_11reduce_implILb1ES3_PiS7_iN6thrust23THRUST_200600_302600_NS7maximumIiEEEE10hipError_tPvRmT1_T2_T3_mT4_P12ihipStream_tbEUlT_E1_NS1_11comp_targetILNS1_3genE9ELNS1_11target_archE1100ELNS1_3gpuE3ELNS1_3repE0EEENS1_30default_config_static_selectorELNS0_4arch9wavefront6targetE1EEEvSF_
	.p2align	8
	.type	_ZN7rocprim17ROCPRIM_400000_NS6detail17trampoline_kernelINS0_14default_configENS1_22reduce_config_selectorIiEEZNS1_11reduce_implILb1ES3_PiS7_iN6thrust23THRUST_200600_302600_NS7maximumIiEEEE10hipError_tPvRmT1_T2_T3_mT4_P12ihipStream_tbEUlT_E1_NS1_11comp_targetILNS1_3genE9ELNS1_11target_archE1100ELNS1_3gpuE3ELNS1_3repE0EEENS1_30default_config_static_selectorELNS0_4arch9wavefront6targetE1EEEvSF_,@function
_ZN7rocprim17ROCPRIM_400000_NS6detail17trampoline_kernelINS0_14default_configENS1_22reduce_config_selectorIiEEZNS1_11reduce_implILb1ES3_PiS7_iN6thrust23THRUST_200600_302600_NS7maximumIiEEEE10hipError_tPvRmT1_T2_T3_mT4_P12ihipStream_tbEUlT_E1_NS1_11comp_targetILNS1_3genE9ELNS1_11target_archE1100ELNS1_3gpuE3ELNS1_3repE0EEENS1_30default_config_static_selectorELNS0_4arch9wavefront6targetE1EEEvSF_: ; @_ZN7rocprim17ROCPRIM_400000_NS6detail17trampoline_kernelINS0_14default_configENS1_22reduce_config_selectorIiEEZNS1_11reduce_implILb1ES3_PiS7_iN6thrust23THRUST_200600_302600_NS7maximumIiEEEE10hipError_tPvRmT1_T2_T3_mT4_P12ihipStream_tbEUlT_E1_NS1_11comp_targetILNS1_3genE9ELNS1_11target_archE1100ELNS1_3gpuE3ELNS1_3repE0EEENS1_30default_config_static_selectorELNS0_4arch9wavefront6targetE1EEEvSF_
; %bb.0:
	.section	.rodata,"a",@progbits
	.p2align	6, 0x0
	.amdhsa_kernel _ZN7rocprim17ROCPRIM_400000_NS6detail17trampoline_kernelINS0_14default_configENS1_22reduce_config_selectorIiEEZNS1_11reduce_implILb1ES3_PiS7_iN6thrust23THRUST_200600_302600_NS7maximumIiEEEE10hipError_tPvRmT1_T2_T3_mT4_P12ihipStream_tbEUlT_E1_NS1_11comp_targetILNS1_3genE9ELNS1_11target_archE1100ELNS1_3gpuE3ELNS1_3repE0EEENS1_30default_config_static_selectorELNS0_4arch9wavefront6targetE1EEEvSF_
		.amdhsa_group_segment_fixed_size 0
		.amdhsa_private_segment_fixed_size 0
		.amdhsa_kernarg_size 40
		.amdhsa_user_sgpr_count 6
		.amdhsa_user_sgpr_private_segment_buffer 1
		.amdhsa_user_sgpr_dispatch_ptr 0
		.amdhsa_user_sgpr_queue_ptr 0
		.amdhsa_user_sgpr_kernarg_segment_ptr 1
		.amdhsa_user_sgpr_dispatch_id 0
		.amdhsa_user_sgpr_flat_scratch_init 0
		.amdhsa_user_sgpr_kernarg_preload_length 0
		.amdhsa_user_sgpr_kernarg_preload_offset 0
		.amdhsa_user_sgpr_private_segment_size 0
		.amdhsa_uses_dynamic_stack 0
		.amdhsa_system_sgpr_private_segment_wavefront_offset 0
		.amdhsa_system_sgpr_workgroup_id_x 1
		.amdhsa_system_sgpr_workgroup_id_y 0
		.amdhsa_system_sgpr_workgroup_id_z 0
		.amdhsa_system_sgpr_workgroup_info 0
		.amdhsa_system_vgpr_workitem_id 0
		.amdhsa_next_free_vgpr 1
		.amdhsa_next_free_sgpr 0
		.amdhsa_accum_offset 4
		.amdhsa_reserve_vcc 0
		.amdhsa_reserve_flat_scratch 0
		.amdhsa_float_round_mode_32 0
		.amdhsa_float_round_mode_16_64 0
		.amdhsa_float_denorm_mode_32 3
		.amdhsa_float_denorm_mode_16_64 3
		.amdhsa_dx10_clamp 1
		.amdhsa_ieee_mode 1
		.amdhsa_fp16_overflow 0
		.amdhsa_tg_split 0
		.amdhsa_exception_fp_ieee_invalid_op 0
		.amdhsa_exception_fp_denorm_src 0
		.amdhsa_exception_fp_ieee_div_zero 0
		.amdhsa_exception_fp_ieee_overflow 0
		.amdhsa_exception_fp_ieee_underflow 0
		.amdhsa_exception_fp_ieee_inexact 0
		.amdhsa_exception_int_div_zero 0
	.end_amdhsa_kernel
	.section	.text._ZN7rocprim17ROCPRIM_400000_NS6detail17trampoline_kernelINS0_14default_configENS1_22reduce_config_selectorIiEEZNS1_11reduce_implILb1ES3_PiS7_iN6thrust23THRUST_200600_302600_NS7maximumIiEEEE10hipError_tPvRmT1_T2_T3_mT4_P12ihipStream_tbEUlT_E1_NS1_11comp_targetILNS1_3genE9ELNS1_11target_archE1100ELNS1_3gpuE3ELNS1_3repE0EEENS1_30default_config_static_selectorELNS0_4arch9wavefront6targetE1EEEvSF_,"axG",@progbits,_ZN7rocprim17ROCPRIM_400000_NS6detail17trampoline_kernelINS0_14default_configENS1_22reduce_config_selectorIiEEZNS1_11reduce_implILb1ES3_PiS7_iN6thrust23THRUST_200600_302600_NS7maximumIiEEEE10hipError_tPvRmT1_T2_T3_mT4_P12ihipStream_tbEUlT_E1_NS1_11comp_targetILNS1_3genE9ELNS1_11target_archE1100ELNS1_3gpuE3ELNS1_3repE0EEENS1_30default_config_static_selectorELNS0_4arch9wavefront6targetE1EEEvSF_,comdat
.Lfunc_end401:
	.size	_ZN7rocprim17ROCPRIM_400000_NS6detail17trampoline_kernelINS0_14default_configENS1_22reduce_config_selectorIiEEZNS1_11reduce_implILb1ES3_PiS7_iN6thrust23THRUST_200600_302600_NS7maximumIiEEEE10hipError_tPvRmT1_T2_T3_mT4_P12ihipStream_tbEUlT_E1_NS1_11comp_targetILNS1_3genE9ELNS1_11target_archE1100ELNS1_3gpuE3ELNS1_3repE0EEENS1_30default_config_static_selectorELNS0_4arch9wavefront6targetE1EEEvSF_, .Lfunc_end401-_ZN7rocprim17ROCPRIM_400000_NS6detail17trampoline_kernelINS0_14default_configENS1_22reduce_config_selectorIiEEZNS1_11reduce_implILb1ES3_PiS7_iN6thrust23THRUST_200600_302600_NS7maximumIiEEEE10hipError_tPvRmT1_T2_T3_mT4_P12ihipStream_tbEUlT_E1_NS1_11comp_targetILNS1_3genE9ELNS1_11target_archE1100ELNS1_3gpuE3ELNS1_3repE0EEENS1_30default_config_static_selectorELNS0_4arch9wavefront6targetE1EEEvSF_
                                        ; -- End function
	.section	.AMDGPU.csdata,"",@progbits
; Kernel info:
; codeLenInByte = 0
; NumSgprs: 4
; NumVgprs: 0
; NumAgprs: 0
; TotalNumVgprs: 0
; ScratchSize: 0
; MemoryBound: 0
; FloatMode: 240
; IeeeMode: 1
; LDSByteSize: 0 bytes/workgroup (compile time only)
; SGPRBlocks: 0
; VGPRBlocks: 0
; NumSGPRsForWavesPerEU: 4
; NumVGPRsForWavesPerEU: 1
; AccumOffset: 4
; Occupancy: 8
; WaveLimiterHint : 0
; COMPUTE_PGM_RSRC2:SCRATCH_EN: 0
; COMPUTE_PGM_RSRC2:USER_SGPR: 6
; COMPUTE_PGM_RSRC2:TRAP_HANDLER: 0
; COMPUTE_PGM_RSRC2:TGID_X_EN: 1
; COMPUTE_PGM_RSRC2:TGID_Y_EN: 0
; COMPUTE_PGM_RSRC2:TGID_Z_EN: 0
; COMPUTE_PGM_RSRC2:TIDIG_COMP_CNT: 0
; COMPUTE_PGM_RSRC3_GFX90A:ACCUM_OFFSET: 0
; COMPUTE_PGM_RSRC3_GFX90A:TG_SPLIT: 0
	.section	.text._ZN7rocprim17ROCPRIM_400000_NS6detail17trampoline_kernelINS0_14default_configENS1_22reduce_config_selectorIiEEZNS1_11reduce_implILb1ES3_PiS7_iN6thrust23THRUST_200600_302600_NS7maximumIiEEEE10hipError_tPvRmT1_T2_T3_mT4_P12ihipStream_tbEUlT_E1_NS1_11comp_targetILNS1_3genE8ELNS1_11target_archE1030ELNS1_3gpuE2ELNS1_3repE0EEENS1_30default_config_static_selectorELNS0_4arch9wavefront6targetE1EEEvSF_,"axG",@progbits,_ZN7rocprim17ROCPRIM_400000_NS6detail17trampoline_kernelINS0_14default_configENS1_22reduce_config_selectorIiEEZNS1_11reduce_implILb1ES3_PiS7_iN6thrust23THRUST_200600_302600_NS7maximumIiEEEE10hipError_tPvRmT1_T2_T3_mT4_P12ihipStream_tbEUlT_E1_NS1_11comp_targetILNS1_3genE8ELNS1_11target_archE1030ELNS1_3gpuE2ELNS1_3repE0EEENS1_30default_config_static_selectorELNS0_4arch9wavefront6targetE1EEEvSF_,comdat
	.protected	_ZN7rocprim17ROCPRIM_400000_NS6detail17trampoline_kernelINS0_14default_configENS1_22reduce_config_selectorIiEEZNS1_11reduce_implILb1ES3_PiS7_iN6thrust23THRUST_200600_302600_NS7maximumIiEEEE10hipError_tPvRmT1_T2_T3_mT4_P12ihipStream_tbEUlT_E1_NS1_11comp_targetILNS1_3genE8ELNS1_11target_archE1030ELNS1_3gpuE2ELNS1_3repE0EEENS1_30default_config_static_selectorELNS0_4arch9wavefront6targetE1EEEvSF_ ; -- Begin function _ZN7rocprim17ROCPRIM_400000_NS6detail17trampoline_kernelINS0_14default_configENS1_22reduce_config_selectorIiEEZNS1_11reduce_implILb1ES3_PiS7_iN6thrust23THRUST_200600_302600_NS7maximumIiEEEE10hipError_tPvRmT1_T2_T3_mT4_P12ihipStream_tbEUlT_E1_NS1_11comp_targetILNS1_3genE8ELNS1_11target_archE1030ELNS1_3gpuE2ELNS1_3repE0EEENS1_30default_config_static_selectorELNS0_4arch9wavefront6targetE1EEEvSF_
	.globl	_ZN7rocprim17ROCPRIM_400000_NS6detail17trampoline_kernelINS0_14default_configENS1_22reduce_config_selectorIiEEZNS1_11reduce_implILb1ES3_PiS7_iN6thrust23THRUST_200600_302600_NS7maximumIiEEEE10hipError_tPvRmT1_T2_T3_mT4_P12ihipStream_tbEUlT_E1_NS1_11comp_targetILNS1_3genE8ELNS1_11target_archE1030ELNS1_3gpuE2ELNS1_3repE0EEENS1_30default_config_static_selectorELNS0_4arch9wavefront6targetE1EEEvSF_
	.p2align	8
	.type	_ZN7rocprim17ROCPRIM_400000_NS6detail17trampoline_kernelINS0_14default_configENS1_22reduce_config_selectorIiEEZNS1_11reduce_implILb1ES3_PiS7_iN6thrust23THRUST_200600_302600_NS7maximumIiEEEE10hipError_tPvRmT1_T2_T3_mT4_P12ihipStream_tbEUlT_E1_NS1_11comp_targetILNS1_3genE8ELNS1_11target_archE1030ELNS1_3gpuE2ELNS1_3repE0EEENS1_30default_config_static_selectorELNS0_4arch9wavefront6targetE1EEEvSF_,@function
_ZN7rocprim17ROCPRIM_400000_NS6detail17trampoline_kernelINS0_14default_configENS1_22reduce_config_selectorIiEEZNS1_11reduce_implILb1ES3_PiS7_iN6thrust23THRUST_200600_302600_NS7maximumIiEEEE10hipError_tPvRmT1_T2_T3_mT4_P12ihipStream_tbEUlT_E1_NS1_11comp_targetILNS1_3genE8ELNS1_11target_archE1030ELNS1_3gpuE2ELNS1_3repE0EEENS1_30default_config_static_selectorELNS0_4arch9wavefront6targetE1EEEvSF_: ; @_ZN7rocprim17ROCPRIM_400000_NS6detail17trampoline_kernelINS0_14default_configENS1_22reduce_config_selectorIiEEZNS1_11reduce_implILb1ES3_PiS7_iN6thrust23THRUST_200600_302600_NS7maximumIiEEEE10hipError_tPvRmT1_T2_T3_mT4_P12ihipStream_tbEUlT_E1_NS1_11comp_targetILNS1_3genE8ELNS1_11target_archE1030ELNS1_3gpuE2ELNS1_3repE0EEENS1_30default_config_static_selectorELNS0_4arch9wavefront6targetE1EEEvSF_
; %bb.0:
	.section	.rodata,"a",@progbits
	.p2align	6, 0x0
	.amdhsa_kernel _ZN7rocprim17ROCPRIM_400000_NS6detail17trampoline_kernelINS0_14default_configENS1_22reduce_config_selectorIiEEZNS1_11reduce_implILb1ES3_PiS7_iN6thrust23THRUST_200600_302600_NS7maximumIiEEEE10hipError_tPvRmT1_T2_T3_mT4_P12ihipStream_tbEUlT_E1_NS1_11comp_targetILNS1_3genE8ELNS1_11target_archE1030ELNS1_3gpuE2ELNS1_3repE0EEENS1_30default_config_static_selectorELNS0_4arch9wavefront6targetE1EEEvSF_
		.amdhsa_group_segment_fixed_size 0
		.amdhsa_private_segment_fixed_size 0
		.amdhsa_kernarg_size 40
		.amdhsa_user_sgpr_count 6
		.amdhsa_user_sgpr_private_segment_buffer 1
		.amdhsa_user_sgpr_dispatch_ptr 0
		.amdhsa_user_sgpr_queue_ptr 0
		.amdhsa_user_sgpr_kernarg_segment_ptr 1
		.amdhsa_user_sgpr_dispatch_id 0
		.amdhsa_user_sgpr_flat_scratch_init 0
		.amdhsa_user_sgpr_kernarg_preload_length 0
		.amdhsa_user_sgpr_kernarg_preload_offset 0
		.amdhsa_user_sgpr_private_segment_size 0
		.amdhsa_uses_dynamic_stack 0
		.amdhsa_system_sgpr_private_segment_wavefront_offset 0
		.amdhsa_system_sgpr_workgroup_id_x 1
		.amdhsa_system_sgpr_workgroup_id_y 0
		.amdhsa_system_sgpr_workgroup_id_z 0
		.amdhsa_system_sgpr_workgroup_info 0
		.amdhsa_system_vgpr_workitem_id 0
		.amdhsa_next_free_vgpr 1
		.amdhsa_next_free_sgpr 0
		.amdhsa_accum_offset 4
		.amdhsa_reserve_vcc 0
		.amdhsa_reserve_flat_scratch 0
		.amdhsa_float_round_mode_32 0
		.amdhsa_float_round_mode_16_64 0
		.amdhsa_float_denorm_mode_32 3
		.amdhsa_float_denorm_mode_16_64 3
		.amdhsa_dx10_clamp 1
		.amdhsa_ieee_mode 1
		.amdhsa_fp16_overflow 0
		.amdhsa_tg_split 0
		.amdhsa_exception_fp_ieee_invalid_op 0
		.amdhsa_exception_fp_denorm_src 0
		.amdhsa_exception_fp_ieee_div_zero 0
		.amdhsa_exception_fp_ieee_overflow 0
		.amdhsa_exception_fp_ieee_underflow 0
		.amdhsa_exception_fp_ieee_inexact 0
		.amdhsa_exception_int_div_zero 0
	.end_amdhsa_kernel
	.section	.text._ZN7rocprim17ROCPRIM_400000_NS6detail17trampoline_kernelINS0_14default_configENS1_22reduce_config_selectorIiEEZNS1_11reduce_implILb1ES3_PiS7_iN6thrust23THRUST_200600_302600_NS7maximumIiEEEE10hipError_tPvRmT1_T2_T3_mT4_P12ihipStream_tbEUlT_E1_NS1_11comp_targetILNS1_3genE8ELNS1_11target_archE1030ELNS1_3gpuE2ELNS1_3repE0EEENS1_30default_config_static_selectorELNS0_4arch9wavefront6targetE1EEEvSF_,"axG",@progbits,_ZN7rocprim17ROCPRIM_400000_NS6detail17trampoline_kernelINS0_14default_configENS1_22reduce_config_selectorIiEEZNS1_11reduce_implILb1ES3_PiS7_iN6thrust23THRUST_200600_302600_NS7maximumIiEEEE10hipError_tPvRmT1_T2_T3_mT4_P12ihipStream_tbEUlT_E1_NS1_11comp_targetILNS1_3genE8ELNS1_11target_archE1030ELNS1_3gpuE2ELNS1_3repE0EEENS1_30default_config_static_selectorELNS0_4arch9wavefront6targetE1EEEvSF_,comdat
.Lfunc_end402:
	.size	_ZN7rocprim17ROCPRIM_400000_NS6detail17trampoline_kernelINS0_14default_configENS1_22reduce_config_selectorIiEEZNS1_11reduce_implILb1ES3_PiS7_iN6thrust23THRUST_200600_302600_NS7maximumIiEEEE10hipError_tPvRmT1_T2_T3_mT4_P12ihipStream_tbEUlT_E1_NS1_11comp_targetILNS1_3genE8ELNS1_11target_archE1030ELNS1_3gpuE2ELNS1_3repE0EEENS1_30default_config_static_selectorELNS0_4arch9wavefront6targetE1EEEvSF_, .Lfunc_end402-_ZN7rocprim17ROCPRIM_400000_NS6detail17trampoline_kernelINS0_14default_configENS1_22reduce_config_selectorIiEEZNS1_11reduce_implILb1ES3_PiS7_iN6thrust23THRUST_200600_302600_NS7maximumIiEEEE10hipError_tPvRmT1_T2_T3_mT4_P12ihipStream_tbEUlT_E1_NS1_11comp_targetILNS1_3genE8ELNS1_11target_archE1030ELNS1_3gpuE2ELNS1_3repE0EEENS1_30default_config_static_selectorELNS0_4arch9wavefront6targetE1EEEvSF_
                                        ; -- End function
	.section	.AMDGPU.csdata,"",@progbits
; Kernel info:
; codeLenInByte = 0
; NumSgprs: 4
; NumVgprs: 0
; NumAgprs: 0
; TotalNumVgprs: 0
; ScratchSize: 0
; MemoryBound: 0
; FloatMode: 240
; IeeeMode: 1
; LDSByteSize: 0 bytes/workgroup (compile time only)
; SGPRBlocks: 0
; VGPRBlocks: 0
; NumSGPRsForWavesPerEU: 4
; NumVGPRsForWavesPerEU: 1
; AccumOffset: 4
; Occupancy: 8
; WaveLimiterHint : 0
; COMPUTE_PGM_RSRC2:SCRATCH_EN: 0
; COMPUTE_PGM_RSRC2:USER_SGPR: 6
; COMPUTE_PGM_RSRC2:TRAP_HANDLER: 0
; COMPUTE_PGM_RSRC2:TGID_X_EN: 1
; COMPUTE_PGM_RSRC2:TGID_Y_EN: 0
; COMPUTE_PGM_RSRC2:TGID_Z_EN: 0
; COMPUTE_PGM_RSRC2:TIDIG_COMP_CNT: 0
; COMPUTE_PGM_RSRC3_GFX90A:ACCUM_OFFSET: 0
; COMPUTE_PGM_RSRC3_GFX90A:TG_SPLIT: 0
	.section	.text._Z36insert_batch_no_update_masked_kernelIyjEvPT_PT0_PKS0_PKS2_PKiii,"axG",@progbits,_Z36insert_batch_no_update_masked_kernelIyjEvPT_PT0_PKS0_PKS2_PKiii,comdat
	.protected	_Z36insert_batch_no_update_masked_kernelIyjEvPT_PT0_PKS0_PKS2_PKiii ; -- Begin function _Z36insert_batch_no_update_masked_kernelIyjEvPT_PT0_PKS0_PKS2_PKiii
	.globl	_Z36insert_batch_no_update_masked_kernelIyjEvPT_PT0_PKS0_PKS2_PKiii
	.p2align	8
	.type	_Z36insert_batch_no_update_masked_kernelIyjEvPT_PT0_PKS0_PKS2_PKiii,@function
_Z36insert_batch_no_update_masked_kernelIyjEvPT_PT0_PKS0_PKS2_PKiii: ; @_Z36insert_batch_no_update_masked_kernelIyjEvPT_PT0_PKS0_PKS2_PKiii
; %bb.0:
	s_load_dword s0, s[4:5], 0x3c
	s_load_dwordx2 s[12:13], s[4:5], 0x28
	s_waitcnt lgkmcnt(0)
	s_and_b32 s0, s0, 0xffff
	s_mul_i32 s6, s6, s0
	v_add_u32_e32 v0, s6, v0
	v_cmp_gt_i32_e32 vcc, s12, v0
	s_and_saveexec_b64 s[0:1], vcc
	s_cbranch_execz .LBB403_14
; %bb.1:
	s_load_dwordx2 s[0:1], s[4:5], 0x20
	v_ashrrev_i32_e32 v1, 31, v0
	v_lshlrev_b64 v[2:3], 2, v[0:1]
	s_waitcnt lgkmcnt(0)
	v_mov_b32_e32 v5, s1
	v_add_co_u32_e32 v4, vcc, s0, v2
	v_addc_co_u32_e32 v5, vcc, v5, v3, vcc
	global_load_dword v4, v[4:5], off
	s_waitcnt vmcnt(0)
	v_cmp_eq_u32_e32 vcc, 1, v4
	s_and_b64 exec, exec, vcc
	s_cbranch_execz .LBB403_14
; %bb.2:
	s_load_dwordx8 s[4:11], s[4:5], 0x0
	v_lshlrev_b64 v[0:1], 3, v[0:1]
	s_ashr_i32 s16, s13, 31
	v_cvt_f32_u32_e32 v5, s16
	s_sub_u32 s12, 0, s13
	s_waitcnt lgkmcnt(0)
	v_mov_b32_e32 v4, s9
	v_add_co_u32_e32 v0, vcc, s8, v0
	v_addc_co_u32_e32 v1, vcc, v4, v1, vcc
	global_load_dwordx2 v[0:1], v[0:1], off
	v_cvt_f32_u32_e32 v4, s13
	v_add_co_u32_e32 v2, vcc, s10, v2
	s_subb_u32 s14, 0, s16
	v_mac_f32_e32 v4, 0x4f800000, v5
	v_mov_b32_e32 v5, s11
	v_addc_co_u32_e32 v3, vcc, v5, v3, vcc
	global_load_dword v10, v[2:3], off
	v_rcp_f32_e32 v4, v4
	s_mov_b32 s0, 0xff51afd7
	s_mov_b32 s1, 0xed558ccd
	;; [unrolled: 1-line block ×3, first 2 shown]
	v_mul_f32_e32 v4, 0x5f7ffffc, v4
	v_mul_f32_e32 v6, 0x2f800000, v4
	v_trunc_f32_e32 v6, v6
	v_mac_f32_e32 v4, 0xcf800000, v6
	v_cvt_u32_f32_e32 v7, v6
	v_cvt_u32_f32_e32 v4, v4
	s_mov_b32 s3, 0xc4ceb9fe
	s_mov_b32 s17, s13
	v_mul_lo_u32 v2, s12, v7
	v_mul_hi_u32 v3, s12, v4
	v_mul_lo_u32 v5, s14, v4
	v_add_u32_e32 v2, v3, v2
	v_mul_lo_u32 v6, s12, v4
	v_add_u32_e32 v2, v2, v5
	v_mul_hi_u32 v3, v4, v6
	v_mul_lo_u32 v9, v4, v2
	v_mul_hi_u32 v5, v4, v2
	v_add_co_u32_e32 v3, vcc, v3, v9
	v_mul_hi_u32 v8, v7, v6
	v_mul_lo_u32 v6, v7, v6
	v_addc_co_u32_e32 v5, vcc, 0, v5, vcc
	v_add_co_u32_e32 v3, vcc, v3, v6
	v_mul_hi_u32 v11, v7, v2
	v_addc_co_u32_e32 v3, vcc, v5, v8, vcc
	v_mul_lo_u32 v2, v7, v2
	v_addc_co_u32_e32 v5, vcc, 0, v11, vcc
	v_add_co_u32_e32 v2, vcc, v3, v2
	v_addc_co_u32_e32 v3, vcc, 0, v5, vcc
	v_add_co_u32_e32 v4, vcc, v4, v2
	v_addc_co_u32_e32 v5, vcc, v7, v3, vcc
	v_mul_hi_u32 v2, s12, v4
	v_mul_lo_u32 v7, s12, v5
	v_mul_lo_u32 v3, s14, v4
	v_add_u32_e32 v2, v2, v7
	v_mul_lo_u32 v6, s12, v4
	v_add_u32_e32 v7, v2, v3
	v_mul_hi_u32 v8, v5, v6
	v_mul_lo_u32 v9, v5, v6
	v_mul_hi_u32 v6, v4, v6
	v_mul_lo_u32 v3, v4, v7
	v_mul_hi_u32 v2, v4, v7
	v_add_co_u32_e32 v6, vcc, v6, v3
	v_addc_co_u32_e32 v12, vcc, 0, v2, vcc
	v_mul_hi_u32 v11, v5, v7
	s_mov_b64 s[8:9], 0
	s_waitcnt vmcnt(1)
	v_lshrrev_b32_e32 v2, 1, v1
	v_xor_b32_e32 v2, v2, v0
	v_mul_lo_u32 v13, v1, s1
	v_mul_lo_u32 v14, v2, s0
	v_mad_u64_u32 v[2:3], s[0:1], v2, s1, 0
	v_add3_u32 v3, v3, v14, v13
	v_lshrrev_b32_e32 v13, 1, v3
	v_xor_b32_e32 v2, v13, v2
	v_mul_lo_u32 v14, v3, s2
	v_mul_lo_u32 v13, v2, s3
	v_mad_u64_u32 v[2:3], s[0:1], v2, s2, 0
	v_add3_u32 v13, v3, v13, v14
	v_lshrrev_b32_e32 v3, 1, v13
	v_xor_b32_e32 v14, v3, v2
	v_add_co_u32_e32 v2, vcc, v6, v9
	v_addc_co_u32_e32 v2, vcc, v12, v8, vcc
	v_addc_co_u32_e32 v3, vcc, 0, v11, vcc
	v_mul_lo_u32 v6, v5, v7
	v_add_co_u32_e32 v2, vcc, v2, v6
	v_addc_co_u32_e32 v3, vcc, 0, v3, vcc
	v_add_co_u32_e32 v4, vcc, v4, v2
	v_addc_co_u32_e32 v5, vcc, v5, v3, vcc
	v_mad_u64_u32 v[2:3], s[0:1], v14, v5, 0
	v_mul_hi_u32 v6, v14, v4
	v_add_co_u32_e32 v6, vcc, v6, v2
	v_addc_co_u32_e32 v7, vcc, 0, v3, vcc
	v_mad_u64_u32 v[2:3], s[0:1], v13, v5, 0
	v_mad_u64_u32 v[4:5], s[0:1], v13, v4, 0
	v_add_co_u32_e32 v4, vcc, v6, v4
	v_addc_co_u32_e32 v4, vcc, v7, v5, vcc
	v_addc_co_u32_e32 v3, vcc, 0, v3, vcc
	v_add_co_u32_e32 v2, vcc, v4, v2
	v_addc_co_u32_e32 v3, vcc, 0, v3, vcc
	v_mul_lo_u32 v4, s16, v2
	v_mul_lo_u32 v5, s13, v3
	v_mad_u64_u32 v[2:3], s[0:1], s13, v2, 0
	v_add3_u32 v3, v3, v5, v4
	v_sub_u32_e32 v4, v13, v3
	v_mov_b32_e32 v5, s16
	v_sub_co_u32_e32 v2, vcc, v14, v2
	v_subb_co_u32_e64 v4, s[0:1], v4, v5, vcc
	v_subrev_co_u32_e64 v6, s[0:1], s13, v2
	v_subbrev_co_u32_e64 v7, s[2:3], 0, v4, s[0:1]
	v_cmp_le_u32_e64 s[2:3], s16, v7
	v_cndmask_b32_e64 v8, 0, -1, s[2:3]
	v_cmp_le_u32_e64 s[2:3], s13, v6
	v_subb_co_u32_e64 v4, s[0:1], v4, v5, s[0:1]
	v_cndmask_b32_e64 v9, 0, -1, s[2:3]
	v_cmp_eq_u32_e64 s[2:3], s16, v7
	v_subrev_co_u32_e64 v5, s[0:1], s13, v6
	v_cndmask_b32_e64 v8, v8, v9, s[2:3]
	v_subbrev_co_u32_e64 v4, s[0:1], 0, v4, s[0:1]
	v_subb_co_u32_e32 v3, vcc, v13, v3, vcc
	v_cmp_ne_u32_e64 s[0:1], 0, v8
	v_cmp_le_u32_e32 vcc, s16, v3
	v_cndmask_b32_e64 v4, v7, v4, s[0:1]
	v_cndmask_b32_e64 v7, 0, -1, vcc
	v_cmp_le_u32_e32 vcc, s13, v2
	v_cndmask_b32_e64 v8, 0, -1, vcc
	v_cmp_eq_u32_e32 vcc, s16, v3
	v_cndmask_b32_e32 v7, v7, v8, vcc
	v_cmp_ne_u32_e32 vcc, 0, v7
	v_cndmask_b32_e32 v7, v3, v4, vcc
	v_cndmask_b32_e64 v3, v6, v5, s[0:1]
	v_cndmask_b32_e32 v6, v2, v3, vcc
	v_mov_b32_e32 v4, 0
	v_mov_b32_e32 v2, -1
	s_branch .LBB403_4
.LBB403_3:                              ;   in Loop: Header=BB403_4 Depth=1
	s_or_b64 exec, exec, s[2:3]
	s_xor_b64 s[0:1], s[0:1], -1
	s_and_b64 s[0:1], exec, s[0:1]
	s_or_b64 s[8:9], s[0:1], s[8:9]
	s_andn2_b64 exec, exec, s[8:9]
	s_cbranch_execz .LBB403_14
.LBB403_4:                              ; =>This Inner Loop Header: Depth=1
	v_lshlrev_b64 v[8:9], 3, v[6:7]
	v_mov_b32_e32 v3, s5
	v_add_co_u32_e32 v8, vcc, s4, v8
	v_addc_co_u32_e32 v9, vcc, v3, v9, vcc
	v_mov_b32_e32 v3, v2
	global_atomic_cmpswap_x2 v[8:9], v[8:9], v[0:3], off glc
                                        ; implicit-def: $sgpr0_sgpr1
	s_waitcnt vmcnt(0)
	v_cmp_ne_u64_e32 vcc, -1, v[8:9]
	s_and_saveexec_b64 s[2:3], vcc
	s_xor_b64 s[10:11], exec, s[2:3]
	s_cbranch_execz .LBB403_12
; %bb.5:                                ;   in Loop: Header=BB403_4 Depth=1
	v_cmp_ne_u64_e32 vcc, v[8:9], v[0:1]
	s_mov_b64 s[0:1], 0
	s_and_saveexec_b64 s[12:13], vcc
	s_cbranch_execz .LBB403_11
; %bb.6:                                ;   in Loop: Header=BB403_4 Depth=1
	v_add_co_u32_e32 v3, vcc, 1, v6
	v_addc_co_u32_e32 v8, vcc, 0, v7, vcc
	v_or_b32_e32 v5, s16, v8
	v_cmp_ne_u64_e32 vcc, 0, v[4:5]
                                        ; implicit-def: $sgpr0_sgpr1
                                        ; implicit-def: $vgpr6_vgpr7
	s_and_saveexec_b64 s[2:3], vcc
	s_xor_b64 s[14:15], exec, s[2:3]
	s_cbranch_execz .LBB403_8
; %bb.7:                                ;   in Loop: Header=BB403_4 Depth=1
	v_cvt_f32_u32_e32 v5, s17
	v_cvt_f32_u32_e32 v6, s16
	s_sub_u32 s0, 0, s17
	s_subb_u32 s1, 0, s16
	v_mac_f32_e32 v5, 0x4f800000, v6
	v_rcp_f32_e32 v5, v5
	v_mul_f32_e32 v5, 0x5f7ffffc, v5
	v_mul_f32_e32 v6, 0x2f800000, v5
	v_trunc_f32_e32 v6, v6
	v_mac_f32_e32 v5, 0xcf800000, v6
	v_cvt_u32_f32_e32 v6, v6
	v_cvt_u32_f32_e32 v5, v5
	v_mul_lo_u32 v7, s0, v6
	v_mul_hi_u32 v11, s0, v5
	v_mul_lo_u32 v9, s1, v5
	v_add_u32_e32 v7, v11, v7
	v_mul_lo_u32 v12, s0, v5
	v_add_u32_e32 v7, v7, v9
	v_mul_hi_u32 v11, v5, v12
	v_mul_lo_u32 v13, v5, v7
	v_mul_hi_u32 v9, v5, v7
	v_add_co_u32_e32 v11, vcc, v11, v13
	v_addc_co_u32_e32 v9, vcc, 0, v9, vcc
	v_mul_hi_u32 v14, v6, v12
	v_mul_lo_u32 v12, v6, v12
	v_add_co_u32_e32 v11, vcc, v11, v12
	v_mul_hi_u32 v13, v6, v7
	v_addc_co_u32_e32 v9, vcc, v9, v14, vcc
	v_addc_co_u32_e32 v11, vcc, 0, v13, vcc
	v_mul_lo_u32 v7, v6, v7
	v_add_co_u32_e32 v7, vcc, v9, v7
	v_addc_co_u32_e32 v9, vcc, 0, v11, vcc
	v_add_co_u32_e32 v5, vcc, v5, v7
	v_addc_co_u32_e32 v6, vcc, v6, v9, vcc
	v_mul_lo_u32 v7, s0, v6
	v_mul_hi_u32 v9, s0, v5
	v_add_u32_e32 v7, v9, v7
	v_mul_lo_u32 v9, s1, v5
	v_add_u32_e32 v7, v7, v9
	v_mul_lo_u32 v11, s0, v5
	v_mul_hi_u32 v12, v6, v11
	v_mul_lo_u32 v13, v6, v11
	v_mul_lo_u32 v15, v5, v7
	v_mul_hi_u32 v11, v5, v11
	v_mul_hi_u32 v14, v5, v7
	v_add_co_u32_e32 v11, vcc, v11, v15
	v_addc_co_u32_e32 v14, vcc, 0, v14, vcc
	v_add_co_u32_e32 v11, vcc, v11, v13
	v_mul_hi_u32 v9, v6, v7
	v_addc_co_u32_e32 v11, vcc, v14, v12, vcc
	v_addc_co_u32_e32 v9, vcc, 0, v9, vcc
	v_mul_lo_u32 v7, v6, v7
	v_add_co_u32_e32 v7, vcc, v11, v7
	v_addc_co_u32_e32 v9, vcc, 0, v9, vcc
	v_add_co_u32_e32 v5, vcc, v5, v7
	v_addc_co_u32_e32 v9, vcc, v6, v9, vcc
	v_mad_u64_u32 v[6:7], s[0:1], v3, v9, 0
	v_mul_hi_u32 v11, v3, v5
	v_add_co_u32_e32 v11, vcc, v11, v6
	v_addc_co_u32_e32 v14, vcc, 0, v7, vcc
	v_mad_u64_u32 v[12:13], s[0:1], v8, v5, 0
	v_add_co_u32_e32 v5, vcc, v11, v12
	v_mad_u64_u32 v[6:7], s[0:1], v8, v9, 0
	v_addc_co_u32_e32 v5, vcc, v14, v13, vcc
	v_addc_co_u32_e32 v7, vcc, 0, v7, vcc
	v_add_co_u32_e32 v5, vcc, v5, v6
	v_addc_co_u32_e32 v6, vcc, 0, v7, vcc
	v_mul_lo_u32 v9, s16, v5
	v_mul_lo_u32 v11, s17, v6
	v_mad_u64_u32 v[6:7], s[0:1], s17, v5, 0
	v_add3_u32 v5, v7, v11, v9
	v_sub_u32_e32 v7, v8, v5
	v_mov_b32_e32 v9, s16
	v_sub_co_u32_e32 v3, vcc, v3, v6
	v_subb_co_u32_e64 v6, s[0:1], v7, v9, vcc
	v_subrev_co_u32_e64 v11, s[0:1], s17, v3
	v_subbrev_co_u32_e64 v7, s[2:3], 0, v6, s[0:1]
	v_cmp_le_u32_e64 s[2:3], s16, v7
	v_cndmask_b32_e64 v12, 0, -1, s[2:3]
	v_cmp_le_u32_e64 s[2:3], s17, v11
	v_subb_co_u32_e64 v6, s[0:1], v6, v9, s[0:1]
	v_cndmask_b32_e64 v13, 0, -1, s[2:3]
	v_cmp_eq_u32_e64 s[2:3], s16, v7
	v_subrev_co_u32_e64 v9, s[0:1], s17, v11
	v_cndmask_b32_e64 v12, v12, v13, s[2:3]
	v_subbrev_co_u32_e64 v6, s[0:1], 0, v6, s[0:1]
	v_subb_co_u32_e32 v5, vcc, v8, v5, vcc
	v_cmp_ne_u32_e64 s[0:1], 0, v12
	v_cmp_le_u32_e32 vcc, s16, v5
	v_cndmask_b32_e64 v6, v7, v6, s[0:1]
	v_cndmask_b32_e64 v7, 0, -1, vcc
	v_cmp_le_u32_e32 vcc, s17, v3
	v_cndmask_b32_e64 v8, 0, -1, vcc
	v_cmp_eq_u32_e32 vcc, s16, v5
	v_cndmask_b32_e32 v7, v7, v8, vcc
	v_cmp_ne_u32_e32 vcc, 0, v7
	v_cndmask_b32_e32 v7, v5, v6, vcc
	v_cndmask_b32_e64 v5, v11, v9, s[0:1]
	v_cndmask_b32_e32 v6, v3, v5, vcc
	s_mov_b64 s[0:1], -1
                                        ; implicit-def: $vgpr3
.LBB403_8:                              ;   in Loop: Header=BB403_4 Depth=1
	s_andn2_saveexec_b64 s[2:3], s[14:15]
	s_cbranch_execz .LBB403_10
; %bb.9:                                ;   in Loop: Header=BB403_4 Depth=1
	v_cvt_f32_u32_e32 v5, s17
	s_sub_i32 s14, 0, s17
	v_mov_b32_e32 v7, v4
	s_or_b64 s[0:1], s[0:1], exec
	v_rcp_iflag_f32_e32 v5, v5
	v_mul_f32_e32 v5, 0x4f7ffffe, v5
	v_cvt_u32_f32_e32 v5, v5
	v_mul_lo_u32 v6, s14, v5
	v_mul_hi_u32 v6, v5, v6
	v_add_u32_e32 v5, v5, v6
	v_mul_hi_u32 v5, v3, v5
	v_mul_lo_u32 v5, v5, s17
	v_sub_u32_e32 v3, v3, v5
	v_subrev_u32_e32 v5, s17, v3
	v_cmp_le_u32_e32 vcc, s17, v3
	v_cndmask_b32_e32 v3, v3, v5, vcc
	v_subrev_u32_e32 v5, s17, v3
	v_cmp_le_u32_e32 vcc, s17, v3
	v_cndmask_b32_e32 v6, v3, v5, vcc
.LBB403_10:                             ;   in Loop: Header=BB403_4 Depth=1
	s_or_b64 exec, exec, s[2:3]
	s_and_b64 s[0:1], s[0:1], exec
.LBB403_11:                             ;   in Loop: Header=BB403_4 Depth=1
	s_or_b64 exec, exec, s[12:13]
	s_and_b64 s[0:1], s[0:1], exec
.LBB403_12:                             ;   in Loop: Header=BB403_4 Depth=1
	s_andn2_saveexec_b64 s[2:3], s[10:11]
	s_cbranch_execz .LBB403_3
; %bb.13:                               ;   in Loop: Header=BB403_4 Depth=1
	v_lshlrev_b64 v[8:9], 2, v[6:7]
	v_mov_b32_e32 v3, s7
	v_add_co_u32_e32 v8, vcc, s6, v8
	v_addc_co_u32_e32 v9, vcc, v3, v9, vcc
	s_andn2_b64 s[0:1], s[0:1], exec
	global_store_dword v[8:9], v10, off
	s_branch .LBB403_3
.LBB403_14:
	s_endpgm
	.section	.rodata,"a",@progbits
	.p2align	6, 0x0
	.amdhsa_kernel _Z36insert_batch_no_update_masked_kernelIyjEvPT_PT0_PKS0_PKS2_PKiii
		.amdhsa_group_segment_fixed_size 0
		.amdhsa_private_segment_fixed_size 0
		.amdhsa_kernarg_size 304
		.amdhsa_user_sgpr_count 6
		.amdhsa_user_sgpr_private_segment_buffer 1
		.amdhsa_user_sgpr_dispatch_ptr 0
		.amdhsa_user_sgpr_queue_ptr 0
		.amdhsa_user_sgpr_kernarg_segment_ptr 1
		.amdhsa_user_sgpr_dispatch_id 0
		.amdhsa_user_sgpr_flat_scratch_init 0
		.amdhsa_user_sgpr_kernarg_preload_length 0
		.amdhsa_user_sgpr_kernarg_preload_offset 0
		.amdhsa_user_sgpr_private_segment_size 0
		.amdhsa_uses_dynamic_stack 0
		.amdhsa_system_sgpr_private_segment_wavefront_offset 0
		.amdhsa_system_sgpr_workgroup_id_x 1
		.amdhsa_system_sgpr_workgroup_id_y 0
		.amdhsa_system_sgpr_workgroup_id_z 0
		.amdhsa_system_sgpr_workgroup_info 0
		.amdhsa_system_vgpr_workitem_id 0
		.amdhsa_next_free_vgpr 16
		.amdhsa_next_free_sgpr 18
		.amdhsa_accum_offset 16
		.amdhsa_reserve_vcc 1
		.amdhsa_reserve_flat_scratch 0
		.amdhsa_float_round_mode_32 0
		.amdhsa_float_round_mode_16_64 0
		.amdhsa_float_denorm_mode_32 3
		.amdhsa_float_denorm_mode_16_64 3
		.amdhsa_dx10_clamp 1
		.amdhsa_ieee_mode 1
		.amdhsa_fp16_overflow 0
		.amdhsa_tg_split 0
		.amdhsa_exception_fp_ieee_invalid_op 0
		.amdhsa_exception_fp_denorm_src 0
		.amdhsa_exception_fp_ieee_div_zero 0
		.amdhsa_exception_fp_ieee_overflow 0
		.amdhsa_exception_fp_ieee_underflow 0
		.amdhsa_exception_fp_ieee_inexact 0
		.amdhsa_exception_int_div_zero 0
	.end_amdhsa_kernel
	.section	.text._Z36insert_batch_no_update_masked_kernelIyjEvPT_PT0_PKS0_PKS2_PKiii,"axG",@progbits,_Z36insert_batch_no_update_masked_kernelIyjEvPT_PT0_PKS0_PKS2_PKiii,comdat
.Lfunc_end403:
	.size	_Z36insert_batch_no_update_masked_kernelIyjEvPT_PT0_PKS0_PKS2_PKiii, .Lfunc_end403-_Z36insert_batch_no_update_masked_kernelIyjEvPT_PT0_PKS0_PKS2_PKiii
                                        ; -- End function
	.section	.AMDGPU.csdata,"",@progbits
; Kernel info:
; codeLenInByte = 1808
; NumSgprs: 22
; NumVgprs: 16
; NumAgprs: 0
; TotalNumVgprs: 16
; ScratchSize: 0
; MemoryBound: 0
; FloatMode: 240
; IeeeMode: 1
; LDSByteSize: 0 bytes/workgroup (compile time only)
; SGPRBlocks: 2
; VGPRBlocks: 1
; NumSGPRsForWavesPerEU: 22
; NumVGPRsForWavesPerEU: 16
; AccumOffset: 16
; Occupancy: 8
; WaveLimiterHint : 0
; COMPUTE_PGM_RSRC2:SCRATCH_EN: 0
; COMPUTE_PGM_RSRC2:USER_SGPR: 6
; COMPUTE_PGM_RSRC2:TRAP_HANDLER: 0
; COMPUTE_PGM_RSRC2:TGID_X_EN: 1
; COMPUTE_PGM_RSRC2:TGID_Y_EN: 0
; COMPUTE_PGM_RSRC2:TGID_Z_EN: 0
; COMPUTE_PGM_RSRC2:TIDIG_COMP_CNT: 0
; COMPUTE_PGM_RSRC3_GFX90A:ACCUM_OFFSET: 3
; COMPUTE_PGM_RSRC3_GFX90A:TG_SPLIT: 0
	.section	.text._Z28retrieve_batch_masked_kernelIyjEvPT_PT0_PKS0_S3_PKiii,"axG",@progbits,_Z28retrieve_batch_masked_kernelIyjEvPT_PT0_PKS0_S3_PKiii,comdat
	.protected	_Z28retrieve_batch_masked_kernelIyjEvPT_PT0_PKS0_S3_PKiii ; -- Begin function _Z28retrieve_batch_masked_kernelIyjEvPT_PT0_PKS0_S3_PKiii
	.globl	_Z28retrieve_batch_masked_kernelIyjEvPT_PT0_PKS0_S3_PKiii
	.p2align	8
	.type	_Z28retrieve_batch_masked_kernelIyjEvPT_PT0_PKS0_S3_PKiii,@function
_Z28retrieve_batch_masked_kernelIyjEvPT_PT0_PKS0_S3_PKiii: ; @_Z28retrieve_batch_masked_kernelIyjEvPT_PT0_PKS0_S3_PKiii
; %bb.0:
	s_load_dword s2, s[4:5], 0x3c
	s_load_dwordx2 s[0:1], s[4:5], 0x28
	s_waitcnt lgkmcnt(0)
	s_and_b32 s2, s2, 0xffff
	s_mul_i32 s6, s6, s2
	v_add_u32_e32 v2, s6, v0
	v_cmp_gt_i32_e32 vcc, s0, v2
	s_and_saveexec_b64 s[2:3], vcc
	s_cbranch_execz .LBB404_15
; %bb.1:
	s_load_dwordx2 s[2:3], s[4:5], 0x20
	v_ashrrev_i32_e32 v3, 31, v2
	v_lshlrev_b64 v[0:1], 2, v[2:3]
	s_waitcnt lgkmcnt(0)
	v_mov_b32_e32 v5, s3
	v_add_co_u32_e32 v4, vcc, s2, v0
	v_addc_co_u32_e32 v5, vcc, v5, v1, vcc
	global_load_dword v4, v[4:5], off
	s_waitcnt vmcnt(0)
	v_cmp_eq_u32_e32 vcc, 1, v4
	s_and_b64 exec, exec, vcc
	s_cbranch_execz .LBB404_15
; %bb.2:
	s_load_dwordx8 s[4:11], s[4:5], 0x0
	v_lshlrev_b64 v[2:3], 3, v[2:3]
	s_mov_b32 s0, 0xff51afd7
	s_mov_b32 s2, 0xed558ccd
	;; [unrolled: 1-line block ×3, first 2 shown]
	s_waitcnt lgkmcnt(0)
	v_mov_b32_e32 v4, s9
	v_add_co_u32_e32 v2, vcc, s8, v2
	v_addc_co_u32_e32 v3, vcc, v4, v3, vcc
	global_load_dwordx2 v[2:3], v[2:3], off
	s_ashr_i32 s9, s1, 31
	s_mov_b32 s8, s1
	s_mov_b32 s12, 0xc4ceb9fe
	v_mov_b32_e32 v4, 0
	s_waitcnt vmcnt(0)
	v_lshrrev_b32_e32 v5, 1, v3
	v_xor_b32_e32 v5, v5, v2
	v_mul_lo_u32 v8, v3, s2
	v_mul_lo_u32 v9, v5, s0
	v_mad_u64_u32 v[6:7], s[0:1], v5, s2, 0
	v_add3_u32 v5, v7, v9, v8
	v_lshrrev_b32_e32 v7, 1, v5
	v_xor_b32_e32 v6, v7, v6
	v_mul_lo_u32 v5, v5, s3
	v_mul_lo_u32 v8, v6, s12
	v_mad_u64_u32 v[6:7], s[0:1], v6, s3, 0
	v_add3_u32 v7, v7, v8, v5
	v_lshrrev_b32_e32 v8, 1, v7
	v_or_b32_e32 v5, s9, v7
	v_xor_b32_e32 v6, v8, v6
	v_cmp_ne_u64_e32 vcc, 0, v[4:5]
                                        ; implicit-def: $vgpr4_vgpr5
	s_and_saveexec_b64 s[0:1], vcc
	s_xor_b64 s[12:13], exec, s[0:1]
	s_cbranch_execz .LBB404_4
; %bb.3:
	v_cvt_f32_u32_e32 v4, s8
	v_cvt_f32_u32_e32 v5, s9
	s_sub_u32 s0, 0, s8
	s_subb_u32 s1, 0, s9
	v_madmk_f32 v4, v5, 0x4f800000, v4
	v_rcp_f32_e32 v4, v4
	v_mul_f32_e32 v4, 0x5f7ffffc, v4
	v_mul_f32_e32 v5, 0x2f800000, v4
	v_trunc_f32_e32 v5, v5
	v_madmk_f32 v4, v5, 0xcf800000, v4
	v_cvt_u32_f32_e32 v5, v5
	v_cvt_u32_f32_e32 v4, v4
	v_mul_lo_u32 v8, s0, v5
	v_mul_hi_u32 v10, s0, v4
	v_mul_lo_u32 v9, s1, v4
	v_add_u32_e32 v8, v10, v8
	v_mul_lo_u32 v11, s0, v4
	v_add_u32_e32 v8, v8, v9
	v_mul_hi_u32 v10, v4, v11
	v_mul_lo_u32 v12, v4, v8
	v_mul_hi_u32 v9, v4, v8
	v_add_co_u32_e32 v10, vcc, v10, v12
	v_addc_co_u32_e32 v9, vcc, 0, v9, vcc
	v_mul_hi_u32 v13, v5, v11
	v_mul_lo_u32 v11, v5, v11
	v_add_co_u32_e32 v10, vcc, v10, v11
	v_mul_hi_u32 v12, v5, v8
	v_addc_co_u32_e32 v9, vcc, v9, v13, vcc
	v_addc_co_u32_e32 v10, vcc, 0, v12, vcc
	v_mul_lo_u32 v8, v5, v8
	v_add_co_u32_e32 v8, vcc, v9, v8
	v_addc_co_u32_e32 v9, vcc, 0, v10, vcc
	v_add_co_u32_e32 v4, vcc, v4, v8
	v_addc_co_u32_e32 v5, vcc, v5, v9, vcc
	v_mul_lo_u32 v8, s0, v5
	v_mul_hi_u32 v9, s0, v4
	v_add_u32_e32 v8, v9, v8
	v_mul_lo_u32 v9, s1, v4
	v_add_u32_e32 v8, v8, v9
	v_mul_lo_u32 v10, s0, v4
	v_mul_hi_u32 v11, v5, v10
	v_mul_lo_u32 v12, v5, v10
	v_mul_lo_u32 v14, v4, v8
	v_mul_hi_u32 v10, v4, v10
	v_mul_hi_u32 v13, v4, v8
	v_add_co_u32_e32 v10, vcc, v10, v14
	v_addc_co_u32_e32 v13, vcc, 0, v13, vcc
	v_add_co_u32_e32 v10, vcc, v10, v12
	v_mul_hi_u32 v9, v5, v8
	v_addc_co_u32_e32 v10, vcc, v13, v11, vcc
	v_addc_co_u32_e32 v9, vcc, 0, v9, vcc
	v_mul_lo_u32 v8, v5, v8
	v_add_co_u32_e32 v8, vcc, v10, v8
	v_addc_co_u32_e32 v9, vcc, 0, v9, vcc
	v_add_co_u32_e32 v8, vcc, v4, v8
	v_addc_co_u32_e32 v9, vcc, v5, v9, vcc
	v_mad_u64_u32 v[4:5], s[0:1], v6, v9, 0
	v_mul_hi_u32 v10, v6, v8
	v_add_co_u32_e32 v10, vcc, v10, v4
	v_addc_co_u32_e32 v11, vcc, 0, v5, vcc
	v_mad_u64_u32 v[4:5], s[0:1], v7, v9, 0
	v_mad_u64_u32 v[8:9], s[0:1], v7, v8, 0
	v_add_co_u32_e32 v8, vcc, v10, v8
	v_addc_co_u32_e32 v8, vcc, v11, v9, vcc
	v_addc_co_u32_e32 v5, vcc, 0, v5, vcc
	v_add_co_u32_e32 v4, vcc, v8, v4
	v_addc_co_u32_e32 v5, vcc, 0, v5, vcc
	v_mul_lo_u32 v8, s9, v4
	v_mul_lo_u32 v9, s8, v5
	v_mad_u64_u32 v[4:5], s[0:1], s8, v4, 0
	v_add3_u32 v5, v5, v9, v8
	v_sub_u32_e32 v8, v7, v5
	v_mov_b32_e32 v9, s9
	v_sub_co_u32_e32 v4, vcc, v6, v4
	v_subb_co_u32_e64 v6, s[0:1], v8, v9, vcc
	v_subrev_co_u32_e64 v8, s[0:1], s8, v4
	v_subbrev_co_u32_e64 v10, s[2:3], 0, v6, s[0:1]
	v_cmp_le_u32_e64 s[2:3], s9, v10
	v_cndmask_b32_e64 v11, 0, -1, s[2:3]
	v_cmp_le_u32_e64 s[2:3], s8, v8
	v_subb_co_u32_e64 v6, s[0:1], v6, v9, s[0:1]
	v_cndmask_b32_e64 v12, 0, -1, s[2:3]
	v_cmp_eq_u32_e64 s[2:3], s9, v10
	v_subrev_co_u32_e64 v9, s[0:1], s8, v8
	v_subb_co_u32_e32 v5, vcc, v7, v5, vcc
	v_cndmask_b32_e64 v11, v11, v12, s[2:3]
	v_subbrev_co_u32_e64 v6, s[0:1], 0, v6, s[0:1]
	v_cmp_le_u32_e32 vcc, s9, v5
	v_cmp_ne_u32_e64 s[0:1], 0, v11
	v_cndmask_b32_e64 v7, 0, -1, vcc
	v_cmp_le_u32_e32 vcc, s8, v4
	v_cndmask_b32_e64 v6, v10, v6, s[0:1]
	v_cndmask_b32_e64 v10, 0, -1, vcc
	v_cmp_eq_u32_e32 vcc, s9, v5
	v_cndmask_b32_e32 v7, v7, v10, vcc
	v_cmp_ne_u32_e32 vcc, 0, v7
	v_cndmask_b32_e32 v5, v5, v6, vcc
	v_cndmask_b32_e64 v6, v8, v9, s[0:1]
	v_cndmask_b32_e32 v4, v4, v6, vcc
                                        ; implicit-def: $vgpr6
.LBB404_4:
	s_andn2_saveexec_b64 s[0:1], s[12:13]
	s_cbranch_execz .LBB404_6
; %bb.5:
	v_cvt_f32_u32_e32 v4, s8
	s_sub_i32 s2, 0, s8
	v_rcp_iflag_f32_e32 v4, v4
	v_mul_f32_e32 v4, 0x4f7ffffe, v4
	v_cvt_u32_f32_e32 v4, v4
	v_mul_lo_u32 v5, s2, v4
	v_mul_hi_u32 v5, v4, v5
	v_add_u32_e32 v4, v4, v5
	v_mul_hi_u32 v4, v6, v4
	v_mul_lo_u32 v4, v4, s8
	v_sub_u32_e32 v4, v6, v4
	v_subrev_u32_e32 v5, s8, v4
	v_cmp_le_u32_e32 vcc, s8, v4
	v_cndmask_b32_e32 v4, v4, v5, vcc
	v_subrev_u32_e32 v5, s8, v4
	v_cmp_le_u32_e32 vcc, s8, v4
	v_cndmask_b32_e32 v4, v4, v5, vcc
	v_mov_b32_e32 v5, 0
.LBB404_6:
	s_or_b64 exec, exec, s[0:1]
	v_lshlrev_b64 v[6:7], 3, v[4:5]
	v_mov_b32_e32 v8, s5
	v_add_co_u32_e32 v6, vcc, s4, v6
	v_addc_co_u32_e32 v7, vcc, v8, v7, vcc
	global_load_dwordx2 v[6:7], v[6:7], off
	s_mov_b64 s[2:3], -1
                                        ; implicit-def: $sgpr14
	s_waitcnt vmcnt(0)
	v_cmp_ne_u64_e32 vcc, v[6:7], v[2:3]
	s_and_saveexec_b64 s[0:1], vcc
	s_cbranch_execz .LBB404_12
; %bb.7:
	s_mov_b64 s[2:3], 0
                                        ; implicit-def: $sgpr12_sgpr13
                                        ; implicit-def: $sgpr16_sgpr17
                                        ; implicit-def: $sgpr14_sgpr15
	s_branch .LBB404_9
.LBB404_8:                              ;   in Loop: Header=BB404_9 Depth=1
	s_or_b64 exec, exec, s[18:19]
	s_xor_b64 s[18:19], s[14:15], -1
	s_and_b64 s[20:21], exec, s[16:17]
	s_or_b64 s[2:3], s[20:21], s[2:3]
	s_andn2_b64 s[12:13], s[12:13], exec
	s_and_b64 s[18:19], s[18:19], exec
	s_or_b64 s[12:13], s[12:13], s[18:19]
	s_andn2_b64 exec, exec, s[2:3]
	s_cbranch_execz .LBB404_11
.LBB404_9:                              ; =>This Inner Loop Header: Depth=1
	v_cmp_ne_u64_e32 vcc, -1, v[6:7]
	s_or_b64 s[14:15], s[14:15], exec
	s_or_b64 s[16:17], s[16:17], exec
                                        ; implicit-def: $vgpr6_vgpr7
	s_and_saveexec_b64 s[18:19], vcc
	s_cbranch_execz .LBB404_8
; %bb.10:                               ;   in Loop: Header=BB404_9 Depth=1
	v_add_co_u32_e32 v4, vcc, 1, v4
	v_addc_co_u32_e32 v5, vcc, 0, v5, vcc
	v_cmp_ne_u64_e32 vcc, s[8:9], v[4:5]
	v_cndmask_b32_e32 v5, 0, v5, vcc
	v_cndmask_b32_e32 v4, 0, v4, vcc
	v_lshlrev_b64 v[6:7], 3, v[4:5]
	v_mov_b32_e32 v8, s5
	v_add_co_u32_e32 v6, vcc, s4, v6
	v_addc_co_u32_e32 v7, vcc, v8, v7, vcc
	global_load_dwordx2 v[6:7], v[6:7], off
	s_andn2_b64 s[16:17], s[16:17], exec
	s_andn2_b64 s[14:15], s[14:15], exec
	s_waitcnt vmcnt(0)
	v_cmp_eq_u64_e32 vcc, v[6:7], v[2:3]
	s_and_b64 s[20:21], vcc, exec
	s_or_b64 s[16:17], s[16:17], s[20:21]
	s_branch .LBB404_8
.LBB404_11:
	s_or_b64 exec, exec, s[2:3]
	s_mov_b32 s14, -1
	s_orn2_b64 s[2:3], s[12:13], exec
.LBB404_12:
	s_or_b64 exec, exec, s[0:1]
	v_mov_b32_e32 v2, s14
	s_and_saveexec_b64 s[0:1], s[2:3]
	s_cbranch_execz .LBB404_14
; %bb.13:
	v_lshlrev_b64 v[2:3], 2, v[4:5]
	v_mov_b32_e32 v4, s7
	v_add_co_u32_e32 v2, vcc, s6, v2
	v_addc_co_u32_e32 v3, vcc, v4, v3, vcc
	global_load_dword v2, v[2:3], off
.LBB404_14:
	s_or_b64 exec, exec, s[0:1]
	v_mov_b32_e32 v3, s11
	v_add_co_u32_e32 v0, vcc, s10, v0
	v_addc_co_u32_e32 v1, vcc, v3, v1, vcc
	s_waitcnt vmcnt(0)
	global_store_dword v[0:1], v2, off
.LBB404_15:
	s_endpgm
	.section	.rodata,"a",@progbits
	.p2align	6, 0x0
	.amdhsa_kernel _Z28retrieve_batch_masked_kernelIyjEvPT_PT0_PKS0_S3_PKiii
		.amdhsa_group_segment_fixed_size 0
		.amdhsa_private_segment_fixed_size 0
		.amdhsa_kernarg_size 304
		.amdhsa_user_sgpr_count 6
		.amdhsa_user_sgpr_private_segment_buffer 1
		.amdhsa_user_sgpr_dispatch_ptr 0
		.amdhsa_user_sgpr_queue_ptr 0
		.amdhsa_user_sgpr_kernarg_segment_ptr 1
		.amdhsa_user_sgpr_dispatch_id 0
		.amdhsa_user_sgpr_flat_scratch_init 0
		.amdhsa_user_sgpr_kernarg_preload_length 0
		.amdhsa_user_sgpr_kernarg_preload_offset 0
		.amdhsa_user_sgpr_private_segment_size 0
		.amdhsa_uses_dynamic_stack 0
		.amdhsa_system_sgpr_private_segment_wavefront_offset 0
		.amdhsa_system_sgpr_workgroup_id_x 1
		.amdhsa_system_sgpr_workgroup_id_y 0
		.amdhsa_system_sgpr_workgroup_id_z 0
		.amdhsa_system_sgpr_workgroup_info 0
		.amdhsa_system_vgpr_workitem_id 0
		.amdhsa_next_free_vgpr 15
		.amdhsa_next_free_sgpr 22
		.amdhsa_accum_offset 16
		.amdhsa_reserve_vcc 1
		.amdhsa_reserve_flat_scratch 0
		.amdhsa_float_round_mode_32 0
		.amdhsa_float_round_mode_16_64 0
		.amdhsa_float_denorm_mode_32 3
		.amdhsa_float_denorm_mode_16_64 3
		.amdhsa_dx10_clamp 1
		.amdhsa_ieee_mode 1
		.amdhsa_fp16_overflow 0
		.amdhsa_tg_split 0
		.amdhsa_exception_fp_ieee_invalid_op 0
		.amdhsa_exception_fp_denorm_src 0
		.amdhsa_exception_fp_ieee_div_zero 0
		.amdhsa_exception_fp_ieee_overflow 0
		.amdhsa_exception_fp_ieee_underflow 0
		.amdhsa_exception_fp_ieee_inexact 0
		.amdhsa_exception_int_div_zero 0
	.end_amdhsa_kernel
	.section	.text._Z28retrieve_batch_masked_kernelIyjEvPT_PT0_PKS0_S3_PKiii,"axG",@progbits,_Z28retrieve_batch_masked_kernelIyjEvPT_PT0_PKS0_S3_PKiii,comdat
.Lfunc_end404:
	.size	_Z28retrieve_batch_masked_kernelIyjEvPT_PT0_PKS0_S3_PKiii, .Lfunc_end404-_Z28retrieve_batch_masked_kernelIyjEvPT_PT0_PKS0_S3_PKiii
                                        ; -- End function
	.section	.AMDGPU.csdata,"",@progbits
; Kernel info:
; codeLenInByte = 1292
; NumSgprs: 26
; NumVgprs: 15
; NumAgprs: 0
; TotalNumVgprs: 15
; ScratchSize: 0
; MemoryBound: 0
; FloatMode: 240
; IeeeMode: 1
; LDSByteSize: 0 bytes/workgroup (compile time only)
; SGPRBlocks: 3
; VGPRBlocks: 1
; NumSGPRsForWavesPerEU: 26
; NumVGPRsForWavesPerEU: 15
; AccumOffset: 16
; Occupancy: 8
; WaveLimiterHint : 0
; COMPUTE_PGM_RSRC2:SCRATCH_EN: 0
; COMPUTE_PGM_RSRC2:USER_SGPR: 6
; COMPUTE_PGM_RSRC2:TRAP_HANDLER: 0
; COMPUTE_PGM_RSRC2:TGID_X_EN: 1
; COMPUTE_PGM_RSRC2:TGID_Y_EN: 0
; COMPUTE_PGM_RSRC2:TGID_Z_EN: 0
; COMPUTE_PGM_RSRC2:TIDIG_COMP_CNT: 0
; COMPUTE_PGM_RSRC3_GFX90A:ACCUM_OFFSET: 3
; COMPUTE_PGM_RSRC3_GFX90A:TG_SPLIT: 0
	.section	.text._ZN7rocprim17ROCPRIM_400000_NS6detail17trampoline_kernelINS0_14default_configENS1_22reduce_config_selectorIjEEZNS1_11reduce_implILb1ES3_PjPiiN6thrust23THRUST_200600_302600_NS7maximumIjEEEE10hipError_tPvRmT1_T2_T3_mT4_P12ihipStream_tbEUlT_E0_NS1_11comp_targetILNS1_3genE0ELNS1_11target_archE4294967295ELNS1_3gpuE0ELNS1_3repE0EEENS1_30default_config_static_selectorELNS0_4arch9wavefront6targetE1EEEvSG_,"axG",@progbits,_ZN7rocprim17ROCPRIM_400000_NS6detail17trampoline_kernelINS0_14default_configENS1_22reduce_config_selectorIjEEZNS1_11reduce_implILb1ES3_PjPiiN6thrust23THRUST_200600_302600_NS7maximumIjEEEE10hipError_tPvRmT1_T2_T3_mT4_P12ihipStream_tbEUlT_E0_NS1_11comp_targetILNS1_3genE0ELNS1_11target_archE4294967295ELNS1_3gpuE0ELNS1_3repE0EEENS1_30default_config_static_selectorELNS0_4arch9wavefront6targetE1EEEvSG_,comdat
	.protected	_ZN7rocprim17ROCPRIM_400000_NS6detail17trampoline_kernelINS0_14default_configENS1_22reduce_config_selectorIjEEZNS1_11reduce_implILb1ES3_PjPiiN6thrust23THRUST_200600_302600_NS7maximumIjEEEE10hipError_tPvRmT1_T2_T3_mT4_P12ihipStream_tbEUlT_E0_NS1_11comp_targetILNS1_3genE0ELNS1_11target_archE4294967295ELNS1_3gpuE0ELNS1_3repE0EEENS1_30default_config_static_selectorELNS0_4arch9wavefront6targetE1EEEvSG_ ; -- Begin function _ZN7rocprim17ROCPRIM_400000_NS6detail17trampoline_kernelINS0_14default_configENS1_22reduce_config_selectorIjEEZNS1_11reduce_implILb1ES3_PjPiiN6thrust23THRUST_200600_302600_NS7maximumIjEEEE10hipError_tPvRmT1_T2_T3_mT4_P12ihipStream_tbEUlT_E0_NS1_11comp_targetILNS1_3genE0ELNS1_11target_archE4294967295ELNS1_3gpuE0ELNS1_3repE0EEENS1_30default_config_static_selectorELNS0_4arch9wavefront6targetE1EEEvSG_
	.globl	_ZN7rocprim17ROCPRIM_400000_NS6detail17trampoline_kernelINS0_14default_configENS1_22reduce_config_selectorIjEEZNS1_11reduce_implILb1ES3_PjPiiN6thrust23THRUST_200600_302600_NS7maximumIjEEEE10hipError_tPvRmT1_T2_T3_mT4_P12ihipStream_tbEUlT_E0_NS1_11comp_targetILNS1_3genE0ELNS1_11target_archE4294967295ELNS1_3gpuE0ELNS1_3repE0EEENS1_30default_config_static_selectorELNS0_4arch9wavefront6targetE1EEEvSG_
	.p2align	8
	.type	_ZN7rocprim17ROCPRIM_400000_NS6detail17trampoline_kernelINS0_14default_configENS1_22reduce_config_selectorIjEEZNS1_11reduce_implILb1ES3_PjPiiN6thrust23THRUST_200600_302600_NS7maximumIjEEEE10hipError_tPvRmT1_T2_T3_mT4_P12ihipStream_tbEUlT_E0_NS1_11comp_targetILNS1_3genE0ELNS1_11target_archE4294967295ELNS1_3gpuE0ELNS1_3repE0EEENS1_30default_config_static_selectorELNS0_4arch9wavefront6targetE1EEEvSG_,@function
_ZN7rocprim17ROCPRIM_400000_NS6detail17trampoline_kernelINS0_14default_configENS1_22reduce_config_selectorIjEEZNS1_11reduce_implILb1ES3_PjPiiN6thrust23THRUST_200600_302600_NS7maximumIjEEEE10hipError_tPvRmT1_T2_T3_mT4_P12ihipStream_tbEUlT_E0_NS1_11comp_targetILNS1_3genE0ELNS1_11target_archE4294967295ELNS1_3gpuE0ELNS1_3repE0EEENS1_30default_config_static_selectorELNS0_4arch9wavefront6targetE1EEEvSG_: ; @_ZN7rocprim17ROCPRIM_400000_NS6detail17trampoline_kernelINS0_14default_configENS1_22reduce_config_selectorIjEEZNS1_11reduce_implILb1ES3_PjPiiN6thrust23THRUST_200600_302600_NS7maximumIjEEEE10hipError_tPvRmT1_T2_T3_mT4_P12ihipStream_tbEUlT_E0_NS1_11comp_targetILNS1_3genE0ELNS1_11target_archE4294967295ELNS1_3gpuE0ELNS1_3repE0EEENS1_30default_config_static_selectorELNS0_4arch9wavefront6targetE1EEEvSG_
; %bb.0:
	.section	.rodata,"a",@progbits
	.p2align	6, 0x0
	.amdhsa_kernel _ZN7rocprim17ROCPRIM_400000_NS6detail17trampoline_kernelINS0_14default_configENS1_22reduce_config_selectorIjEEZNS1_11reduce_implILb1ES3_PjPiiN6thrust23THRUST_200600_302600_NS7maximumIjEEEE10hipError_tPvRmT1_T2_T3_mT4_P12ihipStream_tbEUlT_E0_NS1_11comp_targetILNS1_3genE0ELNS1_11target_archE4294967295ELNS1_3gpuE0ELNS1_3repE0EEENS1_30default_config_static_selectorELNS0_4arch9wavefront6targetE1EEEvSG_
		.amdhsa_group_segment_fixed_size 0
		.amdhsa_private_segment_fixed_size 0
		.amdhsa_kernarg_size 56
		.amdhsa_user_sgpr_count 6
		.amdhsa_user_sgpr_private_segment_buffer 1
		.amdhsa_user_sgpr_dispatch_ptr 0
		.amdhsa_user_sgpr_queue_ptr 0
		.amdhsa_user_sgpr_kernarg_segment_ptr 1
		.amdhsa_user_sgpr_dispatch_id 0
		.amdhsa_user_sgpr_flat_scratch_init 0
		.amdhsa_user_sgpr_kernarg_preload_length 0
		.amdhsa_user_sgpr_kernarg_preload_offset 0
		.amdhsa_user_sgpr_private_segment_size 0
		.amdhsa_uses_dynamic_stack 0
		.amdhsa_system_sgpr_private_segment_wavefront_offset 0
		.amdhsa_system_sgpr_workgroup_id_x 1
		.amdhsa_system_sgpr_workgroup_id_y 0
		.amdhsa_system_sgpr_workgroup_id_z 0
		.amdhsa_system_sgpr_workgroup_info 0
		.amdhsa_system_vgpr_workitem_id 0
		.amdhsa_next_free_vgpr 1
		.amdhsa_next_free_sgpr 0
		.amdhsa_accum_offset 4
		.amdhsa_reserve_vcc 0
		.amdhsa_reserve_flat_scratch 0
		.amdhsa_float_round_mode_32 0
		.amdhsa_float_round_mode_16_64 0
		.amdhsa_float_denorm_mode_32 3
		.amdhsa_float_denorm_mode_16_64 3
		.amdhsa_dx10_clamp 1
		.amdhsa_ieee_mode 1
		.amdhsa_fp16_overflow 0
		.amdhsa_tg_split 0
		.amdhsa_exception_fp_ieee_invalid_op 0
		.amdhsa_exception_fp_denorm_src 0
		.amdhsa_exception_fp_ieee_div_zero 0
		.amdhsa_exception_fp_ieee_overflow 0
		.amdhsa_exception_fp_ieee_underflow 0
		.amdhsa_exception_fp_ieee_inexact 0
		.amdhsa_exception_int_div_zero 0
	.end_amdhsa_kernel
	.section	.text._ZN7rocprim17ROCPRIM_400000_NS6detail17trampoline_kernelINS0_14default_configENS1_22reduce_config_selectorIjEEZNS1_11reduce_implILb1ES3_PjPiiN6thrust23THRUST_200600_302600_NS7maximumIjEEEE10hipError_tPvRmT1_T2_T3_mT4_P12ihipStream_tbEUlT_E0_NS1_11comp_targetILNS1_3genE0ELNS1_11target_archE4294967295ELNS1_3gpuE0ELNS1_3repE0EEENS1_30default_config_static_selectorELNS0_4arch9wavefront6targetE1EEEvSG_,"axG",@progbits,_ZN7rocprim17ROCPRIM_400000_NS6detail17trampoline_kernelINS0_14default_configENS1_22reduce_config_selectorIjEEZNS1_11reduce_implILb1ES3_PjPiiN6thrust23THRUST_200600_302600_NS7maximumIjEEEE10hipError_tPvRmT1_T2_T3_mT4_P12ihipStream_tbEUlT_E0_NS1_11comp_targetILNS1_3genE0ELNS1_11target_archE4294967295ELNS1_3gpuE0ELNS1_3repE0EEENS1_30default_config_static_selectorELNS0_4arch9wavefront6targetE1EEEvSG_,comdat
.Lfunc_end405:
	.size	_ZN7rocprim17ROCPRIM_400000_NS6detail17trampoline_kernelINS0_14default_configENS1_22reduce_config_selectorIjEEZNS1_11reduce_implILb1ES3_PjPiiN6thrust23THRUST_200600_302600_NS7maximumIjEEEE10hipError_tPvRmT1_T2_T3_mT4_P12ihipStream_tbEUlT_E0_NS1_11comp_targetILNS1_3genE0ELNS1_11target_archE4294967295ELNS1_3gpuE0ELNS1_3repE0EEENS1_30default_config_static_selectorELNS0_4arch9wavefront6targetE1EEEvSG_, .Lfunc_end405-_ZN7rocprim17ROCPRIM_400000_NS6detail17trampoline_kernelINS0_14default_configENS1_22reduce_config_selectorIjEEZNS1_11reduce_implILb1ES3_PjPiiN6thrust23THRUST_200600_302600_NS7maximumIjEEEE10hipError_tPvRmT1_T2_T3_mT4_P12ihipStream_tbEUlT_E0_NS1_11comp_targetILNS1_3genE0ELNS1_11target_archE4294967295ELNS1_3gpuE0ELNS1_3repE0EEENS1_30default_config_static_selectorELNS0_4arch9wavefront6targetE1EEEvSG_
                                        ; -- End function
	.section	.AMDGPU.csdata,"",@progbits
; Kernel info:
; codeLenInByte = 0
; NumSgprs: 4
; NumVgprs: 0
; NumAgprs: 0
; TotalNumVgprs: 0
; ScratchSize: 0
; MemoryBound: 0
; FloatMode: 240
; IeeeMode: 1
; LDSByteSize: 0 bytes/workgroup (compile time only)
; SGPRBlocks: 0
; VGPRBlocks: 0
; NumSGPRsForWavesPerEU: 4
; NumVGPRsForWavesPerEU: 1
; AccumOffset: 4
; Occupancy: 8
; WaveLimiterHint : 0
; COMPUTE_PGM_RSRC2:SCRATCH_EN: 0
; COMPUTE_PGM_RSRC2:USER_SGPR: 6
; COMPUTE_PGM_RSRC2:TRAP_HANDLER: 0
; COMPUTE_PGM_RSRC2:TGID_X_EN: 1
; COMPUTE_PGM_RSRC2:TGID_Y_EN: 0
; COMPUTE_PGM_RSRC2:TGID_Z_EN: 0
; COMPUTE_PGM_RSRC2:TIDIG_COMP_CNT: 0
; COMPUTE_PGM_RSRC3_GFX90A:ACCUM_OFFSET: 0
; COMPUTE_PGM_RSRC3_GFX90A:TG_SPLIT: 0
	.section	.text._ZN7rocprim17ROCPRIM_400000_NS6detail17trampoline_kernelINS0_14default_configENS1_22reduce_config_selectorIjEEZNS1_11reduce_implILb1ES3_PjPiiN6thrust23THRUST_200600_302600_NS7maximumIjEEEE10hipError_tPvRmT1_T2_T3_mT4_P12ihipStream_tbEUlT_E0_NS1_11comp_targetILNS1_3genE5ELNS1_11target_archE942ELNS1_3gpuE9ELNS1_3repE0EEENS1_30default_config_static_selectorELNS0_4arch9wavefront6targetE1EEEvSG_,"axG",@progbits,_ZN7rocprim17ROCPRIM_400000_NS6detail17trampoline_kernelINS0_14default_configENS1_22reduce_config_selectorIjEEZNS1_11reduce_implILb1ES3_PjPiiN6thrust23THRUST_200600_302600_NS7maximumIjEEEE10hipError_tPvRmT1_T2_T3_mT4_P12ihipStream_tbEUlT_E0_NS1_11comp_targetILNS1_3genE5ELNS1_11target_archE942ELNS1_3gpuE9ELNS1_3repE0EEENS1_30default_config_static_selectorELNS0_4arch9wavefront6targetE1EEEvSG_,comdat
	.protected	_ZN7rocprim17ROCPRIM_400000_NS6detail17trampoline_kernelINS0_14default_configENS1_22reduce_config_selectorIjEEZNS1_11reduce_implILb1ES3_PjPiiN6thrust23THRUST_200600_302600_NS7maximumIjEEEE10hipError_tPvRmT1_T2_T3_mT4_P12ihipStream_tbEUlT_E0_NS1_11comp_targetILNS1_3genE5ELNS1_11target_archE942ELNS1_3gpuE9ELNS1_3repE0EEENS1_30default_config_static_selectorELNS0_4arch9wavefront6targetE1EEEvSG_ ; -- Begin function _ZN7rocprim17ROCPRIM_400000_NS6detail17trampoline_kernelINS0_14default_configENS1_22reduce_config_selectorIjEEZNS1_11reduce_implILb1ES3_PjPiiN6thrust23THRUST_200600_302600_NS7maximumIjEEEE10hipError_tPvRmT1_T2_T3_mT4_P12ihipStream_tbEUlT_E0_NS1_11comp_targetILNS1_3genE5ELNS1_11target_archE942ELNS1_3gpuE9ELNS1_3repE0EEENS1_30default_config_static_selectorELNS0_4arch9wavefront6targetE1EEEvSG_
	.globl	_ZN7rocprim17ROCPRIM_400000_NS6detail17trampoline_kernelINS0_14default_configENS1_22reduce_config_selectorIjEEZNS1_11reduce_implILb1ES3_PjPiiN6thrust23THRUST_200600_302600_NS7maximumIjEEEE10hipError_tPvRmT1_T2_T3_mT4_P12ihipStream_tbEUlT_E0_NS1_11comp_targetILNS1_3genE5ELNS1_11target_archE942ELNS1_3gpuE9ELNS1_3repE0EEENS1_30default_config_static_selectorELNS0_4arch9wavefront6targetE1EEEvSG_
	.p2align	8
	.type	_ZN7rocprim17ROCPRIM_400000_NS6detail17trampoline_kernelINS0_14default_configENS1_22reduce_config_selectorIjEEZNS1_11reduce_implILb1ES3_PjPiiN6thrust23THRUST_200600_302600_NS7maximumIjEEEE10hipError_tPvRmT1_T2_T3_mT4_P12ihipStream_tbEUlT_E0_NS1_11comp_targetILNS1_3genE5ELNS1_11target_archE942ELNS1_3gpuE9ELNS1_3repE0EEENS1_30default_config_static_selectorELNS0_4arch9wavefront6targetE1EEEvSG_,@function
_ZN7rocprim17ROCPRIM_400000_NS6detail17trampoline_kernelINS0_14default_configENS1_22reduce_config_selectorIjEEZNS1_11reduce_implILb1ES3_PjPiiN6thrust23THRUST_200600_302600_NS7maximumIjEEEE10hipError_tPvRmT1_T2_T3_mT4_P12ihipStream_tbEUlT_E0_NS1_11comp_targetILNS1_3genE5ELNS1_11target_archE942ELNS1_3gpuE9ELNS1_3repE0EEENS1_30default_config_static_selectorELNS0_4arch9wavefront6targetE1EEEvSG_: ; @_ZN7rocprim17ROCPRIM_400000_NS6detail17trampoline_kernelINS0_14default_configENS1_22reduce_config_selectorIjEEZNS1_11reduce_implILb1ES3_PjPiiN6thrust23THRUST_200600_302600_NS7maximumIjEEEE10hipError_tPvRmT1_T2_T3_mT4_P12ihipStream_tbEUlT_E0_NS1_11comp_targetILNS1_3genE5ELNS1_11target_archE942ELNS1_3gpuE9ELNS1_3repE0EEENS1_30default_config_static_selectorELNS0_4arch9wavefront6targetE1EEEvSG_
; %bb.0:
	.section	.rodata,"a",@progbits
	.p2align	6, 0x0
	.amdhsa_kernel _ZN7rocprim17ROCPRIM_400000_NS6detail17trampoline_kernelINS0_14default_configENS1_22reduce_config_selectorIjEEZNS1_11reduce_implILb1ES3_PjPiiN6thrust23THRUST_200600_302600_NS7maximumIjEEEE10hipError_tPvRmT1_T2_T3_mT4_P12ihipStream_tbEUlT_E0_NS1_11comp_targetILNS1_3genE5ELNS1_11target_archE942ELNS1_3gpuE9ELNS1_3repE0EEENS1_30default_config_static_selectorELNS0_4arch9wavefront6targetE1EEEvSG_
		.amdhsa_group_segment_fixed_size 0
		.amdhsa_private_segment_fixed_size 0
		.amdhsa_kernarg_size 56
		.amdhsa_user_sgpr_count 6
		.amdhsa_user_sgpr_private_segment_buffer 1
		.amdhsa_user_sgpr_dispatch_ptr 0
		.amdhsa_user_sgpr_queue_ptr 0
		.amdhsa_user_sgpr_kernarg_segment_ptr 1
		.amdhsa_user_sgpr_dispatch_id 0
		.amdhsa_user_sgpr_flat_scratch_init 0
		.amdhsa_user_sgpr_kernarg_preload_length 0
		.amdhsa_user_sgpr_kernarg_preload_offset 0
		.amdhsa_user_sgpr_private_segment_size 0
		.amdhsa_uses_dynamic_stack 0
		.amdhsa_system_sgpr_private_segment_wavefront_offset 0
		.amdhsa_system_sgpr_workgroup_id_x 1
		.amdhsa_system_sgpr_workgroup_id_y 0
		.amdhsa_system_sgpr_workgroup_id_z 0
		.amdhsa_system_sgpr_workgroup_info 0
		.amdhsa_system_vgpr_workitem_id 0
		.amdhsa_next_free_vgpr 1
		.amdhsa_next_free_sgpr 0
		.amdhsa_accum_offset 4
		.amdhsa_reserve_vcc 0
		.amdhsa_reserve_flat_scratch 0
		.amdhsa_float_round_mode_32 0
		.amdhsa_float_round_mode_16_64 0
		.amdhsa_float_denorm_mode_32 3
		.amdhsa_float_denorm_mode_16_64 3
		.amdhsa_dx10_clamp 1
		.amdhsa_ieee_mode 1
		.amdhsa_fp16_overflow 0
		.amdhsa_tg_split 0
		.amdhsa_exception_fp_ieee_invalid_op 0
		.amdhsa_exception_fp_denorm_src 0
		.amdhsa_exception_fp_ieee_div_zero 0
		.amdhsa_exception_fp_ieee_overflow 0
		.amdhsa_exception_fp_ieee_underflow 0
		.amdhsa_exception_fp_ieee_inexact 0
		.amdhsa_exception_int_div_zero 0
	.end_amdhsa_kernel
	.section	.text._ZN7rocprim17ROCPRIM_400000_NS6detail17trampoline_kernelINS0_14default_configENS1_22reduce_config_selectorIjEEZNS1_11reduce_implILb1ES3_PjPiiN6thrust23THRUST_200600_302600_NS7maximumIjEEEE10hipError_tPvRmT1_T2_T3_mT4_P12ihipStream_tbEUlT_E0_NS1_11comp_targetILNS1_3genE5ELNS1_11target_archE942ELNS1_3gpuE9ELNS1_3repE0EEENS1_30default_config_static_selectorELNS0_4arch9wavefront6targetE1EEEvSG_,"axG",@progbits,_ZN7rocprim17ROCPRIM_400000_NS6detail17trampoline_kernelINS0_14default_configENS1_22reduce_config_selectorIjEEZNS1_11reduce_implILb1ES3_PjPiiN6thrust23THRUST_200600_302600_NS7maximumIjEEEE10hipError_tPvRmT1_T2_T3_mT4_P12ihipStream_tbEUlT_E0_NS1_11comp_targetILNS1_3genE5ELNS1_11target_archE942ELNS1_3gpuE9ELNS1_3repE0EEENS1_30default_config_static_selectorELNS0_4arch9wavefront6targetE1EEEvSG_,comdat
.Lfunc_end406:
	.size	_ZN7rocprim17ROCPRIM_400000_NS6detail17trampoline_kernelINS0_14default_configENS1_22reduce_config_selectorIjEEZNS1_11reduce_implILb1ES3_PjPiiN6thrust23THRUST_200600_302600_NS7maximumIjEEEE10hipError_tPvRmT1_T2_T3_mT4_P12ihipStream_tbEUlT_E0_NS1_11comp_targetILNS1_3genE5ELNS1_11target_archE942ELNS1_3gpuE9ELNS1_3repE0EEENS1_30default_config_static_selectorELNS0_4arch9wavefront6targetE1EEEvSG_, .Lfunc_end406-_ZN7rocprim17ROCPRIM_400000_NS6detail17trampoline_kernelINS0_14default_configENS1_22reduce_config_selectorIjEEZNS1_11reduce_implILb1ES3_PjPiiN6thrust23THRUST_200600_302600_NS7maximumIjEEEE10hipError_tPvRmT1_T2_T3_mT4_P12ihipStream_tbEUlT_E0_NS1_11comp_targetILNS1_3genE5ELNS1_11target_archE942ELNS1_3gpuE9ELNS1_3repE0EEENS1_30default_config_static_selectorELNS0_4arch9wavefront6targetE1EEEvSG_
                                        ; -- End function
	.section	.AMDGPU.csdata,"",@progbits
; Kernel info:
; codeLenInByte = 0
; NumSgprs: 4
; NumVgprs: 0
; NumAgprs: 0
; TotalNumVgprs: 0
; ScratchSize: 0
; MemoryBound: 0
; FloatMode: 240
; IeeeMode: 1
; LDSByteSize: 0 bytes/workgroup (compile time only)
; SGPRBlocks: 0
; VGPRBlocks: 0
; NumSGPRsForWavesPerEU: 4
; NumVGPRsForWavesPerEU: 1
; AccumOffset: 4
; Occupancy: 8
; WaveLimiterHint : 0
; COMPUTE_PGM_RSRC2:SCRATCH_EN: 0
; COMPUTE_PGM_RSRC2:USER_SGPR: 6
; COMPUTE_PGM_RSRC2:TRAP_HANDLER: 0
; COMPUTE_PGM_RSRC2:TGID_X_EN: 1
; COMPUTE_PGM_RSRC2:TGID_Y_EN: 0
; COMPUTE_PGM_RSRC2:TGID_Z_EN: 0
; COMPUTE_PGM_RSRC2:TIDIG_COMP_CNT: 0
; COMPUTE_PGM_RSRC3_GFX90A:ACCUM_OFFSET: 0
; COMPUTE_PGM_RSRC3_GFX90A:TG_SPLIT: 0
	.section	.text._ZN7rocprim17ROCPRIM_400000_NS6detail17trampoline_kernelINS0_14default_configENS1_22reduce_config_selectorIjEEZNS1_11reduce_implILb1ES3_PjPiiN6thrust23THRUST_200600_302600_NS7maximumIjEEEE10hipError_tPvRmT1_T2_T3_mT4_P12ihipStream_tbEUlT_E0_NS1_11comp_targetILNS1_3genE4ELNS1_11target_archE910ELNS1_3gpuE8ELNS1_3repE0EEENS1_30default_config_static_selectorELNS0_4arch9wavefront6targetE1EEEvSG_,"axG",@progbits,_ZN7rocprim17ROCPRIM_400000_NS6detail17trampoline_kernelINS0_14default_configENS1_22reduce_config_selectorIjEEZNS1_11reduce_implILb1ES3_PjPiiN6thrust23THRUST_200600_302600_NS7maximumIjEEEE10hipError_tPvRmT1_T2_T3_mT4_P12ihipStream_tbEUlT_E0_NS1_11comp_targetILNS1_3genE4ELNS1_11target_archE910ELNS1_3gpuE8ELNS1_3repE0EEENS1_30default_config_static_selectorELNS0_4arch9wavefront6targetE1EEEvSG_,comdat
	.protected	_ZN7rocprim17ROCPRIM_400000_NS6detail17trampoline_kernelINS0_14default_configENS1_22reduce_config_selectorIjEEZNS1_11reduce_implILb1ES3_PjPiiN6thrust23THRUST_200600_302600_NS7maximumIjEEEE10hipError_tPvRmT1_T2_T3_mT4_P12ihipStream_tbEUlT_E0_NS1_11comp_targetILNS1_3genE4ELNS1_11target_archE910ELNS1_3gpuE8ELNS1_3repE0EEENS1_30default_config_static_selectorELNS0_4arch9wavefront6targetE1EEEvSG_ ; -- Begin function _ZN7rocprim17ROCPRIM_400000_NS6detail17trampoline_kernelINS0_14default_configENS1_22reduce_config_selectorIjEEZNS1_11reduce_implILb1ES3_PjPiiN6thrust23THRUST_200600_302600_NS7maximumIjEEEE10hipError_tPvRmT1_T2_T3_mT4_P12ihipStream_tbEUlT_E0_NS1_11comp_targetILNS1_3genE4ELNS1_11target_archE910ELNS1_3gpuE8ELNS1_3repE0EEENS1_30default_config_static_selectorELNS0_4arch9wavefront6targetE1EEEvSG_
	.globl	_ZN7rocprim17ROCPRIM_400000_NS6detail17trampoline_kernelINS0_14default_configENS1_22reduce_config_selectorIjEEZNS1_11reduce_implILb1ES3_PjPiiN6thrust23THRUST_200600_302600_NS7maximumIjEEEE10hipError_tPvRmT1_T2_T3_mT4_P12ihipStream_tbEUlT_E0_NS1_11comp_targetILNS1_3genE4ELNS1_11target_archE910ELNS1_3gpuE8ELNS1_3repE0EEENS1_30default_config_static_selectorELNS0_4arch9wavefront6targetE1EEEvSG_
	.p2align	8
	.type	_ZN7rocprim17ROCPRIM_400000_NS6detail17trampoline_kernelINS0_14default_configENS1_22reduce_config_selectorIjEEZNS1_11reduce_implILb1ES3_PjPiiN6thrust23THRUST_200600_302600_NS7maximumIjEEEE10hipError_tPvRmT1_T2_T3_mT4_P12ihipStream_tbEUlT_E0_NS1_11comp_targetILNS1_3genE4ELNS1_11target_archE910ELNS1_3gpuE8ELNS1_3repE0EEENS1_30default_config_static_selectorELNS0_4arch9wavefront6targetE1EEEvSG_,@function
_ZN7rocprim17ROCPRIM_400000_NS6detail17trampoline_kernelINS0_14default_configENS1_22reduce_config_selectorIjEEZNS1_11reduce_implILb1ES3_PjPiiN6thrust23THRUST_200600_302600_NS7maximumIjEEEE10hipError_tPvRmT1_T2_T3_mT4_P12ihipStream_tbEUlT_E0_NS1_11comp_targetILNS1_3genE4ELNS1_11target_archE910ELNS1_3gpuE8ELNS1_3repE0EEENS1_30default_config_static_selectorELNS0_4arch9wavefront6targetE1EEEvSG_: ; @_ZN7rocprim17ROCPRIM_400000_NS6detail17trampoline_kernelINS0_14default_configENS1_22reduce_config_selectorIjEEZNS1_11reduce_implILb1ES3_PjPiiN6thrust23THRUST_200600_302600_NS7maximumIjEEEE10hipError_tPvRmT1_T2_T3_mT4_P12ihipStream_tbEUlT_E0_NS1_11comp_targetILNS1_3genE4ELNS1_11target_archE910ELNS1_3gpuE8ELNS1_3repE0EEENS1_30default_config_static_selectorELNS0_4arch9wavefront6targetE1EEEvSG_
; %bb.0:
	s_load_dwordx8 s[12:19], s[4:5], 0x0
	s_load_dwordx4 s[20:23], s[4:5], 0x20
	v_lshlrev_b32_e32 v10, 2, v0
	v_mbcnt_lo_u32_b32 v1, -1, 0
	s_waitcnt lgkmcnt(0)
	s_lshl_b64 s[0:1], s[14:15], 2
	s_add_u32 s10, s12, s0
	s_addc_u32 s11, s13, s1
	s_lshl_b32 s0, s6, 10
	s_mov_b32 s1, 0
	s_lshr_b64 s[2:3], s[16:17], 10
	s_lshl_b64 s[8:9], s[0:1], 2
	s_add_u32 s14, s10, s8
	s_mov_b32 s7, s1
	s_addc_u32 s15, s11, s9
	s_cmp_lg_u64 s[2:3], s[6:7]
	s_cbranch_scc0 .LBB407_6
; %bb.1:
	global_load_dword v2, v10, s[14:15]
	global_load_dword v5, v10, s[14:15] offset:512
	global_load_dword v6, v10, s[14:15] offset:1024
	;; [unrolled: 1-line block ×7, first 2 shown]
	v_mbcnt_hi_u32_b32 v3, -1, v1
	v_lshlrev_b32_e32 v4, 2, v3
	v_cmp_eq_u32_e32 vcc, 0, v3
	s_waitcnt vmcnt(6)
	v_max_u32_e32 v2, v2, v5
	v_or_b32_e32 v5, 0xfc, v4
	s_waitcnt vmcnt(4)
	v_max3_u32 v2, v2, v6, v7
	s_waitcnt vmcnt(2)
	v_max3_u32 v2, v2, v8, v9
	;; [unrolled: 2-line block ×3, first 2 shown]
	s_nop 1
	v_max_u32_dpp v2, v2, v2 quad_perm:[1,0,3,2] row_mask:0xf bank_mask:0xf bound_ctrl:1
	s_nop 1
	v_max_u32_dpp v2, v2, v2 quad_perm:[2,3,0,1] row_mask:0xf bank_mask:0xf bound_ctrl:1
	s_nop 1
	v_max_u32_dpp v2, v2, v2 row_ror:4 row_mask:0xf bank_mask:0xf bound_ctrl:1
	s_nop 1
	v_max_u32_dpp v2, v2, v2 row_ror:8 row_mask:0xf bank_mask:0xf bound_ctrl:1
	s_nop 1
	v_max_u32_dpp v2, v2, v2 row_bcast:15 row_mask:0xf bank_mask:0xf bound_ctrl:1
	s_nop 1
	v_max_u32_dpp v2, v2, v2 row_bcast:31 row_mask:0xf bank_mask:0xf bound_ctrl:1
	ds_bpermute_b32 v2, v5, v2
	s_and_saveexec_b64 s[2:3], vcc
	s_cbranch_execz .LBB407_3
; %bb.2:
	v_lshrrev_b32_e32 v5, 4, v0
	v_and_b32_e32 v5, 4, v5
	s_waitcnt lgkmcnt(0)
	ds_write_b32 v5, v2
.LBB407_3:
	s_or_b64 exec, exec, s[2:3]
	v_cmp_gt_u32_e32 vcc, 64, v0
	s_waitcnt lgkmcnt(0)
	s_barrier
	s_and_saveexec_b64 s[2:3], vcc
	s_cbranch_execz .LBB407_5
; %bb.4:
	v_and_b32_e32 v2, 1, v3
	v_lshlrev_b32_e32 v2, 2, v2
	ds_read_b32 v2, v2
	v_or_b32_e32 v3, 4, v4
	s_waitcnt lgkmcnt(0)
	ds_bpermute_b32 v3, v3, v2
	s_waitcnt lgkmcnt(0)
	v_max_u32_e32 v2, v2, v3
.LBB407_5:
	s_or_b64 exec, exec, s[2:3]
	s_load_dword s26, s[4:5], 0x30
	s_branch .LBB407_28
.LBB407_6:
                                        ; implicit-def: $vgpr2
	s_load_dword s26, s[4:5], 0x30
	s_cbranch_execz .LBB407_28
; %bb.7:
	s_sub_i32 s27, s16, s0
	v_cmp_gt_u32_e32 vcc, s27, v0
                                        ; implicit-def: $vgpr2_vgpr3_vgpr4_vgpr5_vgpr6_vgpr7_vgpr8_vgpr9
	s_and_saveexec_b64 s[0:1], vcc
	s_cbranch_execz .LBB407_9
; %bb.8:
	global_load_dword v2, v10, s[14:15]
.LBB407_9:
	s_or_b64 exec, exec, s[0:1]
	v_or_b32_e32 v11, 0x80, v0
	v_cmp_gt_u32_e32 vcc, s27, v11
	s_and_saveexec_b64 s[0:1], vcc
	s_cbranch_execz .LBB407_11
; %bb.10:
	global_load_dword v3, v10, s[14:15] offset:512
.LBB407_11:
	s_or_b64 exec, exec, s[0:1]
	v_or_b32_e32 v11, 0x100, v0
	v_cmp_gt_u32_e64 s[0:1], s27, v11
	s_and_saveexec_b64 s[2:3], s[0:1]
	s_cbranch_execz .LBB407_13
; %bb.12:
	global_load_dword v4, v10, s[14:15] offset:1024
.LBB407_13:
	s_or_b64 exec, exec, s[2:3]
	v_or_b32_e32 v11, 0x180, v0
	v_cmp_gt_u32_e64 s[2:3], s27, v11
	s_and_saveexec_b64 s[4:5], s[2:3]
	;; [unrolled: 8-line block ×6, first 2 shown]
	s_cbranch_execz .LBB407_23
; %bb.22:
	global_load_dword v9, v10, s[14:15] offset:3584
.LBB407_23:
	s_or_b64 exec, exec, s[24:25]
	s_waitcnt vmcnt(0)
	v_max_u32_e32 v3, v2, v3
	v_cndmask_b32_e32 v2, v2, v3, vcc
	v_max_u32_e32 v3, v2, v4
	v_cndmask_b32_e64 v2, v2, v3, s[0:1]
	v_max_u32_e32 v3, v2, v5
	v_cndmask_b32_e64 v2, v2, v3, s[2:3]
	;; [unrolled: 2-line block ×5, first 2 shown]
	v_max_u32_e32 v3, v2, v9
	v_mbcnt_hi_u32_b32 v1, -1, v1
	v_cndmask_b32_e64 v2, v2, v3, s[12:13]
	v_and_b32_e32 v3, 63, v1
	v_cmp_ne_u32_e32 vcc, 63, v3
	v_addc_co_u32_e32 v4, vcc, 0, v1, vcc
	v_lshlrev_b32_e32 v4, 2, v4
	ds_bpermute_b32 v4, v4, v2
	s_min_u32 s2, s27, 0x80
	v_and_b32_e32 v5, 64, v0
	v_sub_u32_e64 v5, s2, v5 clamp
	v_add_u32_e32 v6, 1, v3
	s_waitcnt lgkmcnt(0)
	v_max_u32_e32 v4, v2, v4
	v_cmp_lt_u32_e32 vcc, v6, v5
	v_cndmask_b32_e32 v2, v2, v4, vcc
	v_cmp_gt_u32_e32 vcc, 62, v3
	v_cndmask_b32_e64 v4, 0, 1, vcc
	v_lshlrev_b32_e32 v4, 1, v4
	v_add_lshl_u32 v4, v4, v1, 2
	ds_bpermute_b32 v4, v4, v2
	v_add_u32_e32 v6, 2, v3
	v_cmp_lt_u32_e32 vcc, v6, v5
	v_add_u32_e32 v6, 4, v3
	s_waitcnt lgkmcnt(0)
	v_max_u32_e32 v4, v2, v4
	v_cndmask_b32_e32 v2, v2, v4, vcc
	v_cmp_gt_u32_e32 vcc, 60, v3
	v_cndmask_b32_e64 v4, 0, 1, vcc
	v_lshlrev_b32_e32 v4, 2, v4
	v_add_lshl_u32 v4, v4, v1, 2
	ds_bpermute_b32 v4, v4, v2
	v_cmp_lt_u32_e32 vcc, v6, v5
	v_add_u32_e32 v6, 8, v3
	s_waitcnt lgkmcnt(0)
	v_max_u32_e32 v4, v2, v4
	v_cndmask_b32_e32 v2, v2, v4, vcc
	v_cmp_gt_u32_e32 vcc, 56, v3
	v_cndmask_b32_e64 v4, 0, 1, vcc
	v_lshlrev_b32_e32 v4, 3, v4
	v_add_lshl_u32 v4, v4, v1, 2
	ds_bpermute_b32 v4, v4, v2
	;; [unrolled: 10-line block ×3, first 2 shown]
	v_cmp_lt_u32_e32 vcc, v6, v5
	s_waitcnt lgkmcnt(0)
	v_max_u32_e32 v4, v2, v4
	v_cndmask_b32_e32 v2, v2, v4, vcc
	v_cmp_gt_u32_e32 vcc, 32, v3
	v_cndmask_b32_e64 v4, 0, 1, vcc
	v_lshlrev_b32_e32 v4, 5, v4
	v_add_lshl_u32 v4, v4, v1, 2
	ds_bpermute_b32 v4, v4, v2
	v_add_u32_e32 v3, 32, v3
	v_cmp_lt_u32_e32 vcc, v3, v5
	s_waitcnt lgkmcnt(0)
	v_max_u32_e32 v4, v2, v4
	v_cndmask_b32_e32 v2, v2, v4, vcc
	v_cmp_eq_u32_e32 vcc, 0, v1
	s_and_saveexec_b64 s[0:1], vcc
	s_cbranch_execz .LBB407_25
; %bb.24:
	v_lshrrev_b32_e32 v3, 4, v0
	v_and_b32_e32 v3, 4, v3
	ds_write_b32 v3, v2 offset:8
.LBB407_25:
	s_or_b64 exec, exec, s[0:1]
	v_cmp_gt_u32_e32 vcc, 2, v0
	s_waitcnt lgkmcnt(0)
	s_barrier
	s_and_saveexec_b64 s[0:1], vcc
	s_cbranch_execz .LBB407_27
; %bb.26:
	v_lshlrev_b32_e32 v2, 2, v1
	ds_read_b32 v3, v2 offset:8
	v_or_b32_e32 v2, 4, v2
	s_add_i32 s2, s2, 63
	v_and_b32_e32 v1, 1, v1
	s_lshr_b32 s2, s2, 6
	s_waitcnt lgkmcnt(0)
	ds_bpermute_b32 v2, v2, v3
	v_add_u32_e32 v1, 1, v1
	v_cmp_gt_u32_e32 vcc, s2, v1
	s_waitcnt lgkmcnt(0)
	v_max_u32_e32 v2, v3, v2
	v_cndmask_b32_e32 v2, v3, v2, vcc
.LBB407_27:
	s_or_b64 exec, exec, s[0:1]
.LBB407_28:
	v_cmp_eq_u32_e32 vcc, 0, v0
	s_and_saveexec_b64 s[0:1], vcc
	s_cbranch_execnz .LBB407_30
; %bb.29:
	s_endpgm
.LBB407_30:
	s_mul_i32 s0, s22, s21
	s_mul_hi_u32 s1, s22, s20
	s_add_i32 s0, s1, s0
	s_mul_i32 s1, s23, s20
	s_add_i32 s1, s0, s1
	s_mul_i32 s0, s22, s20
	s_lshl_b64 s[0:1], s[0:1], 2
	s_add_u32 s2, s18, s0
	s_addc_u32 s3, s19, s1
	s_cmp_eq_u64 s[16:17], 0
	s_cselect_b64 vcc, -1, 0
	s_lshl_b64 s[0:1], s[6:7], 2
	s_waitcnt lgkmcnt(0)
	v_mov_b32_e32 v0, s26
	s_add_u32 s0, s2, s0
	v_cndmask_b32_e32 v0, v2, v0, vcc
	s_addc_u32 s1, s3, s1
	v_mov_b32_e32 v1, 0
	global_store_dword v1, v0, s[0:1]
	s_endpgm
	.section	.rodata,"a",@progbits
	.p2align	6, 0x0
	.amdhsa_kernel _ZN7rocprim17ROCPRIM_400000_NS6detail17trampoline_kernelINS0_14default_configENS1_22reduce_config_selectorIjEEZNS1_11reduce_implILb1ES3_PjPiiN6thrust23THRUST_200600_302600_NS7maximumIjEEEE10hipError_tPvRmT1_T2_T3_mT4_P12ihipStream_tbEUlT_E0_NS1_11comp_targetILNS1_3genE4ELNS1_11target_archE910ELNS1_3gpuE8ELNS1_3repE0EEENS1_30default_config_static_selectorELNS0_4arch9wavefront6targetE1EEEvSG_
		.amdhsa_group_segment_fixed_size 16
		.amdhsa_private_segment_fixed_size 0
		.amdhsa_kernarg_size 56
		.amdhsa_user_sgpr_count 6
		.amdhsa_user_sgpr_private_segment_buffer 1
		.amdhsa_user_sgpr_dispatch_ptr 0
		.amdhsa_user_sgpr_queue_ptr 0
		.amdhsa_user_sgpr_kernarg_segment_ptr 1
		.amdhsa_user_sgpr_dispatch_id 0
		.amdhsa_user_sgpr_flat_scratch_init 0
		.amdhsa_user_sgpr_kernarg_preload_length 0
		.amdhsa_user_sgpr_kernarg_preload_offset 0
		.amdhsa_user_sgpr_private_segment_size 0
		.amdhsa_uses_dynamic_stack 0
		.amdhsa_system_sgpr_private_segment_wavefront_offset 0
		.amdhsa_system_sgpr_workgroup_id_x 1
		.amdhsa_system_sgpr_workgroup_id_y 0
		.amdhsa_system_sgpr_workgroup_id_z 0
		.amdhsa_system_sgpr_workgroup_info 0
		.amdhsa_system_vgpr_workitem_id 0
		.amdhsa_next_free_vgpr 13
		.amdhsa_next_free_sgpr 28
		.amdhsa_accum_offset 16
		.amdhsa_reserve_vcc 1
		.amdhsa_reserve_flat_scratch 0
		.amdhsa_float_round_mode_32 0
		.amdhsa_float_round_mode_16_64 0
		.amdhsa_float_denorm_mode_32 3
		.amdhsa_float_denorm_mode_16_64 3
		.amdhsa_dx10_clamp 1
		.amdhsa_ieee_mode 1
		.amdhsa_fp16_overflow 0
		.amdhsa_tg_split 0
		.amdhsa_exception_fp_ieee_invalid_op 0
		.amdhsa_exception_fp_denorm_src 0
		.amdhsa_exception_fp_ieee_div_zero 0
		.amdhsa_exception_fp_ieee_overflow 0
		.amdhsa_exception_fp_ieee_underflow 0
		.amdhsa_exception_fp_ieee_inexact 0
		.amdhsa_exception_int_div_zero 0
	.end_amdhsa_kernel
	.section	.text._ZN7rocprim17ROCPRIM_400000_NS6detail17trampoline_kernelINS0_14default_configENS1_22reduce_config_selectorIjEEZNS1_11reduce_implILb1ES3_PjPiiN6thrust23THRUST_200600_302600_NS7maximumIjEEEE10hipError_tPvRmT1_T2_T3_mT4_P12ihipStream_tbEUlT_E0_NS1_11comp_targetILNS1_3genE4ELNS1_11target_archE910ELNS1_3gpuE8ELNS1_3repE0EEENS1_30default_config_static_selectorELNS0_4arch9wavefront6targetE1EEEvSG_,"axG",@progbits,_ZN7rocprim17ROCPRIM_400000_NS6detail17trampoline_kernelINS0_14default_configENS1_22reduce_config_selectorIjEEZNS1_11reduce_implILb1ES3_PjPiiN6thrust23THRUST_200600_302600_NS7maximumIjEEEE10hipError_tPvRmT1_T2_T3_mT4_P12ihipStream_tbEUlT_E0_NS1_11comp_targetILNS1_3genE4ELNS1_11target_archE910ELNS1_3gpuE8ELNS1_3repE0EEENS1_30default_config_static_selectorELNS0_4arch9wavefront6targetE1EEEvSG_,comdat
.Lfunc_end407:
	.size	_ZN7rocprim17ROCPRIM_400000_NS6detail17trampoline_kernelINS0_14default_configENS1_22reduce_config_selectorIjEEZNS1_11reduce_implILb1ES3_PjPiiN6thrust23THRUST_200600_302600_NS7maximumIjEEEE10hipError_tPvRmT1_T2_T3_mT4_P12ihipStream_tbEUlT_E0_NS1_11comp_targetILNS1_3genE4ELNS1_11target_archE910ELNS1_3gpuE8ELNS1_3repE0EEENS1_30default_config_static_selectorELNS0_4arch9wavefront6targetE1EEEvSG_, .Lfunc_end407-_ZN7rocprim17ROCPRIM_400000_NS6detail17trampoline_kernelINS0_14default_configENS1_22reduce_config_selectorIjEEZNS1_11reduce_implILb1ES3_PjPiiN6thrust23THRUST_200600_302600_NS7maximumIjEEEE10hipError_tPvRmT1_T2_T3_mT4_P12ihipStream_tbEUlT_E0_NS1_11comp_targetILNS1_3genE4ELNS1_11target_archE910ELNS1_3gpuE8ELNS1_3repE0EEENS1_30default_config_static_selectorELNS0_4arch9wavefront6targetE1EEEvSG_
                                        ; -- End function
	.section	.AMDGPU.csdata,"",@progbits
; Kernel info:
; codeLenInByte = 1320
; NumSgprs: 32
; NumVgprs: 13
; NumAgprs: 0
; TotalNumVgprs: 13
; ScratchSize: 0
; MemoryBound: 0
; FloatMode: 240
; IeeeMode: 1
; LDSByteSize: 16 bytes/workgroup (compile time only)
; SGPRBlocks: 3
; VGPRBlocks: 1
; NumSGPRsForWavesPerEU: 32
; NumVGPRsForWavesPerEU: 13
; AccumOffset: 16
; Occupancy: 8
; WaveLimiterHint : 1
; COMPUTE_PGM_RSRC2:SCRATCH_EN: 0
; COMPUTE_PGM_RSRC2:USER_SGPR: 6
; COMPUTE_PGM_RSRC2:TRAP_HANDLER: 0
; COMPUTE_PGM_RSRC2:TGID_X_EN: 1
; COMPUTE_PGM_RSRC2:TGID_Y_EN: 0
; COMPUTE_PGM_RSRC2:TGID_Z_EN: 0
; COMPUTE_PGM_RSRC2:TIDIG_COMP_CNT: 0
; COMPUTE_PGM_RSRC3_GFX90A:ACCUM_OFFSET: 3
; COMPUTE_PGM_RSRC3_GFX90A:TG_SPLIT: 0
	.section	.text._ZN7rocprim17ROCPRIM_400000_NS6detail17trampoline_kernelINS0_14default_configENS1_22reduce_config_selectorIjEEZNS1_11reduce_implILb1ES3_PjPiiN6thrust23THRUST_200600_302600_NS7maximumIjEEEE10hipError_tPvRmT1_T2_T3_mT4_P12ihipStream_tbEUlT_E0_NS1_11comp_targetILNS1_3genE3ELNS1_11target_archE908ELNS1_3gpuE7ELNS1_3repE0EEENS1_30default_config_static_selectorELNS0_4arch9wavefront6targetE1EEEvSG_,"axG",@progbits,_ZN7rocprim17ROCPRIM_400000_NS6detail17trampoline_kernelINS0_14default_configENS1_22reduce_config_selectorIjEEZNS1_11reduce_implILb1ES3_PjPiiN6thrust23THRUST_200600_302600_NS7maximumIjEEEE10hipError_tPvRmT1_T2_T3_mT4_P12ihipStream_tbEUlT_E0_NS1_11comp_targetILNS1_3genE3ELNS1_11target_archE908ELNS1_3gpuE7ELNS1_3repE0EEENS1_30default_config_static_selectorELNS0_4arch9wavefront6targetE1EEEvSG_,comdat
	.protected	_ZN7rocprim17ROCPRIM_400000_NS6detail17trampoline_kernelINS0_14default_configENS1_22reduce_config_selectorIjEEZNS1_11reduce_implILb1ES3_PjPiiN6thrust23THRUST_200600_302600_NS7maximumIjEEEE10hipError_tPvRmT1_T2_T3_mT4_P12ihipStream_tbEUlT_E0_NS1_11comp_targetILNS1_3genE3ELNS1_11target_archE908ELNS1_3gpuE7ELNS1_3repE0EEENS1_30default_config_static_selectorELNS0_4arch9wavefront6targetE1EEEvSG_ ; -- Begin function _ZN7rocprim17ROCPRIM_400000_NS6detail17trampoline_kernelINS0_14default_configENS1_22reduce_config_selectorIjEEZNS1_11reduce_implILb1ES3_PjPiiN6thrust23THRUST_200600_302600_NS7maximumIjEEEE10hipError_tPvRmT1_T2_T3_mT4_P12ihipStream_tbEUlT_E0_NS1_11comp_targetILNS1_3genE3ELNS1_11target_archE908ELNS1_3gpuE7ELNS1_3repE0EEENS1_30default_config_static_selectorELNS0_4arch9wavefront6targetE1EEEvSG_
	.globl	_ZN7rocprim17ROCPRIM_400000_NS6detail17trampoline_kernelINS0_14default_configENS1_22reduce_config_selectorIjEEZNS1_11reduce_implILb1ES3_PjPiiN6thrust23THRUST_200600_302600_NS7maximumIjEEEE10hipError_tPvRmT1_T2_T3_mT4_P12ihipStream_tbEUlT_E0_NS1_11comp_targetILNS1_3genE3ELNS1_11target_archE908ELNS1_3gpuE7ELNS1_3repE0EEENS1_30default_config_static_selectorELNS0_4arch9wavefront6targetE1EEEvSG_
	.p2align	8
	.type	_ZN7rocprim17ROCPRIM_400000_NS6detail17trampoline_kernelINS0_14default_configENS1_22reduce_config_selectorIjEEZNS1_11reduce_implILb1ES3_PjPiiN6thrust23THRUST_200600_302600_NS7maximumIjEEEE10hipError_tPvRmT1_T2_T3_mT4_P12ihipStream_tbEUlT_E0_NS1_11comp_targetILNS1_3genE3ELNS1_11target_archE908ELNS1_3gpuE7ELNS1_3repE0EEENS1_30default_config_static_selectorELNS0_4arch9wavefront6targetE1EEEvSG_,@function
_ZN7rocprim17ROCPRIM_400000_NS6detail17trampoline_kernelINS0_14default_configENS1_22reduce_config_selectorIjEEZNS1_11reduce_implILb1ES3_PjPiiN6thrust23THRUST_200600_302600_NS7maximumIjEEEE10hipError_tPvRmT1_T2_T3_mT4_P12ihipStream_tbEUlT_E0_NS1_11comp_targetILNS1_3genE3ELNS1_11target_archE908ELNS1_3gpuE7ELNS1_3repE0EEENS1_30default_config_static_selectorELNS0_4arch9wavefront6targetE1EEEvSG_: ; @_ZN7rocprim17ROCPRIM_400000_NS6detail17trampoline_kernelINS0_14default_configENS1_22reduce_config_selectorIjEEZNS1_11reduce_implILb1ES3_PjPiiN6thrust23THRUST_200600_302600_NS7maximumIjEEEE10hipError_tPvRmT1_T2_T3_mT4_P12ihipStream_tbEUlT_E0_NS1_11comp_targetILNS1_3genE3ELNS1_11target_archE908ELNS1_3gpuE7ELNS1_3repE0EEENS1_30default_config_static_selectorELNS0_4arch9wavefront6targetE1EEEvSG_
; %bb.0:
	.section	.rodata,"a",@progbits
	.p2align	6, 0x0
	.amdhsa_kernel _ZN7rocprim17ROCPRIM_400000_NS6detail17trampoline_kernelINS0_14default_configENS1_22reduce_config_selectorIjEEZNS1_11reduce_implILb1ES3_PjPiiN6thrust23THRUST_200600_302600_NS7maximumIjEEEE10hipError_tPvRmT1_T2_T3_mT4_P12ihipStream_tbEUlT_E0_NS1_11comp_targetILNS1_3genE3ELNS1_11target_archE908ELNS1_3gpuE7ELNS1_3repE0EEENS1_30default_config_static_selectorELNS0_4arch9wavefront6targetE1EEEvSG_
		.amdhsa_group_segment_fixed_size 0
		.amdhsa_private_segment_fixed_size 0
		.amdhsa_kernarg_size 56
		.amdhsa_user_sgpr_count 6
		.amdhsa_user_sgpr_private_segment_buffer 1
		.amdhsa_user_sgpr_dispatch_ptr 0
		.amdhsa_user_sgpr_queue_ptr 0
		.amdhsa_user_sgpr_kernarg_segment_ptr 1
		.amdhsa_user_sgpr_dispatch_id 0
		.amdhsa_user_sgpr_flat_scratch_init 0
		.amdhsa_user_sgpr_kernarg_preload_length 0
		.amdhsa_user_sgpr_kernarg_preload_offset 0
		.amdhsa_user_sgpr_private_segment_size 0
		.amdhsa_uses_dynamic_stack 0
		.amdhsa_system_sgpr_private_segment_wavefront_offset 0
		.amdhsa_system_sgpr_workgroup_id_x 1
		.amdhsa_system_sgpr_workgroup_id_y 0
		.amdhsa_system_sgpr_workgroup_id_z 0
		.amdhsa_system_sgpr_workgroup_info 0
		.amdhsa_system_vgpr_workitem_id 0
		.amdhsa_next_free_vgpr 1
		.amdhsa_next_free_sgpr 0
		.amdhsa_accum_offset 4
		.amdhsa_reserve_vcc 0
		.amdhsa_reserve_flat_scratch 0
		.amdhsa_float_round_mode_32 0
		.amdhsa_float_round_mode_16_64 0
		.amdhsa_float_denorm_mode_32 3
		.amdhsa_float_denorm_mode_16_64 3
		.amdhsa_dx10_clamp 1
		.amdhsa_ieee_mode 1
		.amdhsa_fp16_overflow 0
		.amdhsa_tg_split 0
		.amdhsa_exception_fp_ieee_invalid_op 0
		.amdhsa_exception_fp_denorm_src 0
		.amdhsa_exception_fp_ieee_div_zero 0
		.amdhsa_exception_fp_ieee_overflow 0
		.amdhsa_exception_fp_ieee_underflow 0
		.amdhsa_exception_fp_ieee_inexact 0
		.amdhsa_exception_int_div_zero 0
	.end_amdhsa_kernel
	.section	.text._ZN7rocprim17ROCPRIM_400000_NS6detail17trampoline_kernelINS0_14default_configENS1_22reduce_config_selectorIjEEZNS1_11reduce_implILb1ES3_PjPiiN6thrust23THRUST_200600_302600_NS7maximumIjEEEE10hipError_tPvRmT1_T2_T3_mT4_P12ihipStream_tbEUlT_E0_NS1_11comp_targetILNS1_3genE3ELNS1_11target_archE908ELNS1_3gpuE7ELNS1_3repE0EEENS1_30default_config_static_selectorELNS0_4arch9wavefront6targetE1EEEvSG_,"axG",@progbits,_ZN7rocprim17ROCPRIM_400000_NS6detail17trampoline_kernelINS0_14default_configENS1_22reduce_config_selectorIjEEZNS1_11reduce_implILb1ES3_PjPiiN6thrust23THRUST_200600_302600_NS7maximumIjEEEE10hipError_tPvRmT1_T2_T3_mT4_P12ihipStream_tbEUlT_E0_NS1_11comp_targetILNS1_3genE3ELNS1_11target_archE908ELNS1_3gpuE7ELNS1_3repE0EEENS1_30default_config_static_selectorELNS0_4arch9wavefront6targetE1EEEvSG_,comdat
.Lfunc_end408:
	.size	_ZN7rocprim17ROCPRIM_400000_NS6detail17trampoline_kernelINS0_14default_configENS1_22reduce_config_selectorIjEEZNS1_11reduce_implILb1ES3_PjPiiN6thrust23THRUST_200600_302600_NS7maximumIjEEEE10hipError_tPvRmT1_T2_T3_mT4_P12ihipStream_tbEUlT_E0_NS1_11comp_targetILNS1_3genE3ELNS1_11target_archE908ELNS1_3gpuE7ELNS1_3repE0EEENS1_30default_config_static_selectorELNS0_4arch9wavefront6targetE1EEEvSG_, .Lfunc_end408-_ZN7rocprim17ROCPRIM_400000_NS6detail17trampoline_kernelINS0_14default_configENS1_22reduce_config_selectorIjEEZNS1_11reduce_implILb1ES3_PjPiiN6thrust23THRUST_200600_302600_NS7maximumIjEEEE10hipError_tPvRmT1_T2_T3_mT4_P12ihipStream_tbEUlT_E0_NS1_11comp_targetILNS1_3genE3ELNS1_11target_archE908ELNS1_3gpuE7ELNS1_3repE0EEENS1_30default_config_static_selectorELNS0_4arch9wavefront6targetE1EEEvSG_
                                        ; -- End function
	.section	.AMDGPU.csdata,"",@progbits
; Kernel info:
; codeLenInByte = 0
; NumSgprs: 4
; NumVgprs: 0
; NumAgprs: 0
; TotalNumVgprs: 0
; ScratchSize: 0
; MemoryBound: 0
; FloatMode: 240
; IeeeMode: 1
; LDSByteSize: 0 bytes/workgroup (compile time only)
; SGPRBlocks: 0
; VGPRBlocks: 0
; NumSGPRsForWavesPerEU: 4
; NumVGPRsForWavesPerEU: 1
; AccumOffset: 4
; Occupancy: 8
; WaveLimiterHint : 0
; COMPUTE_PGM_RSRC2:SCRATCH_EN: 0
; COMPUTE_PGM_RSRC2:USER_SGPR: 6
; COMPUTE_PGM_RSRC2:TRAP_HANDLER: 0
; COMPUTE_PGM_RSRC2:TGID_X_EN: 1
; COMPUTE_PGM_RSRC2:TGID_Y_EN: 0
; COMPUTE_PGM_RSRC2:TGID_Z_EN: 0
; COMPUTE_PGM_RSRC2:TIDIG_COMP_CNT: 0
; COMPUTE_PGM_RSRC3_GFX90A:ACCUM_OFFSET: 0
; COMPUTE_PGM_RSRC3_GFX90A:TG_SPLIT: 0
	.section	.text._ZN7rocprim17ROCPRIM_400000_NS6detail17trampoline_kernelINS0_14default_configENS1_22reduce_config_selectorIjEEZNS1_11reduce_implILb1ES3_PjPiiN6thrust23THRUST_200600_302600_NS7maximumIjEEEE10hipError_tPvRmT1_T2_T3_mT4_P12ihipStream_tbEUlT_E0_NS1_11comp_targetILNS1_3genE2ELNS1_11target_archE906ELNS1_3gpuE6ELNS1_3repE0EEENS1_30default_config_static_selectorELNS0_4arch9wavefront6targetE1EEEvSG_,"axG",@progbits,_ZN7rocprim17ROCPRIM_400000_NS6detail17trampoline_kernelINS0_14default_configENS1_22reduce_config_selectorIjEEZNS1_11reduce_implILb1ES3_PjPiiN6thrust23THRUST_200600_302600_NS7maximumIjEEEE10hipError_tPvRmT1_T2_T3_mT4_P12ihipStream_tbEUlT_E0_NS1_11comp_targetILNS1_3genE2ELNS1_11target_archE906ELNS1_3gpuE6ELNS1_3repE0EEENS1_30default_config_static_selectorELNS0_4arch9wavefront6targetE1EEEvSG_,comdat
	.protected	_ZN7rocprim17ROCPRIM_400000_NS6detail17trampoline_kernelINS0_14default_configENS1_22reduce_config_selectorIjEEZNS1_11reduce_implILb1ES3_PjPiiN6thrust23THRUST_200600_302600_NS7maximumIjEEEE10hipError_tPvRmT1_T2_T3_mT4_P12ihipStream_tbEUlT_E0_NS1_11comp_targetILNS1_3genE2ELNS1_11target_archE906ELNS1_3gpuE6ELNS1_3repE0EEENS1_30default_config_static_selectorELNS0_4arch9wavefront6targetE1EEEvSG_ ; -- Begin function _ZN7rocprim17ROCPRIM_400000_NS6detail17trampoline_kernelINS0_14default_configENS1_22reduce_config_selectorIjEEZNS1_11reduce_implILb1ES3_PjPiiN6thrust23THRUST_200600_302600_NS7maximumIjEEEE10hipError_tPvRmT1_T2_T3_mT4_P12ihipStream_tbEUlT_E0_NS1_11comp_targetILNS1_3genE2ELNS1_11target_archE906ELNS1_3gpuE6ELNS1_3repE0EEENS1_30default_config_static_selectorELNS0_4arch9wavefront6targetE1EEEvSG_
	.globl	_ZN7rocprim17ROCPRIM_400000_NS6detail17trampoline_kernelINS0_14default_configENS1_22reduce_config_selectorIjEEZNS1_11reduce_implILb1ES3_PjPiiN6thrust23THRUST_200600_302600_NS7maximumIjEEEE10hipError_tPvRmT1_T2_T3_mT4_P12ihipStream_tbEUlT_E0_NS1_11comp_targetILNS1_3genE2ELNS1_11target_archE906ELNS1_3gpuE6ELNS1_3repE0EEENS1_30default_config_static_selectorELNS0_4arch9wavefront6targetE1EEEvSG_
	.p2align	8
	.type	_ZN7rocprim17ROCPRIM_400000_NS6detail17trampoline_kernelINS0_14default_configENS1_22reduce_config_selectorIjEEZNS1_11reduce_implILb1ES3_PjPiiN6thrust23THRUST_200600_302600_NS7maximumIjEEEE10hipError_tPvRmT1_T2_T3_mT4_P12ihipStream_tbEUlT_E0_NS1_11comp_targetILNS1_3genE2ELNS1_11target_archE906ELNS1_3gpuE6ELNS1_3repE0EEENS1_30default_config_static_selectorELNS0_4arch9wavefront6targetE1EEEvSG_,@function
_ZN7rocprim17ROCPRIM_400000_NS6detail17trampoline_kernelINS0_14default_configENS1_22reduce_config_selectorIjEEZNS1_11reduce_implILb1ES3_PjPiiN6thrust23THRUST_200600_302600_NS7maximumIjEEEE10hipError_tPvRmT1_T2_T3_mT4_P12ihipStream_tbEUlT_E0_NS1_11comp_targetILNS1_3genE2ELNS1_11target_archE906ELNS1_3gpuE6ELNS1_3repE0EEENS1_30default_config_static_selectorELNS0_4arch9wavefront6targetE1EEEvSG_: ; @_ZN7rocprim17ROCPRIM_400000_NS6detail17trampoline_kernelINS0_14default_configENS1_22reduce_config_selectorIjEEZNS1_11reduce_implILb1ES3_PjPiiN6thrust23THRUST_200600_302600_NS7maximumIjEEEE10hipError_tPvRmT1_T2_T3_mT4_P12ihipStream_tbEUlT_E0_NS1_11comp_targetILNS1_3genE2ELNS1_11target_archE906ELNS1_3gpuE6ELNS1_3repE0EEENS1_30default_config_static_selectorELNS0_4arch9wavefront6targetE1EEEvSG_
; %bb.0:
	.section	.rodata,"a",@progbits
	.p2align	6, 0x0
	.amdhsa_kernel _ZN7rocprim17ROCPRIM_400000_NS6detail17trampoline_kernelINS0_14default_configENS1_22reduce_config_selectorIjEEZNS1_11reduce_implILb1ES3_PjPiiN6thrust23THRUST_200600_302600_NS7maximumIjEEEE10hipError_tPvRmT1_T2_T3_mT4_P12ihipStream_tbEUlT_E0_NS1_11comp_targetILNS1_3genE2ELNS1_11target_archE906ELNS1_3gpuE6ELNS1_3repE0EEENS1_30default_config_static_selectorELNS0_4arch9wavefront6targetE1EEEvSG_
		.amdhsa_group_segment_fixed_size 0
		.amdhsa_private_segment_fixed_size 0
		.amdhsa_kernarg_size 56
		.amdhsa_user_sgpr_count 6
		.amdhsa_user_sgpr_private_segment_buffer 1
		.amdhsa_user_sgpr_dispatch_ptr 0
		.amdhsa_user_sgpr_queue_ptr 0
		.amdhsa_user_sgpr_kernarg_segment_ptr 1
		.amdhsa_user_sgpr_dispatch_id 0
		.amdhsa_user_sgpr_flat_scratch_init 0
		.amdhsa_user_sgpr_kernarg_preload_length 0
		.amdhsa_user_sgpr_kernarg_preload_offset 0
		.amdhsa_user_sgpr_private_segment_size 0
		.amdhsa_uses_dynamic_stack 0
		.amdhsa_system_sgpr_private_segment_wavefront_offset 0
		.amdhsa_system_sgpr_workgroup_id_x 1
		.amdhsa_system_sgpr_workgroup_id_y 0
		.amdhsa_system_sgpr_workgroup_id_z 0
		.amdhsa_system_sgpr_workgroup_info 0
		.amdhsa_system_vgpr_workitem_id 0
		.amdhsa_next_free_vgpr 1
		.amdhsa_next_free_sgpr 0
		.amdhsa_accum_offset 4
		.amdhsa_reserve_vcc 0
		.amdhsa_reserve_flat_scratch 0
		.amdhsa_float_round_mode_32 0
		.amdhsa_float_round_mode_16_64 0
		.amdhsa_float_denorm_mode_32 3
		.amdhsa_float_denorm_mode_16_64 3
		.amdhsa_dx10_clamp 1
		.amdhsa_ieee_mode 1
		.amdhsa_fp16_overflow 0
		.amdhsa_tg_split 0
		.amdhsa_exception_fp_ieee_invalid_op 0
		.amdhsa_exception_fp_denorm_src 0
		.amdhsa_exception_fp_ieee_div_zero 0
		.amdhsa_exception_fp_ieee_overflow 0
		.amdhsa_exception_fp_ieee_underflow 0
		.amdhsa_exception_fp_ieee_inexact 0
		.amdhsa_exception_int_div_zero 0
	.end_amdhsa_kernel
	.section	.text._ZN7rocprim17ROCPRIM_400000_NS6detail17trampoline_kernelINS0_14default_configENS1_22reduce_config_selectorIjEEZNS1_11reduce_implILb1ES3_PjPiiN6thrust23THRUST_200600_302600_NS7maximumIjEEEE10hipError_tPvRmT1_T2_T3_mT4_P12ihipStream_tbEUlT_E0_NS1_11comp_targetILNS1_3genE2ELNS1_11target_archE906ELNS1_3gpuE6ELNS1_3repE0EEENS1_30default_config_static_selectorELNS0_4arch9wavefront6targetE1EEEvSG_,"axG",@progbits,_ZN7rocprim17ROCPRIM_400000_NS6detail17trampoline_kernelINS0_14default_configENS1_22reduce_config_selectorIjEEZNS1_11reduce_implILb1ES3_PjPiiN6thrust23THRUST_200600_302600_NS7maximumIjEEEE10hipError_tPvRmT1_T2_T3_mT4_P12ihipStream_tbEUlT_E0_NS1_11comp_targetILNS1_3genE2ELNS1_11target_archE906ELNS1_3gpuE6ELNS1_3repE0EEENS1_30default_config_static_selectorELNS0_4arch9wavefront6targetE1EEEvSG_,comdat
.Lfunc_end409:
	.size	_ZN7rocprim17ROCPRIM_400000_NS6detail17trampoline_kernelINS0_14default_configENS1_22reduce_config_selectorIjEEZNS1_11reduce_implILb1ES3_PjPiiN6thrust23THRUST_200600_302600_NS7maximumIjEEEE10hipError_tPvRmT1_T2_T3_mT4_P12ihipStream_tbEUlT_E0_NS1_11comp_targetILNS1_3genE2ELNS1_11target_archE906ELNS1_3gpuE6ELNS1_3repE0EEENS1_30default_config_static_selectorELNS0_4arch9wavefront6targetE1EEEvSG_, .Lfunc_end409-_ZN7rocprim17ROCPRIM_400000_NS6detail17trampoline_kernelINS0_14default_configENS1_22reduce_config_selectorIjEEZNS1_11reduce_implILb1ES3_PjPiiN6thrust23THRUST_200600_302600_NS7maximumIjEEEE10hipError_tPvRmT1_T2_T3_mT4_P12ihipStream_tbEUlT_E0_NS1_11comp_targetILNS1_3genE2ELNS1_11target_archE906ELNS1_3gpuE6ELNS1_3repE0EEENS1_30default_config_static_selectorELNS0_4arch9wavefront6targetE1EEEvSG_
                                        ; -- End function
	.section	.AMDGPU.csdata,"",@progbits
; Kernel info:
; codeLenInByte = 0
; NumSgprs: 4
; NumVgprs: 0
; NumAgprs: 0
; TotalNumVgprs: 0
; ScratchSize: 0
; MemoryBound: 0
; FloatMode: 240
; IeeeMode: 1
; LDSByteSize: 0 bytes/workgroup (compile time only)
; SGPRBlocks: 0
; VGPRBlocks: 0
; NumSGPRsForWavesPerEU: 4
; NumVGPRsForWavesPerEU: 1
; AccumOffset: 4
; Occupancy: 8
; WaveLimiterHint : 0
; COMPUTE_PGM_RSRC2:SCRATCH_EN: 0
; COMPUTE_PGM_RSRC2:USER_SGPR: 6
; COMPUTE_PGM_RSRC2:TRAP_HANDLER: 0
; COMPUTE_PGM_RSRC2:TGID_X_EN: 1
; COMPUTE_PGM_RSRC2:TGID_Y_EN: 0
; COMPUTE_PGM_RSRC2:TGID_Z_EN: 0
; COMPUTE_PGM_RSRC2:TIDIG_COMP_CNT: 0
; COMPUTE_PGM_RSRC3_GFX90A:ACCUM_OFFSET: 0
; COMPUTE_PGM_RSRC3_GFX90A:TG_SPLIT: 0
	.section	.text._ZN7rocprim17ROCPRIM_400000_NS6detail17trampoline_kernelINS0_14default_configENS1_22reduce_config_selectorIjEEZNS1_11reduce_implILb1ES3_PjPiiN6thrust23THRUST_200600_302600_NS7maximumIjEEEE10hipError_tPvRmT1_T2_T3_mT4_P12ihipStream_tbEUlT_E0_NS1_11comp_targetILNS1_3genE10ELNS1_11target_archE1201ELNS1_3gpuE5ELNS1_3repE0EEENS1_30default_config_static_selectorELNS0_4arch9wavefront6targetE1EEEvSG_,"axG",@progbits,_ZN7rocprim17ROCPRIM_400000_NS6detail17trampoline_kernelINS0_14default_configENS1_22reduce_config_selectorIjEEZNS1_11reduce_implILb1ES3_PjPiiN6thrust23THRUST_200600_302600_NS7maximumIjEEEE10hipError_tPvRmT1_T2_T3_mT4_P12ihipStream_tbEUlT_E0_NS1_11comp_targetILNS1_3genE10ELNS1_11target_archE1201ELNS1_3gpuE5ELNS1_3repE0EEENS1_30default_config_static_selectorELNS0_4arch9wavefront6targetE1EEEvSG_,comdat
	.protected	_ZN7rocprim17ROCPRIM_400000_NS6detail17trampoline_kernelINS0_14default_configENS1_22reduce_config_selectorIjEEZNS1_11reduce_implILb1ES3_PjPiiN6thrust23THRUST_200600_302600_NS7maximumIjEEEE10hipError_tPvRmT1_T2_T3_mT4_P12ihipStream_tbEUlT_E0_NS1_11comp_targetILNS1_3genE10ELNS1_11target_archE1201ELNS1_3gpuE5ELNS1_3repE0EEENS1_30default_config_static_selectorELNS0_4arch9wavefront6targetE1EEEvSG_ ; -- Begin function _ZN7rocprim17ROCPRIM_400000_NS6detail17trampoline_kernelINS0_14default_configENS1_22reduce_config_selectorIjEEZNS1_11reduce_implILb1ES3_PjPiiN6thrust23THRUST_200600_302600_NS7maximumIjEEEE10hipError_tPvRmT1_T2_T3_mT4_P12ihipStream_tbEUlT_E0_NS1_11comp_targetILNS1_3genE10ELNS1_11target_archE1201ELNS1_3gpuE5ELNS1_3repE0EEENS1_30default_config_static_selectorELNS0_4arch9wavefront6targetE1EEEvSG_
	.globl	_ZN7rocprim17ROCPRIM_400000_NS6detail17trampoline_kernelINS0_14default_configENS1_22reduce_config_selectorIjEEZNS1_11reduce_implILb1ES3_PjPiiN6thrust23THRUST_200600_302600_NS7maximumIjEEEE10hipError_tPvRmT1_T2_T3_mT4_P12ihipStream_tbEUlT_E0_NS1_11comp_targetILNS1_3genE10ELNS1_11target_archE1201ELNS1_3gpuE5ELNS1_3repE0EEENS1_30default_config_static_selectorELNS0_4arch9wavefront6targetE1EEEvSG_
	.p2align	8
	.type	_ZN7rocprim17ROCPRIM_400000_NS6detail17trampoline_kernelINS0_14default_configENS1_22reduce_config_selectorIjEEZNS1_11reduce_implILb1ES3_PjPiiN6thrust23THRUST_200600_302600_NS7maximumIjEEEE10hipError_tPvRmT1_T2_T3_mT4_P12ihipStream_tbEUlT_E0_NS1_11comp_targetILNS1_3genE10ELNS1_11target_archE1201ELNS1_3gpuE5ELNS1_3repE0EEENS1_30default_config_static_selectorELNS0_4arch9wavefront6targetE1EEEvSG_,@function
_ZN7rocprim17ROCPRIM_400000_NS6detail17trampoline_kernelINS0_14default_configENS1_22reduce_config_selectorIjEEZNS1_11reduce_implILb1ES3_PjPiiN6thrust23THRUST_200600_302600_NS7maximumIjEEEE10hipError_tPvRmT1_T2_T3_mT4_P12ihipStream_tbEUlT_E0_NS1_11comp_targetILNS1_3genE10ELNS1_11target_archE1201ELNS1_3gpuE5ELNS1_3repE0EEENS1_30default_config_static_selectorELNS0_4arch9wavefront6targetE1EEEvSG_: ; @_ZN7rocprim17ROCPRIM_400000_NS6detail17trampoline_kernelINS0_14default_configENS1_22reduce_config_selectorIjEEZNS1_11reduce_implILb1ES3_PjPiiN6thrust23THRUST_200600_302600_NS7maximumIjEEEE10hipError_tPvRmT1_T2_T3_mT4_P12ihipStream_tbEUlT_E0_NS1_11comp_targetILNS1_3genE10ELNS1_11target_archE1201ELNS1_3gpuE5ELNS1_3repE0EEENS1_30default_config_static_selectorELNS0_4arch9wavefront6targetE1EEEvSG_
; %bb.0:
	.section	.rodata,"a",@progbits
	.p2align	6, 0x0
	.amdhsa_kernel _ZN7rocprim17ROCPRIM_400000_NS6detail17trampoline_kernelINS0_14default_configENS1_22reduce_config_selectorIjEEZNS1_11reduce_implILb1ES3_PjPiiN6thrust23THRUST_200600_302600_NS7maximumIjEEEE10hipError_tPvRmT1_T2_T3_mT4_P12ihipStream_tbEUlT_E0_NS1_11comp_targetILNS1_3genE10ELNS1_11target_archE1201ELNS1_3gpuE5ELNS1_3repE0EEENS1_30default_config_static_selectorELNS0_4arch9wavefront6targetE1EEEvSG_
		.amdhsa_group_segment_fixed_size 0
		.amdhsa_private_segment_fixed_size 0
		.amdhsa_kernarg_size 56
		.amdhsa_user_sgpr_count 6
		.amdhsa_user_sgpr_private_segment_buffer 1
		.amdhsa_user_sgpr_dispatch_ptr 0
		.amdhsa_user_sgpr_queue_ptr 0
		.amdhsa_user_sgpr_kernarg_segment_ptr 1
		.amdhsa_user_sgpr_dispatch_id 0
		.amdhsa_user_sgpr_flat_scratch_init 0
		.amdhsa_user_sgpr_kernarg_preload_length 0
		.amdhsa_user_sgpr_kernarg_preload_offset 0
		.amdhsa_user_sgpr_private_segment_size 0
		.amdhsa_uses_dynamic_stack 0
		.amdhsa_system_sgpr_private_segment_wavefront_offset 0
		.amdhsa_system_sgpr_workgroup_id_x 1
		.amdhsa_system_sgpr_workgroup_id_y 0
		.amdhsa_system_sgpr_workgroup_id_z 0
		.amdhsa_system_sgpr_workgroup_info 0
		.amdhsa_system_vgpr_workitem_id 0
		.amdhsa_next_free_vgpr 1
		.amdhsa_next_free_sgpr 0
		.amdhsa_accum_offset 4
		.amdhsa_reserve_vcc 0
		.amdhsa_reserve_flat_scratch 0
		.amdhsa_float_round_mode_32 0
		.amdhsa_float_round_mode_16_64 0
		.amdhsa_float_denorm_mode_32 3
		.amdhsa_float_denorm_mode_16_64 3
		.amdhsa_dx10_clamp 1
		.amdhsa_ieee_mode 1
		.amdhsa_fp16_overflow 0
		.amdhsa_tg_split 0
		.amdhsa_exception_fp_ieee_invalid_op 0
		.amdhsa_exception_fp_denorm_src 0
		.amdhsa_exception_fp_ieee_div_zero 0
		.amdhsa_exception_fp_ieee_overflow 0
		.amdhsa_exception_fp_ieee_underflow 0
		.amdhsa_exception_fp_ieee_inexact 0
		.amdhsa_exception_int_div_zero 0
	.end_amdhsa_kernel
	.section	.text._ZN7rocprim17ROCPRIM_400000_NS6detail17trampoline_kernelINS0_14default_configENS1_22reduce_config_selectorIjEEZNS1_11reduce_implILb1ES3_PjPiiN6thrust23THRUST_200600_302600_NS7maximumIjEEEE10hipError_tPvRmT1_T2_T3_mT4_P12ihipStream_tbEUlT_E0_NS1_11comp_targetILNS1_3genE10ELNS1_11target_archE1201ELNS1_3gpuE5ELNS1_3repE0EEENS1_30default_config_static_selectorELNS0_4arch9wavefront6targetE1EEEvSG_,"axG",@progbits,_ZN7rocprim17ROCPRIM_400000_NS6detail17trampoline_kernelINS0_14default_configENS1_22reduce_config_selectorIjEEZNS1_11reduce_implILb1ES3_PjPiiN6thrust23THRUST_200600_302600_NS7maximumIjEEEE10hipError_tPvRmT1_T2_T3_mT4_P12ihipStream_tbEUlT_E0_NS1_11comp_targetILNS1_3genE10ELNS1_11target_archE1201ELNS1_3gpuE5ELNS1_3repE0EEENS1_30default_config_static_selectorELNS0_4arch9wavefront6targetE1EEEvSG_,comdat
.Lfunc_end410:
	.size	_ZN7rocprim17ROCPRIM_400000_NS6detail17trampoline_kernelINS0_14default_configENS1_22reduce_config_selectorIjEEZNS1_11reduce_implILb1ES3_PjPiiN6thrust23THRUST_200600_302600_NS7maximumIjEEEE10hipError_tPvRmT1_T2_T3_mT4_P12ihipStream_tbEUlT_E0_NS1_11comp_targetILNS1_3genE10ELNS1_11target_archE1201ELNS1_3gpuE5ELNS1_3repE0EEENS1_30default_config_static_selectorELNS0_4arch9wavefront6targetE1EEEvSG_, .Lfunc_end410-_ZN7rocprim17ROCPRIM_400000_NS6detail17trampoline_kernelINS0_14default_configENS1_22reduce_config_selectorIjEEZNS1_11reduce_implILb1ES3_PjPiiN6thrust23THRUST_200600_302600_NS7maximumIjEEEE10hipError_tPvRmT1_T2_T3_mT4_P12ihipStream_tbEUlT_E0_NS1_11comp_targetILNS1_3genE10ELNS1_11target_archE1201ELNS1_3gpuE5ELNS1_3repE0EEENS1_30default_config_static_selectorELNS0_4arch9wavefront6targetE1EEEvSG_
                                        ; -- End function
	.section	.AMDGPU.csdata,"",@progbits
; Kernel info:
; codeLenInByte = 0
; NumSgprs: 4
; NumVgprs: 0
; NumAgprs: 0
; TotalNumVgprs: 0
; ScratchSize: 0
; MemoryBound: 0
; FloatMode: 240
; IeeeMode: 1
; LDSByteSize: 0 bytes/workgroup (compile time only)
; SGPRBlocks: 0
; VGPRBlocks: 0
; NumSGPRsForWavesPerEU: 4
; NumVGPRsForWavesPerEU: 1
; AccumOffset: 4
; Occupancy: 8
; WaveLimiterHint : 0
; COMPUTE_PGM_RSRC2:SCRATCH_EN: 0
; COMPUTE_PGM_RSRC2:USER_SGPR: 6
; COMPUTE_PGM_RSRC2:TRAP_HANDLER: 0
; COMPUTE_PGM_RSRC2:TGID_X_EN: 1
; COMPUTE_PGM_RSRC2:TGID_Y_EN: 0
; COMPUTE_PGM_RSRC2:TGID_Z_EN: 0
; COMPUTE_PGM_RSRC2:TIDIG_COMP_CNT: 0
; COMPUTE_PGM_RSRC3_GFX90A:ACCUM_OFFSET: 0
; COMPUTE_PGM_RSRC3_GFX90A:TG_SPLIT: 0
	.section	.text._ZN7rocprim17ROCPRIM_400000_NS6detail17trampoline_kernelINS0_14default_configENS1_22reduce_config_selectorIjEEZNS1_11reduce_implILb1ES3_PjPiiN6thrust23THRUST_200600_302600_NS7maximumIjEEEE10hipError_tPvRmT1_T2_T3_mT4_P12ihipStream_tbEUlT_E0_NS1_11comp_targetILNS1_3genE10ELNS1_11target_archE1200ELNS1_3gpuE4ELNS1_3repE0EEENS1_30default_config_static_selectorELNS0_4arch9wavefront6targetE1EEEvSG_,"axG",@progbits,_ZN7rocprim17ROCPRIM_400000_NS6detail17trampoline_kernelINS0_14default_configENS1_22reduce_config_selectorIjEEZNS1_11reduce_implILb1ES3_PjPiiN6thrust23THRUST_200600_302600_NS7maximumIjEEEE10hipError_tPvRmT1_T2_T3_mT4_P12ihipStream_tbEUlT_E0_NS1_11comp_targetILNS1_3genE10ELNS1_11target_archE1200ELNS1_3gpuE4ELNS1_3repE0EEENS1_30default_config_static_selectorELNS0_4arch9wavefront6targetE1EEEvSG_,comdat
	.protected	_ZN7rocprim17ROCPRIM_400000_NS6detail17trampoline_kernelINS0_14default_configENS1_22reduce_config_selectorIjEEZNS1_11reduce_implILb1ES3_PjPiiN6thrust23THRUST_200600_302600_NS7maximumIjEEEE10hipError_tPvRmT1_T2_T3_mT4_P12ihipStream_tbEUlT_E0_NS1_11comp_targetILNS1_3genE10ELNS1_11target_archE1200ELNS1_3gpuE4ELNS1_3repE0EEENS1_30default_config_static_selectorELNS0_4arch9wavefront6targetE1EEEvSG_ ; -- Begin function _ZN7rocprim17ROCPRIM_400000_NS6detail17trampoline_kernelINS0_14default_configENS1_22reduce_config_selectorIjEEZNS1_11reduce_implILb1ES3_PjPiiN6thrust23THRUST_200600_302600_NS7maximumIjEEEE10hipError_tPvRmT1_T2_T3_mT4_P12ihipStream_tbEUlT_E0_NS1_11comp_targetILNS1_3genE10ELNS1_11target_archE1200ELNS1_3gpuE4ELNS1_3repE0EEENS1_30default_config_static_selectorELNS0_4arch9wavefront6targetE1EEEvSG_
	.globl	_ZN7rocprim17ROCPRIM_400000_NS6detail17trampoline_kernelINS0_14default_configENS1_22reduce_config_selectorIjEEZNS1_11reduce_implILb1ES3_PjPiiN6thrust23THRUST_200600_302600_NS7maximumIjEEEE10hipError_tPvRmT1_T2_T3_mT4_P12ihipStream_tbEUlT_E0_NS1_11comp_targetILNS1_3genE10ELNS1_11target_archE1200ELNS1_3gpuE4ELNS1_3repE0EEENS1_30default_config_static_selectorELNS0_4arch9wavefront6targetE1EEEvSG_
	.p2align	8
	.type	_ZN7rocprim17ROCPRIM_400000_NS6detail17trampoline_kernelINS0_14default_configENS1_22reduce_config_selectorIjEEZNS1_11reduce_implILb1ES3_PjPiiN6thrust23THRUST_200600_302600_NS7maximumIjEEEE10hipError_tPvRmT1_T2_T3_mT4_P12ihipStream_tbEUlT_E0_NS1_11comp_targetILNS1_3genE10ELNS1_11target_archE1200ELNS1_3gpuE4ELNS1_3repE0EEENS1_30default_config_static_selectorELNS0_4arch9wavefront6targetE1EEEvSG_,@function
_ZN7rocprim17ROCPRIM_400000_NS6detail17trampoline_kernelINS0_14default_configENS1_22reduce_config_selectorIjEEZNS1_11reduce_implILb1ES3_PjPiiN6thrust23THRUST_200600_302600_NS7maximumIjEEEE10hipError_tPvRmT1_T2_T3_mT4_P12ihipStream_tbEUlT_E0_NS1_11comp_targetILNS1_3genE10ELNS1_11target_archE1200ELNS1_3gpuE4ELNS1_3repE0EEENS1_30default_config_static_selectorELNS0_4arch9wavefront6targetE1EEEvSG_: ; @_ZN7rocprim17ROCPRIM_400000_NS6detail17trampoline_kernelINS0_14default_configENS1_22reduce_config_selectorIjEEZNS1_11reduce_implILb1ES3_PjPiiN6thrust23THRUST_200600_302600_NS7maximumIjEEEE10hipError_tPvRmT1_T2_T3_mT4_P12ihipStream_tbEUlT_E0_NS1_11comp_targetILNS1_3genE10ELNS1_11target_archE1200ELNS1_3gpuE4ELNS1_3repE0EEENS1_30default_config_static_selectorELNS0_4arch9wavefront6targetE1EEEvSG_
; %bb.0:
	.section	.rodata,"a",@progbits
	.p2align	6, 0x0
	.amdhsa_kernel _ZN7rocprim17ROCPRIM_400000_NS6detail17trampoline_kernelINS0_14default_configENS1_22reduce_config_selectorIjEEZNS1_11reduce_implILb1ES3_PjPiiN6thrust23THRUST_200600_302600_NS7maximumIjEEEE10hipError_tPvRmT1_T2_T3_mT4_P12ihipStream_tbEUlT_E0_NS1_11comp_targetILNS1_3genE10ELNS1_11target_archE1200ELNS1_3gpuE4ELNS1_3repE0EEENS1_30default_config_static_selectorELNS0_4arch9wavefront6targetE1EEEvSG_
		.amdhsa_group_segment_fixed_size 0
		.amdhsa_private_segment_fixed_size 0
		.amdhsa_kernarg_size 56
		.amdhsa_user_sgpr_count 6
		.amdhsa_user_sgpr_private_segment_buffer 1
		.amdhsa_user_sgpr_dispatch_ptr 0
		.amdhsa_user_sgpr_queue_ptr 0
		.amdhsa_user_sgpr_kernarg_segment_ptr 1
		.amdhsa_user_sgpr_dispatch_id 0
		.amdhsa_user_sgpr_flat_scratch_init 0
		.amdhsa_user_sgpr_kernarg_preload_length 0
		.amdhsa_user_sgpr_kernarg_preload_offset 0
		.amdhsa_user_sgpr_private_segment_size 0
		.amdhsa_uses_dynamic_stack 0
		.amdhsa_system_sgpr_private_segment_wavefront_offset 0
		.amdhsa_system_sgpr_workgroup_id_x 1
		.amdhsa_system_sgpr_workgroup_id_y 0
		.amdhsa_system_sgpr_workgroup_id_z 0
		.amdhsa_system_sgpr_workgroup_info 0
		.amdhsa_system_vgpr_workitem_id 0
		.amdhsa_next_free_vgpr 1
		.amdhsa_next_free_sgpr 0
		.amdhsa_accum_offset 4
		.amdhsa_reserve_vcc 0
		.amdhsa_reserve_flat_scratch 0
		.amdhsa_float_round_mode_32 0
		.amdhsa_float_round_mode_16_64 0
		.amdhsa_float_denorm_mode_32 3
		.amdhsa_float_denorm_mode_16_64 3
		.amdhsa_dx10_clamp 1
		.amdhsa_ieee_mode 1
		.amdhsa_fp16_overflow 0
		.amdhsa_tg_split 0
		.amdhsa_exception_fp_ieee_invalid_op 0
		.amdhsa_exception_fp_denorm_src 0
		.amdhsa_exception_fp_ieee_div_zero 0
		.amdhsa_exception_fp_ieee_overflow 0
		.amdhsa_exception_fp_ieee_underflow 0
		.amdhsa_exception_fp_ieee_inexact 0
		.amdhsa_exception_int_div_zero 0
	.end_amdhsa_kernel
	.section	.text._ZN7rocprim17ROCPRIM_400000_NS6detail17trampoline_kernelINS0_14default_configENS1_22reduce_config_selectorIjEEZNS1_11reduce_implILb1ES3_PjPiiN6thrust23THRUST_200600_302600_NS7maximumIjEEEE10hipError_tPvRmT1_T2_T3_mT4_P12ihipStream_tbEUlT_E0_NS1_11comp_targetILNS1_3genE10ELNS1_11target_archE1200ELNS1_3gpuE4ELNS1_3repE0EEENS1_30default_config_static_selectorELNS0_4arch9wavefront6targetE1EEEvSG_,"axG",@progbits,_ZN7rocprim17ROCPRIM_400000_NS6detail17trampoline_kernelINS0_14default_configENS1_22reduce_config_selectorIjEEZNS1_11reduce_implILb1ES3_PjPiiN6thrust23THRUST_200600_302600_NS7maximumIjEEEE10hipError_tPvRmT1_T2_T3_mT4_P12ihipStream_tbEUlT_E0_NS1_11comp_targetILNS1_3genE10ELNS1_11target_archE1200ELNS1_3gpuE4ELNS1_3repE0EEENS1_30default_config_static_selectorELNS0_4arch9wavefront6targetE1EEEvSG_,comdat
.Lfunc_end411:
	.size	_ZN7rocprim17ROCPRIM_400000_NS6detail17trampoline_kernelINS0_14default_configENS1_22reduce_config_selectorIjEEZNS1_11reduce_implILb1ES3_PjPiiN6thrust23THRUST_200600_302600_NS7maximumIjEEEE10hipError_tPvRmT1_T2_T3_mT4_P12ihipStream_tbEUlT_E0_NS1_11comp_targetILNS1_3genE10ELNS1_11target_archE1200ELNS1_3gpuE4ELNS1_3repE0EEENS1_30default_config_static_selectorELNS0_4arch9wavefront6targetE1EEEvSG_, .Lfunc_end411-_ZN7rocprim17ROCPRIM_400000_NS6detail17trampoline_kernelINS0_14default_configENS1_22reduce_config_selectorIjEEZNS1_11reduce_implILb1ES3_PjPiiN6thrust23THRUST_200600_302600_NS7maximumIjEEEE10hipError_tPvRmT1_T2_T3_mT4_P12ihipStream_tbEUlT_E0_NS1_11comp_targetILNS1_3genE10ELNS1_11target_archE1200ELNS1_3gpuE4ELNS1_3repE0EEENS1_30default_config_static_selectorELNS0_4arch9wavefront6targetE1EEEvSG_
                                        ; -- End function
	.section	.AMDGPU.csdata,"",@progbits
; Kernel info:
; codeLenInByte = 0
; NumSgprs: 4
; NumVgprs: 0
; NumAgprs: 0
; TotalNumVgprs: 0
; ScratchSize: 0
; MemoryBound: 0
; FloatMode: 240
; IeeeMode: 1
; LDSByteSize: 0 bytes/workgroup (compile time only)
; SGPRBlocks: 0
; VGPRBlocks: 0
; NumSGPRsForWavesPerEU: 4
; NumVGPRsForWavesPerEU: 1
; AccumOffset: 4
; Occupancy: 8
; WaveLimiterHint : 0
; COMPUTE_PGM_RSRC2:SCRATCH_EN: 0
; COMPUTE_PGM_RSRC2:USER_SGPR: 6
; COMPUTE_PGM_RSRC2:TRAP_HANDLER: 0
; COMPUTE_PGM_RSRC2:TGID_X_EN: 1
; COMPUTE_PGM_RSRC2:TGID_Y_EN: 0
; COMPUTE_PGM_RSRC2:TGID_Z_EN: 0
; COMPUTE_PGM_RSRC2:TIDIG_COMP_CNT: 0
; COMPUTE_PGM_RSRC3_GFX90A:ACCUM_OFFSET: 0
; COMPUTE_PGM_RSRC3_GFX90A:TG_SPLIT: 0
	.section	.text._ZN7rocprim17ROCPRIM_400000_NS6detail17trampoline_kernelINS0_14default_configENS1_22reduce_config_selectorIjEEZNS1_11reduce_implILb1ES3_PjPiiN6thrust23THRUST_200600_302600_NS7maximumIjEEEE10hipError_tPvRmT1_T2_T3_mT4_P12ihipStream_tbEUlT_E0_NS1_11comp_targetILNS1_3genE9ELNS1_11target_archE1100ELNS1_3gpuE3ELNS1_3repE0EEENS1_30default_config_static_selectorELNS0_4arch9wavefront6targetE1EEEvSG_,"axG",@progbits,_ZN7rocprim17ROCPRIM_400000_NS6detail17trampoline_kernelINS0_14default_configENS1_22reduce_config_selectorIjEEZNS1_11reduce_implILb1ES3_PjPiiN6thrust23THRUST_200600_302600_NS7maximumIjEEEE10hipError_tPvRmT1_T2_T3_mT4_P12ihipStream_tbEUlT_E0_NS1_11comp_targetILNS1_3genE9ELNS1_11target_archE1100ELNS1_3gpuE3ELNS1_3repE0EEENS1_30default_config_static_selectorELNS0_4arch9wavefront6targetE1EEEvSG_,comdat
	.protected	_ZN7rocprim17ROCPRIM_400000_NS6detail17trampoline_kernelINS0_14default_configENS1_22reduce_config_selectorIjEEZNS1_11reduce_implILb1ES3_PjPiiN6thrust23THRUST_200600_302600_NS7maximumIjEEEE10hipError_tPvRmT1_T2_T3_mT4_P12ihipStream_tbEUlT_E0_NS1_11comp_targetILNS1_3genE9ELNS1_11target_archE1100ELNS1_3gpuE3ELNS1_3repE0EEENS1_30default_config_static_selectorELNS0_4arch9wavefront6targetE1EEEvSG_ ; -- Begin function _ZN7rocprim17ROCPRIM_400000_NS6detail17trampoline_kernelINS0_14default_configENS1_22reduce_config_selectorIjEEZNS1_11reduce_implILb1ES3_PjPiiN6thrust23THRUST_200600_302600_NS7maximumIjEEEE10hipError_tPvRmT1_T2_T3_mT4_P12ihipStream_tbEUlT_E0_NS1_11comp_targetILNS1_3genE9ELNS1_11target_archE1100ELNS1_3gpuE3ELNS1_3repE0EEENS1_30default_config_static_selectorELNS0_4arch9wavefront6targetE1EEEvSG_
	.globl	_ZN7rocprim17ROCPRIM_400000_NS6detail17trampoline_kernelINS0_14default_configENS1_22reduce_config_selectorIjEEZNS1_11reduce_implILb1ES3_PjPiiN6thrust23THRUST_200600_302600_NS7maximumIjEEEE10hipError_tPvRmT1_T2_T3_mT4_P12ihipStream_tbEUlT_E0_NS1_11comp_targetILNS1_3genE9ELNS1_11target_archE1100ELNS1_3gpuE3ELNS1_3repE0EEENS1_30default_config_static_selectorELNS0_4arch9wavefront6targetE1EEEvSG_
	.p2align	8
	.type	_ZN7rocprim17ROCPRIM_400000_NS6detail17trampoline_kernelINS0_14default_configENS1_22reduce_config_selectorIjEEZNS1_11reduce_implILb1ES3_PjPiiN6thrust23THRUST_200600_302600_NS7maximumIjEEEE10hipError_tPvRmT1_T2_T3_mT4_P12ihipStream_tbEUlT_E0_NS1_11comp_targetILNS1_3genE9ELNS1_11target_archE1100ELNS1_3gpuE3ELNS1_3repE0EEENS1_30default_config_static_selectorELNS0_4arch9wavefront6targetE1EEEvSG_,@function
_ZN7rocprim17ROCPRIM_400000_NS6detail17trampoline_kernelINS0_14default_configENS1_22reduce_config_selectorIjEEZNS1_11reduce_implILb1ES3_PjPiiN6thrust23THRUST_200600_302600_NS7maximumIjEEEE10hipError_tPvRmT1_T2_T3_mT4_P12ihipStream_tbEUlT_E0_NS1_11comp_targetILNS1_3genE9ELNS1_11target_archE1100ELNS1_3gpuE3ELNS1_3repE0EEENS1_30default_config_static_selectorELNS0_4arch9wavefront6targetE1EEEvSG_: ; @_ZN7rocprim17ROCPRIM_400000_NS6detail17trampoline_kernelINS0_14default_configENS1_22reduce_config_selectorIjEEZNS1_11reduce_implILb1ES3_PjPiiN6thrust23THRUST_200600_302600_NS7maximumIjEEEE10hipError_tPvRmT1_T2_T3_mT4_P12ihipStream_tbEUlT_E0_NS1_11comp_targetILNS1_3genE9ELNS1_11target_archE1100ELNS1_3gpuE3ELNS1_3repE0EEENS1_30default_config_static_selectorELNS0_4arch9wavefront6targetE1EEEvSG_
; %bb.0:
	.section	.rodata,"a",@progbits
	.p2align	6, 0x0
	.amdhsa_kernel _ZN7rocprim17ROCPRIM_400000_NS6detail17trampoline_kernelINS0_14default_configENS1_22reduce_config_selectorIjEEZNS1_11reduce_implILb1ES3_PjPiiN6thrust23THRUST_200600_302600_NS7maximumIjEEEE10hipError_tPvRmT1_T2_T3_mT4_P12ihipStream_tbEUlT_E0_NS1_11comp_targetILNS1_3genE9ELNS1_11target_archE1100ELNS1_3gpuE3ELNS1_3repE0EEENS1_30default_config_static_selectorELNS0_4arch9wavefront6targetE1EEEvSG_
		.amdhsa_group_segment_fixed_size 0
		.amdhsa_private_segment_fixed_size 0
		.amdhsa_kernarg_size 56
		.amdhsa_user_sgpr_count 6
		.amdhsa_user_sgpr_private_segment_buffer 1
		.amdhsa_user_sgpr_dispatch_ptr 0
		.amdhsa_user_sgpr_queue_ptr 0
		.amdhsa_user_sgpr_kernarg_segment_ptr 1
		.amdhsa_user_sgpr_dispatch_id 0
		.amdhsa_user_sgpr_flat_scratch_init 0
		.amdhsa_user_sgpr_kernarg_preload_length 0
		.amdhsa_user_sgpr_kernarg_preload_offset 0
		.amdhsa_user_sgpr_private_segment_size 0
		.amdhsa_uses_dynamic_stack 0
		.amdhsa_system_sgpr_private_segment_wavefront_offset 0
		.amdhsa_system_sgpr_workgroup_id_x 1
		.amdhsa_system_sgpr_workgroup_id_y 0
		.amdhsa_system_sgpr_workgroup_id_z 0
		.amdhsa_system_sgpr_workgroup_info 0
		.amdhsa_system_vgpr_workitem_id 0
		.amdhsa_next_free_vgpr 1
		.amdhsa_next_free_sgpr 0
		.amdhsa_accum_offset 4
		.amdhsa_reserve_vcc 0
		.amdhsa_reserve_flat_scratch 0
		.amdhsa_float_round_mode_32 0
		.amdhsa_float_round_mode_16_64 0
		.amdhsa_float_denorm_mode_32 3
		.amdhsa_float_denorm_mode_16_64 3
		.amdhsa_dx10_clamp 1
		.amdhsa_ieee_mode 1
		.amdhsa_fp16_overflow 0
		.amdhsa_tg_split 0
		.amdhsa_exception_fp_ieee_invalid_op 0
		.amdhsa_exception_fp_denorm_src 0
		.amdhsa_exception_fp_ieee_div_zero 0
		.amdhsa_exception_fp_ieee_overflow 0
		.amdhsa_exception_fp_ieee_underflow 0
		.amdhsa_exception_fp_ieee_inexact 0
		.amdhsa_exception_int_div_zero 0
	.end_amdhsa_kernel
	.section	.text._ZN7rocprim17ROCPRIM_400000_NS6detail17trampoline_kernelINS0_14default_configENS1_22reduce_config_selectorIjEEZNS1_11reduce_implILb1ES3_PjPiiN6thrust23THRUST_200600_302600_NS7maximumIjEEEE10hipError_tPvRmT1_T2_T3_mT4_P12ihipStream_tbEUlT_E0_NS1_11comp_targetILNS1_3genE9ELNS1_11target_archE1100ELNS1_3gpuE3ELNS1_3repE0EEENS1_30default_config_static_selectorELNS0_4arch9wavefront6targetE1EEEvSG_,"axG",@progbits,_ZN7rocprim17ROCPRIM_400000_NS6detail17trampoline_kernelINS0_14default_configENS1_22reduce_config_selectorIjEEZNS1_11reduce_implILb1ES3_PjPiiN6thrust23THRUST_200600_302600_NS7maximumIjEEEE10hipError_tPvRmT1_T2_T3_mT4_P12ihipStream_tbEUlT_E0_NS1_11comp_targetILNS1_3genE9ELNS1_11target_archE1100ELNS1_3gpuE3ELNS1_3repE0EEENS1_30default_config_static_selectorELNS0_4arch9wavefront6targetE1EEEvSG_,comdat
.Lfunc_end412:
	.size	_ZN7rocprim17ROCPRIM_400000_NS6detail17trampoline_kernelINS0_14default_configENS1_22reduce_config_selectorIjEEZNS1_11reduce_implILb1ES3_PjPiiN6thrust23THRUST_200600_302600_NS7maximumIjEEEE10hipError_tPvRmT1_T2_T3_mT4_P12ihipStream_tbEUlT_E0_NS1_11comp_targetILNS1_3genE9ELNS1_11target_archE1100ELNS1_3gpuE3ELNS1_3repE0EEENS1_30default_config_static_selectorELNS0_4arch9wavefront6targetE1EEEvSG_, .Lfunc_end412-_ZN7rocprim17ROCPRIM_400000_NS6detail17trampoline_kernelINS0_14default_configENS1_22reduce_config_selectorIjEEZNS1_11reduce_implILb1ES3_PjPiiN6thrust23THRUST_200600_302600_NS7maximumIjEEEE10hipError_tPvRmT1_T2_T3_mT4_P12ihipStream_tbEUlT_E0_NS1_11comp_targetILNS1_3genE9ELNS1_11target_archE1100ELNS1_3gpuE3ELNS1_3repE0EEENS1_30default_config_static_selectorELNS0_4arch9wavefront6targetE1EEEvSG_
                                        ; -- End function
	.section	.AMDGPU.csdata,"",@progbits
; Kernel info:
; codeLenInByte = 0
; NumSgprs: 4
; NumVgprs: 0
; NumAgprs: 0
; TotalNumVgprs: 0
; ScratchSize: 0
; MemoryBound: 0
; FloatMode: 240
; IeeeMode: 1
; LDSByteSize: 0 bytes/workgroup (compile time only)
; SGPRBlocks: 0
; VGPRBlocks: 0
; NumSGPRsForWavesPerEU: 4
; NumVGPRsForWavesPerEU: 1
; AccumOffset: 4
; Occupancy: 8
; WaveLimiterHint : 0
; COMPUTE_PGM_RSRC2:SCRATCH_EN: 0
; COMPUTE_PGM_RSRC2:USER_SGPR: 6
; COMPUTE_PGM_RSRC2:TRAP_HANDLER: 0
; COMPUTE_PGM_RSRC2:TGID_X_EN: 1
; COMPUTE_PGM_RSRC2:TGID_Y_EN: 0
; COMPUTE_PGM_RSRC2:TGID_Z_EN: 0
; COMPUTE_PGM_RSRC2:TIDIG_COMP_CNT: 0
; COMPUTE_PGM_RSRC3_GFX90A:ACCUM_OFFSET: 0
; COMPUTE_PGM_RSRC3_GFX90A:TG_SPLIT: 0
	.section	.text._ZN7rocprim17ROCPRIM_400000_NS6detail17trampoline_kernelINS0_14default_configENS1_22reduce_config_selectorIjEEZNS1_11reduce_implILb1ES3_PjPiiN6thrust23THRUST_200600_302600_NS7maximumIjEEEE10hipError_tPvRmT1_T2_T3_mT4_P12ihipStream_tbEUlT_E0_NS1_11comp_targetILNS1_3genE8ELNS1_11target_archE1030ELNS1_3gpuE2ELNS1_3repE0EEENS1_30default_config_static_selectorELNS0_4arch9wavefront6targetE1EEEvSG_,"axG",@progbits,_ZN7rocprim17ROCPRIM_400000_NS6detail17trampoline_kernelINS0_14default_configENS1_22reduce_config_selectorIjEEZNS1_11reduce_implILb1ES3_PjPiiN6thrust23THRUST_200600_302600_NS7maximumIjEEEE10hipError_tPvRmT1_T2_T3_mT4_P12ihipStream_tbEUlT_E0_NS1_11comp_targetILNS1_3genE8ELNS1_11target_archE1030ELNS1_3gpuE2ELNS1_3repE0EEENS1_30default_config_static_selectorELNS0_4arch9wavefront6targetE1EEEvSG_,comdat
	.protected	_ZN7rocprim17ROCPRIM_400000_NS6detail17trampoline_kernelINS0_14default_configENS1_22reduce_config_selectorIjEEZNS1_11reduce_implILb1ES3_PjPiiN6thrust23THRUST_200600_302600_NS7maximumIjEEEE10hipError_tPvRmT1_T2_T3_mT4_P12ihipStream_tbEUlT_E0_NS1_11comp_targetILNS1_3genE8ELNS1_11target_archE1030ELNS1_3gpuE2ELNS1_3repE0EEENS1_30default_config_static_selectorELNS0_4arch9wavefront6targetE1EEEvSG_ ; -- Begin function _ZN7rocprim17ROCPRIM_400000_NS6detail17trampoline_kernelINS0_14default_configENS1_22reduce_config_selectorIjEEZNS1_11reduce_implILb1ES3_PjPiiN6thrust23THRUST_200600_302600_NS7maximumIjEEEE10hipError_tPvRmT1_T2_T3_mT4_P12ihipStream_tbEUlT_E0_NS1_11comp_targetILNS1_3genE8ELNS1_11target_archE1030ELNS1_3gpuE2ELNS1_3repE0EEENS1_30default_config_static_selectorELNS0_4arch9wavefront6targetE1EEEvSG_
	.globl	_ZN7rocprim17ROCPRIM_400000_NS6detail17trampoline_kernelINS0_14default_configENS1_22reduce_config_selectorIjEEZNS1_11reduce_implILb1ES3_PjPiiN6thrust23THRUST_200600_302600_NS7maximumIjEEEE10hipError_tPvRmT1_T2_T3_mT4_P12ihipStream_tbEUlT_E0_NS1_11comp_targetILNS1_3genE8ELNS1_11target_archE1030ELNS1_3gpuE2ELNS1_3repE0EEENS1_30default_config_static_selectorELNS0_4arch9wavefront6targetE1EEEvSG_
	.p2align	8
	.type	_ZN7rocprim17ROCPRIM_400000_NS6detail17trampoline_kernelINS0_14default_configENS1_22reduce_config_selectorIjEEZNS1_11reduce_implILb1ES3_PjPiiN6thrust23THRUST_200600_302600_NS7maximumIjEEEE10hipError_tPvRmT1_T2_T3_mT4_P12ihipStream_tbEUlT_E0_NS1_11comp_targetILNS1_3genE8ELNS1_11target_archE1030ELNS1_3gpuE2ELNS1_3repE0EEENS1_30default_config_static_selectorELNS0_4arch9wavefront6targetE1EEEvSG_,@function
_ZN7rocprim17ROCPRIM_400000_NS6detail17trampoline_kernelINS0_14default_configENS1_22reduce_config_selectorIjEEZNS1_11reduce_implILb1ES3_PjPiiN6thrust23THRUST_200600_302600_NS7maximumIjEEEE10hipError_tPvRmT1_T2_T3_mT4_P12ihipStream_tbEUlT_E0_NS1_11comp_targetILNS1_3genE8ELNS1_11target_archE1030ELNS1_3gpuE2ELNS1_3repE0EEENS1_30default_config_static_selectorELNS0_4arch9wavefront6targetE1EEEvSG_: ; @_ZN7rocprim17ROCPRIM_400000_NS6detail17trampoline_kernelINS0_14default_configENS1_22reduce_config_selectorIjEEZNS1_11reduce_implILb1ES3_PjPiiN6thrust23THRUST_200600_302600_NS7maximumIjEEEE10hipError_tPvRmT1_T2_T3_mT4_P12ihipStream_tbEUlT_E0_NS1_11comp_targetILNS1_3genE8ELNS1_11target_archE1030ELNS1_3gpuE2ELNS1_3repE0EEENS1_30default_config_static_selectorELNS0_4arch9wavefront6targetE1EEEvSG_
; %bb.0:
	.section	.rodata,"a",@progbits
	.p2align	6, 0x0
	.amdhsa_kernel _ZN7rocprim17ROCPRIM_400000_NS6detail17trampoline_kernelINS0_14default_configENS1_22reduce_config_selectorIjEEZNS1_11reduce_implILb1ES3_PjPiiN6thrust23THRUST_200600_302600_NS7maximumIjEEEE10hipError_tPvRmT1_T2_T3_mT4_P12ihipStream_tbEUlT_E0_NS1_11comp_targetILNS1_3genE8ELNS1_11target_archE1030ELNS1_3gpuE2ELNS1_3repE0EEENS1_30default_config_static_selectorELNS0_4arch9wavefront6targetE1EEEvSG_
		.amdhsa_group_segment_fixed_size 0
		.amdhsa_private_segment_fixed_size 0
		.amdhsa_kernarg_size 56
		.amdhsa_user_sgpr_count 6
		.amdhsa_user_sgpr_private_segment_buffer 1
		.amdhsa_user_sgpr_dispatch_ptr 0
		.amdhsa_user_sgpr_queue_ptr 0
		.amdhsa_user_sgpr_kernarg_segment_ptr 1
		.amdhsa_user_sgpr_dispatch_id 0
		.amdhsa_user_sgpr_flat_scratch_init 0
		.amdhsa_user_sgpr_kernarg_preload_length 0
		.amdhsa_user_sgpr_kernarg_preload_offset 0
		.amdhsa_user_sgpr_private_segment_size 0
		.amdhsa_uses_dynamic_stack 0
		.amdhsa_system_sgpr_private_segment_wavefront_offset 0
		.amdhsa_system_sgpr_workgroup_id_x 1
		.amdhsa_system_sgpr_workgroup_id_y 0
		.amdhsa_system_sgpr_workgroup_id_z 0
		.amdhsa_system_sgpr_workgroup_info 0
		.amdhsa_system_vgpr_workitem_id 0
		.amdhsa_next_free_vgpr 1
		.amdhsa_next_free_sgpr 0
		.amdhsa_accum_offset 4
		.amdhsa_reserve_vcc 0
		.amdhsa_reserve_flat_scratch 0
		.amdhsa_float_round_mode_32 0
		.amdhsa_float_round_mode_16_64 0
		.amdhsa_float_denorm_mode_32 3
		.amdhsa_float_denorm_mode_16_64 3
		.amdhsa_dx10_clamp 1
		.amdhsa_ieee_mode 1
		.amdhsa_fp16_overflow 0
		.amdhsa_tg_split 0
		.amdhsa_exception_fp_ieee_invalid_op 0
		.amdhsa_exception_fp_denorm_src 0
		.amdhsa_exception_fp_ieee_div_zero 0
		.amdhsa_exception_fp_ieee_overflow 0
		.amdhsa_exception_fp_ieee_underflow 0
		.amdhsa_exception_fp_ieee_inexact 0
		.amdhsa_exception_int_div_zero 0
	.end_amdhsa_kernel
	.section	.text._ZN7rocprim17ROCPRIM_400000_NS6detail17trampoline_kernelINS0_14default_configENS1_22reduce_config_selectorIjEEZNS1_11reduce_implILb1ES3_PjPiiN6thrust23THRUST_200600_302600_NS7maximumIjEEEE10hipError_tPvRmT1_T2_T3_mT4_P12ihipStream_tbEUlT_E0_NS1_11comp_targetILNS1_3genE8ELNS1_11target_archE1030ELNS1_3gpuE2ELNS1_3repE0EEENS1_30default_config_static_selectorELNS0_4arch9wavefront6targetE1EEEvSG_,"axG",@progbits,_ZN7rocprim17ROCPRIM_400000_NS6detail17trampoline_kernelINS0_14default_configENS1_22reduce_config_selectorIjEEZNS1_11reduce_implILb1ES3_PjPiiN6thrust23THRUST_200600_302600_NS7maximumIjEEEE10hipError_tPvRmT1_T2_T3_mT4_P12ihipStream_tbEUlT_E0_NS1_11comp_targetILNS1_3genE8ELNS1_11target_archE1030ELNS1_3gpuE2ELNS1_3repE0EEENS1_30default_config_static_selectorELNS0_4arch9wavefront6targetE1EEEvSG_,comdat
.Lfunc_end413:
	.size	_ZN7rocprim17ROCPRIM_400000_NS6detail17trampoline_kernelINS0_14default_configENS1_22reduce_config_selectorIjEEZNS1_11reduce_implILb1ES3_PjPiiN6thrust23THRUST_200600_302600_NS7maximumIjEEEE10hipError_tPvRmT1_T2_T3_mT4_P12ihipStream_tbEUlT_E0_NS1_11comp_targetILNS1_3genE8ELNS1_11target_archE1030ELNS1_3gpuE2ELNS1_3repE0EEENS1_30default_config_static_selectorELNS0_4arch9wavefront6targetE1EEEvSG_, .Lfunc_end413-_ZN7rocprim17ROCPRIM_400000_NS6detail17trampoline_kernelINS0_14default_configENS1_22reduce_config_selectorIjEEZNS1_11reduce_implILb1ES3_PjPiiN6thrust23THRUST_200600_302600_NS7maximumIjEEEE10hipError_tPvRmT1_T2_T3_mT4_P12ihipStream_tbEUlT_E0_NS1_11comp_targetILNS1_3genE8ELNS1_11target_archE1030ELNS1_3gpuE2ELNS1_3repE0EEENS1_30default_config_static_selectorELNS0_4arch9wavefront6targetE1EEEvSG_
                                        ; -- End function
	.section	.AMDGPU.csdata,"",@progbits
; Kernel info:
; codeLenInByte = 0
; NumSgprs: 4
; NumVgprs: 0
; NumAgprs: 0
; TotalNumVgprs: 0
; ScratchSize: 0
; MemoryBound: 0
; FloatMode: 240
; IeeeMode: 1
; LDSByteSize: 0 bytes/workgroup (compile time only)
; SGPRBlocks: 0
; VGPRBlocks: 0
; NumSGPRsForWavesPerEU: 4
; NumVGPRsForWavesPerEU: 1
; AccumOffset: 4
; Occupancy: 8
; WaveLimiterHint : 0
; COMPUTE_PGM_RSRC2:SCRATCH_EN: 0
; COMPUTE_PGM_RSRC2:USER_SGPR: 6
; COMPUTE_PGM_RSRC2:TRAP_HANDLER: 0
; COMPUTE_PGM_RSRC2:TGID_X_EN: 1
; COMPUTE_PGM_RSRC2:TGID_Y_EN: 0
; COMPUTE_PGM_RSRC2:TGID_Z_EN: 0
; COMPUTE_PGM_RSRC2:TIDIG_COMP_CNT: 0
; COMPUTE_PGM_RSRC3_GFX90A:ACCUM_OFFSET: 0
; COMPUTE_PGM_RSRC3_GFX90A:TG_SPLIT: 0
	.section	.text._ZN7rocprim17ROCPRIM_400000_NS6detail17trampoline_kernelINS0_14default_configENS1_22reduce_config_selectorIjEEZNS1_11reduce_implILb1ES3_PjPiiN6thrust23THRUST_200600_302600_NS7maximumIjEEEE10hipError_tPvRmT1_T2_T3_mT4_P12ihipStream_tbEUlT_E1_NS1_11comp_targetILNS1_3genE0ELNS1_11target_archE4294967295ELNS1_3gpuE0ELNS1_3repE0EEENS1_30default_config_static_selectorELNS0_4arch9wavefront6targetE1EEEvSG_,"axG",@progbits,_ZN7rocprim17ROCPRIM_400000_NS6detail17trampoline_kernelINS0_14default_configENS1_22reduce_config_selectorIjEEZNS1_11reduce_implILb1ES3_PjPiiN6thrust23THRUST_200600_302600_NS7maximumIjEEEE10hipError_tPvRmT1_T2_T3_mT4_P12ihipStream_tbEUlT_E1_NS1_11comp_targetILNS1_3genE0ELNS1_11target_archE4294967295ELNS1_3gpuE0ELNS1_3repE0EEENS1_30default_config_static_selectorELNS0_4arch9wavefront6targetE1EEEvSG_,comdat
	.protected	_ZN7rocprim17ROCPRIM_400000_NS6detail17trampoline_kernelINS0_14default_configENS1_22reduce_config_selectorIjEEZNS1_11reduce_implILb1ES3_PjPiiN6thrust23THRUST_200600_302600_NS7maximumIjEEEE10hipError_tPvRmT1_T2_T3_mT4_P12ihipStream_tbEUlT_E1_NS1_11comp_targetILNS1_3genE0ELNS1_11target_archE4294967295ELNS1_3gpuE0ELNS1_3repE0EEENS1_30default_config_static_selectorELNS0_4arch9wavefront6targetE1EEEvSG_ ; -- Begin function _ZN7rocprim17ROCPRIM_400000_NS6detail17trampoline_kernelINS0_14default_configENS1_22reduce_config_selectorIjEEZNS1_11reduce_implILb1ES3_PjPiiN6thrust23THRUST_200600_302600_NS7maximumIjEEEE10hipError_tPvRmT1_T2_T3_mT4_P12ihipStream_tbEUlT_E1_NS1_11comp_targetILNS1_3genE0ELNS1_11target_archE4294967295ELNS1_3gpuE0ELNS1_3repE0EEENS1_30default_config_static_selectorELNS0_4arch9wavefront6targetE1EEEvSG_
	.globl	_ZN7rocprim17ROCPRIM_400000_NS6detail17trampoline_kernelINS0_14default_configENS1_22reduce_config_selectorIjEEZNS1_11reduce_implILb1ES3_PjPiiN6thrust23THRUST_200600_302600_NS7maximumIjEEEE10hipError_tPvRmT1_T2_T3_mT4_P12ihipStream_tbEUlT_E1_NS1_11comp_targetILNS1_3genE0ELNS1_11target_archE4294967295ELNS1_3gpuE0ELNS1_3repE0EEENS1_30default_config_static_selectorELNS0_4arch9wavefront6targetE1EEEvSG_
	.p2align	8
	.type	_ZN7rocprim17ROCPRIM_400000_NS6detail17trampoline_kernelINS0_14default_configENS1_22reduce_config_selectorIjEEZNS1_11reduce_implILb1ES3_PjPiiN6thrust23THRUST_200600_302600_NS7maximumIjEEEE10hipError_tPvRmT1_T2_T3_mT4_P12ihipStream_tbEUlT_E1_NS1_11comp_targetILNS1_3genE0ELNS1_11target_archE4294967295ELNS1_3gpuE0ELNS1_3repE0EEENS1_30default_config_static_selectorELNS0_4arch9wavefront6targetE1EEEvSG_,@function
_ZN7rocprim17ROCPRIM_400000_NS6detail17trampoline_kernelINS0_14default_configENS1_22reduce_config_selectorIjEEZNS1_11reduce_implILb1ES3_PjPiiN6thrust23THRUST_200600_302600_NS7maximumIjEEEE10hipError_tPvRmT1_T2_T3_mT4_P12ihipStream_tbEUlT_E1_NS1_11comp_targetILNS1_3genE0ELNS1_11target_archE4294967295ELNS1_3gpuE0ELNS1_3repE0EEENS1_30default_config_static_selectorELNS0_4arch9wavefront6targetE1EEEvSG_: ; @_ZN7rocprim17ROCPRIM_400000_NS6detail17trampoline_kernelINS0_14default_configENS1_22reduce_config_selectorIjEEZNS1_11reduce_implILb1ES3_PjPiiN6thrust23THRUST_200600_302600_NS7maximumIjEEEE10hipError_tPvRmT1_T2_T3_mT4_P12ihipStream_tbEUlT_E1_NS1_11comp_targetILNS1_3genE0ELNS1_11target_archE4294967295ELNS1_3gpuE0ELNS1_3repE0EEENS1_30default_config_static_selectorELNS0_4arch9wavefront6targetE1EEEvSG_
; %bb.0:
	.section	.rodata,"a",@progbits
	.p2align	6, 0x0
	.amdhsa_kernel _ZN7rocprim17ROCPRIM_400000_NS6detail17trampoline_kernelINS0_14default_configENS1_22reduce_config_selectorIjEEZNS1_11reduce_implILb1ES3_PjPiiN6thrust23THRUST_200600_302600_NS7maximumIjEEEE10hipError_tPvRmT1_T2_T3_mT4_P12ihipStream_tbEUlT_E1_NS1_11comp_targetILNS1_3genE0ELNS1_11target_archE4294967295ELNS1_3gpuE0ELNS1_3repE0EEENS1_30default_config_static_selectorELNS0_4arch9wavefront6targetE1EEEvSG_
		.amdhsa_group_segment_fixed_size 0
		.amdhsa_private_segment_fixed_size 0
		.amdhsa_kernarg_size 40
		.amdhsa_user_sgpr_count 6
		.amdhsa_user_sgpr_private_segment_buffer 1
		.amdhsa_user_sgpr_dispatch_ptr 0
		.amdhsa_user_sgpr_queue_ptr 0
		.amdhsa_user_sgpr_kernarg_segment_ptr 1
		.amdhsa_user_sgpr_dispatch_id 0
		.amdhsa_user_sgpr_flat_scratch_init 0
		.amdhsa_user_sgpr_kernarg_preload_length 0
		.amdhsa_user_sgpr_kernarg_preload_offset 0
		.amdhsa_user_sgpr_private_segment_size 0
		.amdhsa_uses_dynamic_stack 0
		.amdhsa_system_sgpr_private_segment_wavefront_offset 0
		.amdhsa_system_sgpr_workgroup_id_x 1
		.amdhsa_system_sgpr_workgroup_id_y 0
		.amdhsa_system_sgpr_workgroup_id_z 0
		.amdhsa_system_sgpr_workgroup_info 0
		.amdhsa_system_vgpr_workitem_id 0
		.amdhsa_next_free_vgpr 1
		.amdhsa_next_free_sgpr 0
		.amdhsa_accum_offset 4
		.amdhsa_reserve_vcc 0
		.amdhsa_reserve_flat_scratch 0
		.amdhsa_float_round_mode_32 0
		.amdhsa_float_round_mode_16_64 0
		.amdhsa_float_denorm_mode_32 3
		.amdhsa_float_denorm_mode_16_64 3
		.amdhsa_dx10_clamp 1
		.amdhsa_ieee_mode 1
		.amdhsa_fp16_overflow 0
		.amdhsa_tg_split 0
		.amdhsa_exception_fp_ieee_invalid_op 0
		.amdhsa_exception_fp_denorm_src 0
		.amdhsa_exception_fp_ieee_div_zero 0
		.amdhsa_exception_fp_ieee_overflow 0
		.amdhsa_exception_fp_ieee_underflow 0
		.amdhsa_exception_fp_ieee_inexact 0
		.amdhsa_exception_int_div_zero 0
	.end_amdhsa_kernel
	.section	.text._ZN7rocprim17ROCPRIM_400000_NS6detail17trampoline_kernelINS0_14default_configENS1_22reduce_config_selectorIjEEZNS1_11reduce_implILb1ES3_PjPiiN6thrust23THRUST_200600_302600_NS7maximumIjEEEE10hipError_tPvRmT1_T2_T3_mT4_P12ihipStream_tbEUlT_E1_NS1_11comp_targetILNS1_3genE0ELNS1_11target_archE4294967295ELNS1_3gpuE0ELNS1_3repE0EEENS1_30default_config_static_selectorELNS0_4arch9wavefront6targetE1EEEvSG_,"axG",@progbits,_ZN7rocprim17ROCPRIM_400000_NS6detail17trampoline_kernelINS0_14default_configENS1_22reduce_config_selectorIjEEZNS1_11reduce_implILb1ES3_PjPiiN6thrust23THRUST_200600_302600_NS7maximumIjEEEE10hipError_tPvRmT1_T2_T3_mT4_P12ihipStream_tbEUlT_E1_NS1_11comp_targetILNS1_3genE0ELNS1_11target_archE4294967295ELNS1_3gpuE0ELNS1_3repE0EEENS1_30default_config_static_selectorELNS0_4arch9wavefront6targetE1EEEvSG_,comdat
.Lfunc_end414:
	.size	_ZN7rocprim17ROCPRIM_400000_NS6detail17trampoline_kernelINS0_14default_configENS1_22reduce_config_selectorIjEEZNS1_11reduce_implILb1ES3_PjPiiN6thrust23THRUST_200600_302600_NS7maximumIjEEEE10hipError_tPvRmT1_T2_T3_mT4_P12ihipStream_tbEUlT_E1_NS1_11comp_targetILNS1_3genE0ELNS1_11target_archE4294967295ELNS1_3gpuE0ELNS1_3repE0EEENS1_30default_config_static_selectorELNS0_4arch9wavefront6targetE1EEEvSG_, .Lfunc_end414-_ZN7rocprim17ROCPRIM_400000_NS6detail17trampoline_kernelINS0_14default_configENS1_22reduce_config_selectorIjEEZNS1_11reduce_implILb1ES3_PjPiiN6thrust23THRUST_200600_302600_NS7maximumIjEEEE10hipError_tPvRmT1_T2_T3_mT4_P12ihipStream_tbEUlT_E1_NS1_11comp_targetILNS1_3genE0ELNS1_11target_archE4294967295ELNS1_3gpuE0ELNS1_3repE0EEENS1_30default_config_static_selectorELNS0_4arch9wavefront6targetE1EEEvSG_
                                        ; -- End function
	.section	.AMDGPU.csdata,"",@progbits
; Kernel info:
; codeLenInByte = 0
; NumSgprs: 4
; NumVgprs: 0
; NumAgprs: 0
; TotalNumVgprs: 0
; ScratchSize: 0
; MemoryBound: 0
; FloatMode: 240
; IeeeMode: 1
; LDSByteSize: 0 bytes/workgroup (compile time only)
; SGPRBlocks: 0
; VGPRBlocks: 0
; NumSGPRsForWavesPerEU: 4
; NumVGPRsForWavesPerEU: 1
; AccumOffset: 4
; Occupancy: 8
; WaveLimiterHint : 0
; COMPUTE_PGM_RSRC2:SCRATCH_EN: 0
; COMPUTE_PGM_RSRC2:USER_SGPR: 6
; COMPUTE_PGM_RSRC2:TRAP_HANDLER: 0
; COMPUTE_PGM_RSRC2:TGID_X_EN: 1
; COMPUTE_PGM_RSRC2:TGID_Y_EN: 0
; COMPUTE_PGM_RSRC2:TGID_Z_EN: 0
; COMPUTE_PGM_RSRC2:TIDIG_COMP_CNT: 0
; COMPUTE_PGM_RSRC3_GFX90A:ACCUM_OFFSET: 0
; COMPUTE_PGM_RSRC3_GFX90A:TG_SPLIT: 0
	.section	.text._ZN7rocprim17ROCPRIM_400000_NS6detail17trampoline_kernelINS0_14default_configENS1_22reduce_config_selectorIjEEZNS1_11reduce_implILb1ES3_PjPiiN6thrust23THRUST_200600_302600_NS7maximumIjEEEE10hipError_tPvRmT1_T2_T3_mT4_P12ihipStream_tbEUlT_E1_NS1_11comp_targetILNS1_3genE5ELNS1_11target_archE942ELNS1_3gpuE9ELNS1_3repE0EEENS1_30default_config_static_selectorELNS0_4arch9wavefront6targetE1EEEvSG_,"axG",@progbits,_ZN7rocprim17ROCPRIM_400000_NS6detail17trampoline_kernelINS0_14default_configENS1_22reduce_config_selectorIjEEZNS1_11reduce_implILb1ES3_PjPiiN6thrust23THRUST_200600_302600_NS7maximumIjEEEE10hipError_tPvRmT1_T2_T3_mT4_P12ihipStream_tbEUlT_E1_NS1_11comp_targetILNS1_3genE5ELNS1_11target_archE942ELNS1_3gpuE9ELNS1_3repE0EEENS1_30default_config_static_selectorELNS0_4arch9wavefront6targetE1EEEvSG_,comdat
	.protected	_ZN7rocprim17ROCPRIM_400000_NS6detail17trampoline_kernelINS0_14default_configENS1_22reduce_config_selectorIjEEZNS1_11reduce_implILb1ES3_PjPiiN6thrust23THRUST_200600_302600_NS7maximumIjEEEE10hipError_tPvRmT1_T2_T3_mT4_P12ihipStream_tbEUlT_E1_NS1_11comp_targetILNS1_3genE5ELNS1_11target_archE942ELNS1_3gpuE9ELNS1_3repE0EEENS1_30default_config_static_selectorELNS0_4arch9wavefront6targetE1EEEvSG_ ; -- Begin function _ZN7rocprim17ROCPRIM_400000_NS6detail17trampoline_kernelINS0_14default_configENS1_22reduce_config_selectorIjEEZNS1_11reduce_implILb1ES3_PjPiiN6thrust23THRUST_200600_302600_NS7maximumIjEEEE10hipError_tPvRmT1_T2_T3_mT4_P12ihipStream_tbEUlT_E1_NS1_11comp_targetILNS1_3genE5ELNS1_11target_archE942ELNS1_3gpuE9ELNS1_3repE0EEENS1_30default_config_static_selectorELNS0_4arch9wavefront6targetE1EEEvSG_
	.globl	_ZN7rocprim17ROCPRIM_400000_NS6detail17trampoline_kernelINS0_14default_configENS1_22reduce_config_selectorIjEEZNS1_11reduce_implILb1ES3_PjPiiN6thrust23THRUST_200600_302600_NS7maximumIjEEEE10hipError_tPvRmT1_T2_T3_mT4_P12ihipStream_tbEUlT_E1_NS1_11comp_targetILNS1_3genE5ELNS1_11target_archE942ELNS1_3gpuE9ELNS1_3repE0EEENS1_30default_config_static_selectorELNS0_4arch9wavefront6targetE1EEEvSG_
	.p2align	8
	.type	_ZN7rocprim17ROCPRIM_400000_NS6detail17trampoline_kernelINS0_14default_configENS1_22reduce_config_selectorIjEEZNS1_11reduce_implILb1ES3_PjPiiN6thrust23THRUST_200600_302600_NS7maximumIjEEEE10hipError_tPvRmT1_T2_T3_mT4_P12ihipStream_tbEUlT_E1_NS1_11comp_targetILNS1_3genE5ELNS1_11target_archE942ELNS1_3gpuE9ELNS1_3repE0EEENS1_30default_config_static_selectorELNS0_4arch9wavefront6targetE1EEEvSG_,@function
_ZN7rocprim17ROCPRIM_400000_NS6detail17trampoline_kernelINS0_14default_configENS1_22reduce_config_selectorIjEEZNS1_11reduce_implILb1ES3_PjPiiN6thrust23THRUST_200600_302600_NS7maximumIjEEEE10hipError_tPvRmT1_T2_T3_mT4_P12ihipStream_tbEUlT_E1_NS1_11comp_targetILNS1_3genE5ELNS1_11target_archE942ELNS1_3gpuE9ELNS1_3repE0EEENS1_30default_config_static_selectorELNS0_4arch9wavefront6targetE1EEEvSG_: ; @_ZN7rocprim17ROCPRIM_400000_NS6detail17trampoline_kernelINS0_14default_configENS1_22reduce_config_selectorIjEEZNS1_11reduce_implILb1ES3_PjPiiN6thrust23THRUST_200600_302600_NS7maximumIjEEEE10hipError_tPvRmT1_T2_T3_mT4_P12ihipStream_tbEUlT_E1_NS1_11comp_targetILNS1_3genE5ELNS1_11target_archE942ELNS1_3gpuE9ELNS1_3repE0EEENS1_30default_config_static_selectorELNS0_4arch9wavefront6targetE1EEEvSG_
; %bb.0:
	.section	.rodata,"a",@progbits
	.p2align	6, 0x0
	.amdhsa_kernel _ZN7rocprim17ROCPRIM_400000_NS6detail17trampoline_kernelINS0_14default_configENS1_22reduce_config_selectorIjEEZNS1_11reduce_implILb1ES3_PjPiiN6thrust23THRUST_200600_302600_NS7maximumIjEEEE10hipError_tPvRmT1_T2_T3_mT4_P12ihipStream_tbEUlT_E1_NS1_11comp_targetILNS1_3genE5ELNS1_11target_archE942ELNS1_3gpuE9ELNS1_3repE0EEENS1_30default_config_static_selectorELNS0_4arch9wavefront6targetE1EEEvSG_
		.amdhsa_group_segment_fixed_size 0
		.amdhsa_private_segment_fixed_size 0
		.amdhsa_kernarg_size 40
		.amdhsa_user_sgpr_count 6
		.amdhsa_user_sgpr_private_segment_buffer 1
		.amdhsa_user_sgpr_dispatch_ptr 0
		.amdhsa_user_sgpr_queue_ptr 0
		.amdhsa_user_sgpr_kernarg_segment_ptr 1
		.amdhsa_user_sgpr_dispatch_id 0
		.amdhsa_user_sgpr_flat_scratch_init 0
		.amdhsa_user_sgpr_kernarg_preload_length 0
		.amdhsa_user_sgpr_kernarg_preload_offset 0
		.amdhsa_user_sgpr_private_segment_size 0
		.amdhsa_uses_dynamic_stack 0
		.amdhsa_system_sgpr_private_segment_wavefront_offset 0
		.amdhsa_system_sgpr_workgroup_id_x 1
		.amdhsa_system_sgpr_workgroup_id_y 0
		.amdhsa_system_sgpr_workgroup_id_z 0
		.amdhsa_system_sgpr_workgroup_info 0
		.amdhsa_system_vgpr_workitem_id 0
		.amdhsa_next_free_vgpr 1
		.amdhsa_next_free_sgpr 0
		.amdhsa_accum_offset 4
		.amdhsa_reserve_vcc 0
		.amdhsa_reserve_flat_scratch 0
		.amdhsa_float_round_mode_32 0
		.amdhsa_float_round_mode_16_64 0
		.amdhsa_float_denorm_mode_32 3
		.amdhsa_float_denorm_mode_16_64 3
		.amdhsa_dx10_clamp 1
		.amdhsa_ieee_mode 1
		.amdhsa_fp16_overflow 0
		.amdhsa_tg_split 0
		.amdhsa_exception_fp_ieee_invalid_op 0
		.amdhsa_exception_fp_denorm_src 0
		.amdhsa_exception_fp_ieee_div_zero 0
		.amdhsa_exception_fp_ieee_overflow 0
		.amdhsa_exception_fp_ieee_underflow 0
		.amdhsa_exception_fp_ieee_inexact 0
		.amdhsa_exception_int_div_zero 0
	.end_amdhsa_kernel
	.section	.text._ZN7rocprim17ROCPRIM_400000_NS6detail17trampoline_kernelINS0_14default_configENS1_22reduce_config_selectorIjEEZNS1_11reduce_implILb1ES3_PjPiiN6thrust23THRUST_200600_302600_NS7maximumIjEEEE10hipError_tPvRmT1_T2_T3_mT4_P12ihipStream_tbEUlT_E1_NS1_11comp_targetILNS1_3genE5ELNS1_11target_archE942ELNS1_3gpuE9ELNS1_3repE0EEENS1_30default_config_static_selectorELNS0_4arch9wavefront6targetE1EEEvSG_,"axG",@progbits,_ZN7rocprim17ROCPRIM_400000_NS6detail17trampoline_kernelINS0_14default_configENS1_22reduce_config_selectorIjEEZNS1_11reduce_implILb1ES3_PjPiiN6thrust23THRUST_200600_302600_NS7maximumIjEEEE10hipError_tPvRmT1_T2_T3_mT4_P12ihipStream_tbEUlT_E1_NS1_11comp_targetILNS1_3genE5ELNS1_11target_archE942ELNS1_3gpuE9ELNS1_3repE0EEENS1_30default_config_static_selectorELNS0_4arch9wavefront6targetE1EEEvSG_,comdat
.Lfunc_end415:
	.size	_ZN7rocprim17ROCPRIM_400000_NS6detail17trampoline_kernelINS0_14default_configENS1_22reduce_config_selectorIjEEZNS1_11reduce_implILb1ES3_PjPiiN6thrust23THRUST_200600_302600_NS7maximumIjEEEE10hipError_tPvRmT1_T2_T3_mT4_P12ihipStream_tbEUlT_E1_NS1_11comp_targetILNS1_3genE5ELNS1_11target_archE942ELNS1_3gpuE9ELNS1_3repE0EEENS1_30default_config_static_selectorELNS0_4arch9wavefront6targetE1EEEvSG_, .Lfunc_end415-_ZN7rocprim17ROCPRIM_400000_NS6detail17trampoline_kernelINS0_14default_configENS1_22reduce_config_selectorIjEEZNS1_11reduce_implILb1ES3_PjPiiN6thrust23THRUST_200600_302600_NS7maximumIjEEEE10hipError_tPvRmT1_T2_T3_mT4_P12ihipStream_tbEUlT_E1_NS1_11comp_targetILNS1_3genE5ELNS1_11target_archE942ELNS1_3gpuE9ELNS1_3repE0EEENS1_30default_config_static_selectorELNS0_4arch9wavefront6targetE1EEEvSG_
                                        ; -- End function
	.section	.AMDGPU.csdata,"",@progbits
; Kernel info:
; codeLenInByte = 0
; NumSgprs: 4
; NumVgprs: 0
; NumAgprs: 0
; TotalNumVgprs: 0
; ScratchSize: 0
; MemoryBound: 0
; FloatMode: 240
; IeeeMode: 1
; LDSByteSize: 0 bytes/workgroup (compile time only)
; SGPRBlocks: 0
; VGPRBlocks: 0
; NumSGPRsForWavesPerEU: 4
; NumVGPRsForWavesPerEU: 1
; AccumOffset: 4
; Occupancy: 8
; WaveLimiterHint : 0
; COMPUTE_PGM_RSRC2:SCRATCH_EN: 0
; COMPUTE_PGM_RSRC2:USER_SGPR: 6
; COMPUTE_PGM_RSRC2:TRAP_HANDLER: 0
; COMPUTE_PGM_RSRC2:TGID_X_EN: 1
; COMPUTE_PGM_RSRC2:TGID_Y_EN: 0
; COMPUTE_PGM_RSRC2:TGID_Z_EN: 0
; COMPUTE_PGM_RSRC2:TIDIG_COMP_CNT: 0
; COMPUTE_PGM_RSRC3_GFX90A:ACCUM_OFFSET: 0
; COMPUTE_PGM_RSRC3_GFX90A:TG_SPLIT: 0
	.section	.text._ZN7rocprim17ROCPRIM_400000_NS6detail17trampoline_kernelINS0_14default_configENS1_22reduce_config_selectorIjEEZNS1_11reduce_implILb1ES3_PjPiiN6thrust23THRUST_200600_302600_NS7maximumIjEEEE10hipError_tPvRmT1_T2_T3_mT4_P12ihipStream_tbEUlT_E1_NS1_11comp_targetILNS1_3genE4ELNS1_11target_archE910ELNS1_3gpuE8ELNS1_3repE0EEENS1_30default_config_static_selectorELNS0_4arch9wavefront6targetE1EEEvSG_,"axG",@progbits,_ZN7rocprim17ROCPRIM_400000_NS6detail17trampoline_kernelINS0_14default_configENS1_22reduce_config_selectorIjEEZNS1_11reduce_implILb1ES3_PjPiiN6thrust23THRUST_200600_302600_NS7maximumIjEEEE10hipError_tPvRmT1_T2_T3_mT4_P12ihipStream_tbEUlT_E1_NS1_11comp_targetILNS1_3genE4ELNS1_11target_archE910ELNS1_3gpuE8ELNS1_3repE0EEENS1_30default_config_static_selectorELNS0_4arch9wavefront6targetE1EEEvSG_,comdat
	.protected	_ZN7rocprim17ROCPRIM_400000_NS6detail17trampoline_kernelINS0_14default_configENS1_22reduce_config_selectorIjEEZNS1_11reduce_implILb1ES3_PjPiiN6thrust23THRUST_200600_302600_NS7maximumIjEEEE10hipError_tPvRmT1_T2_T3_mT4_P12ihipStream_tbEUlT_E1_NS1_11comp_targetILNS1_3genE4ELNS1_11target_archE910ELNS1_3gpuE8ELNS1_3repE0EEENS1_30default_config_static_selectorELNS0_4arch9wavefront6targetE1EEEvSG_ ; -- Begin function _ZN7rocprim17ROCPRIM_400000_NS6detail17trampoline_kernelINS0_14default_configENS1_22reduce_config_selectorIjEEZNS1_11reduce_implILb1ES3_PjPiiN6thrust23THRUST_200600_302600_NS7maximumIjEEEE10hipError_tPvRmT1_T2_T3_mT4_P12ihipStream_tbEUlT_E1_NS1_11comp_targetILNS1_3genE4ELNS1_11target_archE910ELNS1_3gpuE8ELNS1_3repE0EEENS1_30default_config_static_selectorELNS0_4arch9wavefront6targetE1EEEvSG_
	.globl	_ZN7rocprim17ROCPRIM_400000_NS6detail17trampoline_kernelINS0_14default_configENS1_22reduce_config_selectorIjEEZNS1_11reduce_implILb1ES3_PjPiiN6thrust23THRUST_200600_302600_NS7maximumIjEEEE10hipError_tPvRmT1_T2_T3_mT4_P12ihipStream_tbEUlT_E1_NS1_11comp_targetILNS1_3genE4ELNS1_11target_archE910ELNS1_3gpuE8ELNS1_3repE0EEENS1_30default_config_static_selectorELNS0_4arch9wavefront6targetE1EEEvSG_
	.p2align	8
	.type	_ZN7rocprim17ROCPRIM_400000_NS6detail17trampoline_kernelINS0_14default_configENS1_22reduce_config_selectorIjEEZNS1_11reduce_implILb1ES3_PjPiiN6thrust23THRUST_200600_302600_NS7maximumIjEEEE10hipError_tPvRmT1_T2_T3_mT4_P12ihipStream_tbEUlT_E1_NS1_11comp_targetILNS1_3genE4ELNS1_11target_archE910ELNS1_3gpuE8ELNS1_3repE0EEENS1_30default_config_static_selectorELNS0_4arch9wavefront6targetE1EEEvSG_,@function
_ZN7rocprim17ROCPRIM_400000_NS6detail17trampoline_kernelINS0_14default_configENS1_22reduce_config_selectorIjEEZNS1_11reduce_implILb1ES3_PjPiiN6thrust23THRUST_200600_302600_NS7maximumIjEEEE10hipError_tPvRmT1_T2_T3_mT4_P12ihipStream_tbEUlT_E1_NS1_11comp_targetILNS1_3genE4ELNS1_11target_archE910ELNS1_3gpuE8ELNS1_3repE0EEENS1_30default_config_static_selectorELNS0_4arch9wavefront6targetE1EEEvSG_: ; @_ZN7rocprim17ROCPRIM_400000_NS6detail17trampoline_kernelINS0_14default_configENS1_22reduce_config_selectorIjEEZNS1_11reduce_implILb1ES3_PjPiiN6thrust23THRUST_200600_302600_NS7maximumIjEEEE10hipError_tPvRmT1_T2_T3_mT4_P12ihipStream_tbEUlT_E1_NS1_11comp_targetILNS1_3genE4ELNS1_11target_archE910ELNS1_3gpuE8ELNS1_3repE0EEENS1_30default_config_static_selectorELNS0_4arch9wavefront6targetE1EEEvSG_
; %bb.0:
	s_load_dword s33, s[4:5], 0x4
	s_load_dwordx4 s[68:71], s[4:5], 0x8
	s_waitcnt lgkmcnt(0)
	s_cmp_lt_i32 s33, 8
	s_cbranch_scc1 .LBB416_11
; %bb.1:
	s_cmp_gt_i32 s33, 15
	s_cbranch_scc0 .LBB416_12
; %bb.2:
	s_cmp_gt_i32 s33, 31
	s_cbranch_scc0 .LBB416_13
; %bb.3:
	s_cmp_eq_u32 s33, 32
	s_mov_b64 s[66:67], 0
	s_cbranch_scc0 .LBB416_14
; %bb.4:
	s_mov_b32 s7, 0
	s_lshl_b32 s0, s6, 12
	s_mov_b32 s1, s7
	s_lshr_b64 s[2:3], s[70:71], 12
	s_lshl_b64 s[8:9], s[0:1], 2
	s_add_u32 s72, s68, s8
	s_addc_u32 s73, s69, s9
	s_cmp_lg_u64 s[2:3], s[6:7]
	s_cbranch_scc0 .LBB416_23
; %bb.5:
	v_lshlrev_b32_e32 v1, 2, v0
	v_mov_b32_e32 v2, s73
	v_add_co_u32_e32 v4, vcc, s72, v1
	global_load_dword v6, v1, s[72:73]
	global_load_dword v7, v1, s[72:73] offset:512
	global_load_dword v8, v1, s[72:73] offset:1024
	global_load_dword v9, v1, s[72:73] offset:1536
	global_load_dword v10, v1, s[72:73] offset:2048
	global_load_dword v11, v1, s[72:73] offset:2560
	global_load_dword v12, v1, s[72:73] offset:3072
	global_load_dword v13, v1, s[72:73] offset:3584
	v_addc_co_u32_e32 v5, vcc, 0, v2, vcc
	v_add_co_u32_e32 v2, vcc, 0x1000, v4
	v_addc_co_u32_e32 v3, vcc, 0, v5, vcc
	global_load_dword v1, v[2:3], off
	global_load_dword v14, v[2:3], off offset:512
	global_load_dword v15, v[2:3], off offset:1024
	global_load_dword v16, v[2:3], off offset:1536
	global_load_dword v17, v[2:3], off offset:2048
	global_load_dword v18, v[2:3], off offset:2560
	global_load_dword v19, v[2:3], off offset:3072
	global_load_dword v20, v[2:3], off offset:3584
	v_add_co_u32_e32 v2, vcc, 0x2000, v4
	v_addc_co_u32_e32 v3, vcc, 0, v5, vcc
	global_load_dword v21, v[2:3], off
	global_load_dword v22, v[2:3], off offset:512
	global_load_dword v23, v[2:3], off offset:1024
	global_load_dword v24, v[2:3], off offset:1536
	global_load_dword v25, v[2:3], off offset:2048
	global_load_dword v26, v[2:3], off offset:2560
	global_load_dword v27, v[2:3], off offset:3072
	global_load_dword v28, v[2:3], off offset:3584
	;; [unrolled: 10-line block ×3, first 2 shown]
	v_mbcnt_lo_u32_b32 v2, -1, 0
	v_mbcnt_hi_u32_b32 v2, -1, v2
	v_lshlrev_b32_e32 v3, 2, v2
	v_cmp_eq_u32_e32 vcc, 0, v2
	s_waitcnt vmcnt(30)
	v_max_u32_e32 v6, v6, v7
	s_waitcnt vmcnt(28)
	v_max3_u32 v6, v6, v8, v9
	s_waitcnt vmcnt(26)
	v_max3_u32 v6, v6, v10, v11
	;; [unrolled: 2-line block ×14, first 2 shown]
	v_or_b32_e32 v4, 0xfc, v3
	s_waitcnt vmcnt(0)
	v_max3_u32 v1, v1, v33, v34
	s_nop 1
	v_max_u32_dpp v1, v1, v1 quad_perm:[1,0,3,2] row_mask:0xf bank_mask:0xf bound_ctrl:1
	s_nop 1
	v_max_u32_dpp v1, v1, v1 quad_perm:[2,3,0,1] row_mask:0xf bank_mask:0xf bound_ctrl:1
	s_nop 1
	v_max_u32_dpp v1, v1, v1 row_ror:4 row_mask:0xf bank_mask:0xf bound_ctrl:1
	s_nop 1
	v_max_u32_dpp v1, v1, v1 row_ror:8 row_mask:0xf bank_mask:0xf bound_ctrl:1
	s_nop 1
	v_max_u32_dpp v1, v1, v1 row_bcast:15 row_mask:0xf bank_mask:0xf bound_ctrl:1
	s_nop 1
	v_max_u32_dpp v1, v1, v1 row_bcast:31 row_mask:0xf bank_mask:0xf bound_ctrl:1
	ds_bpermute_b32 v1, v4, v1
	s_and_saveexec_b64 s[2:3], vcc
	s_cbranch_execz .LBB416_7
; %bb.6:
	v_lshrrev_b32_e32 v4, 4, v0
	v_and_b32_e32 v4, 4, v4
	s_waitcnt lgkmcnt(0)
	ds_write_b32 v4, v1 offset:24
.LBB416_7:
	s_or_b64 exec, exec, s[2:3]
	v_cmp_gt_u32_e32 vcc, 64, v0
	s_waitcnt lgkmcnt(0)
	s_barrier
	s_and_saveexec_b64 s[2:3], vcc
	s_cbranch_execz .LBB416_9
; %bb.8:
	v_and_b32_e32 v1, 1, v2
	v_lshlrev_b32_e32 v1, 2, v1
	ds_read_b32 v1, v1 offset:24
	v_or_b32_e32 v2, 4, v3
	s_waitcnt lgkmcnt(0)
	ds_bpermute_b32 v2, v2, v1
	s_waitcnt lgkmcnt(0)
	v_max_u32_e32 v1, v1, v2
.LBB416_9:
	s_or_b64 exec, exec, s[2:3]
.LBB416_10:
	v_cmp_eq_u32_e64 s[0:1], 0, v0
	s_and_b64 vcc, exec, s[66:67]
	s_cbranch_vccnz .LBB416_15
	s_branch .LBB416_93
.LBB416_11:
	s_mov_b64 s[0:1], 0
                                        ; implicit-def: $vgpr1
	s_cbranch_execnz .LBB416_166
	s_branch .LBB416_224
.LBB416_12:
	s_mov_b64 s[0:1], 0
                                        ; implicit-def: $vgpr1
	s_cbranch_execnz .LBB416_134
	s_branch .LBB416_142
.LBB416_13:
	s_mov_b64 s[66:67], -1
.LBB416_14:
	s_mov_b64 s[0:1], 0
                                        ; implicit-def: $vgpr1
	s_and_b64 vcc, exec, s[66:67]
	s_cbranch_vccz .LBB416_93
.LBB416_15:
	s_cmp_eq_u32 s33, 16
	s_cbranch_scc0 .LBB416_22
; %bb.16:
	s_mov_b32 s7, 0
	s_lshl_b32 s0, s6, 11
	s_mov_b32 s1, s7
	s_lshr_b64 s[2:3], s[70:71], 11
	s_lshl_b64 s[8:9], s[0:1], 2
	s_add_u32 s34, s68, s8
	s_addc_u32 s35, s69, s9
	s_cmp_lg_u64 s[2:3], s[6:7]
	s_cbranch_scc0 .LBB416_94
; %bb.17:
	v_lshlrev_b32_e32 v1, 2, v0
	v_mov_b32_e32 v2, s35
	v_add_co_u32_e32 v3, vcc, s34, v1
	global_load_dword v5, v1, s[34:35]
	global_load_dword v6, v1, s[34:35] offset:512
	global_load_dword v7, v1, s[34:35] offset:1024
	;; [unrolled: 1-line block ×7, first 2 shown]
	v_addc_co_u32_e32 v4, vcc, 0, v2, vcc
	v_add_co_u32_e32 v2, vcc, 0x1000, v3
	v_addc_co_u32_e32 v3, vcc, 0, v4, vcc
	global_load_dword v1, v[2:3], off
	global_load_dword v4, v[2:3], off offset:512
	global_load_dword v13, v[2:3], off offset:1024
	global_load_dword v14, v[2:3], off offset:1536
	global_load_dword v15, v[2:3], off offset:2048
	global_load_dword v16, v[2:3], off offset:2560
	global_load_dword v17, v[2:3], off offset:3072
	global_load_dword v18, v[2:3], off offset:3584
	v_mbcnt_lo_u32_b32 v2, -1, 0
	v_mbcnt_hi_u32_b32 v2, -1, v2
	v_lshlrev_b32_e32 v3, 2, v2
	v_cmp_eq_u32_e32 vcc, 0, v2
	s_waitcnt vmcnt(14)
	v_max_u32_e32 v5, v5, v6
	s_waitcnt vmcnt(12)
	v_max3_u32 v5, v5, v7, v8
	s_waitcnt vmcnt(10)
	v_max3_u32 v5, v5, v9, v10
	;; [unrolled: 2-line block ×4, first 2 shown]
	v_or_b32_e32 v4, 0xfc, v3
	s_waitcnt vmcnt(4)
	v_max3_u32 v1, v1, v13, v14
	s_waitcnt vmcnt(2)
	v_max3_u32 v1, v1, v15, v16
	;; [unrolled: 2-line block ×3, first 2 shown]
	s_nop 1
	v_max_u32_dpp v1, v1, v1 quad_perm:[1,0,3,2] row_mask:0xf bank_mask:0xf bound_ctrl:1
	s_nop 1
	v_max_u32_dpp v1, v1, v1 quad_perm:[2,3,0,1] row_mask:0xf bank_mask:0xf bound_ctrl:1
	s_nop 1
	v_max_u32_dpp v1, v1, v1 row_ror:4 row_mask:0xf bank_mask:0xf bound_ctrl:1
	s_nop 1
	v_max_u32_dpp v1, v1, v1 row_ror:8 row_mask:0xf bank_mask:0xf bound_ctrl:1
	s_nop 1
	v_max_u32_dpp v1, v1, v1 row_bcast:15 row_mask:0xf bank_mask:0xf bound_ctrl:1
	s_nop 1
	v_max_u32_dpp v1, v1, v1 row_bcast:31 row_mask:0xf bank_mask:0xf bound_ctrl:1
	ds_bpermute_b32 v1, v4, v1
	s_and_saveexec_b64 s[2:3], vcc
	s_cbranch_execz .LBB416_19
; %bb.18:
	v_lshrrev_b32_e32 v4, 4, v0
	v_and_b32_e32 v4, 4, v4
	s_waitcnt lgkmcnt(0)
	ds_write_b32 v4, v1
.LBB416_19:
	s_or_b64 exec, exec, s[2:3]
	v_cmp_gt_u32_e32 vcc, 64, v0
	s_waitcnt lgkmcnt(0)
	s_barrier
	s_and_saveexec_b64 s[2:3], vcc
	s_cbranch_execz .LBB416_21
; %bb.20:
	v_and_b32_e32 v1, 1, v2
	v_lshlrev_b32_e32 v1, 2, v1
	ds_read_b32 v1, v1
	v_or_b32_e32 v2, 4, v3
	s_waitcnt lgkmcnt(0)
	ds_bpermute_b32 v2, v2, v1
	s_waitcnt lgkmcnt(0)
	v_max_u32_e32 v1, v1, v2
.LBB416_21:
	s_or_b64 exec, exec, s[2:3]
	s_mov_b64 s[2:3], 0
	s_branch .LBB416_95
.LBB416_22:
                                        ; implicit-def: $vgpr1
	s_branch .LBB416_142
.LBB416_23:
                                        ; implicit-def: $vgpr1
	s_cbranch_execz .LBB416_10
; %bb.24:
	s_sub_i32 s76, s70, s0
	v_cmp_gt_u32_e32 vcc, s76, v0
                                        ; implicit-def: $vgpr1
	s_and_saveexec_b64 s[0:1], vcc
	s_cbranch_execz .LBB416_26
; %bb.25:
	v_lshlrev_b32_e32 v1, 2, v0
	global_load_dword v1, v1, s[72:73]
.LBB416_26:
	s_or_b64 exec, exec, s[0:1]
	v_or_b32_e32 v2, 0x80, v0
	v_cmp_gt_u32_e32 vcc, s76, v2
                                        ; implicit-def: $vgpr2
	s_and_saveexec_b64 s[0:1], vcc
	s_cbranch_execz .LBB416_28
; %bb.27:
	v_lshlrev_b32_e32 v2, 2, v0
	global_load_dword v2, v2, s[72:73] offset:512
.LBB416_28:
	s_or_b64 exec, exec, s[0:1]
	v_or_b32_e32 v3, 0x100, v0
	v_cmp_gt_u32_e64 s[0:1], s76, v3
                                        ; implicit-def: $vgpr3
	s_and_saveexec_b64 s[2:3], s[0:1]
	s_cbranch_execz .LBB416_30
; %bb.29:
	v_lshlrev_b32_e32 v3, 2, v0
	global_load_dword v3, v3, s[72:73] offset:1024
.LBB416_30:
	s_or_b64 exec, exec, s[2:3]
	v_or_b32_e32 v4, 0x180, v0
	v_cmp_gt_u32_e64 s[2:3], s76, v4
                                        ; implicit-def: $vgpr4
	s_and_saveexec_b64 s[8:9], s[2:3]
	s_cbranch_execz .LBB416_32
; %bb.31:
	v_lshlrev_b32_e32 v4, 2, v0
	global_load_dword v4, v4, s[72:73] offset:1536
.LBB416_32:
	s_or_b64 exec, exec, s[8:9]
	v_or_b32_e32 v5, 0x200, v0
	v_cmp_gt_u32_e64 s[8:9], s76, v5
                                        ; implicit-def: $vgpr5
	s_and_saveexec_b64 s[10:11], s[8:9]
	s_cbranch_execz .LBB416_34
; %bb.33:
	v_lshlrev_b32_e32 v5, 2, v0
	global_load_dword v5, v5, s[72:73] offset:2048
.LBB416_34:
	s_or_b64 exec, exec, s[10:11]
	v_or_b32_e32 v6, 0x280, v0
	v_cmp_gt_u32_e64 s[10:11], s76, v6
                                        ; implicit-def: $vgpr6
	s_and_saveexec_b64 s[12:13], s[10:11]
	s_cbranch_execz .LBB416_36
; %bb.35:
	v_lshlrev_b32_e32 v6, 2, v0
	global_load_dword v6, v6, s[72:73] offset:2560
.LBB416_36:
	s_or_b64 exec, exec, s[12:13]
	v_or_b32_e32 v7, 0x300, v0
	v_cmp_gt_u32_e64 s[12:13], s76, v7
                                        ; implicit-def: $vgpr7
	s_and_saveexec_b64 s[14:15], s[12:13]
	s_cbranch_execz .LBB416_38
; %bb.37:
	v_lshlrev_b32_e32 v7, 2, v0
	global_load_dword v7, v7, s[72:73] offset:3072
.LBB416_38:
	s_or_b64 exec, exec, s[14:15]
	v_or_b32_e32 v8, 0x380, v0
	v_cmp_gt_u32_e64 s[14:15], s76, v8
                                        ; implicit-def: $vgpr8
	s_and_saveexec_b64 s[16:17], s[14:15]
	s_cbranch_execz .LBB416_40
; %bb.39:
	v_lshlrev_b32_e32 v8, 2, v0
	global_load_dword v8, v8, s[72:73] offset:3584
.LBB416_40:
	s_or_b64 exec, exec, s[16:17]
	v_or_b32_e32 v10, 0x400, v0
	v_cmp_gt_u32_e64 s[16:17], s76, v10
                                        ; implicit-def: $vgpr9
	s_and_saveexec_b64 s[18:19], s[16:17]
	s_cbranch_execz .LBB416_42
; %bb.41:
	v_lshlrev_b32_e32 v9, 2, v10
	global_load_dword v9, v9, s[72:73]
.LBB416_42:
	s_or_b64 exec, exec, s[18:19]
	v_or_b32_e32 v11, 0x480, v0
	v_cmp_gt_u32_e64 s[18:19], s76, v11
                                        ; implicit-def: $vgpr10
	s_and_saveexec_b64 s[20:21], s[18:19]
	s_cbranch_execz .LBB416_44
; %bb.43:
	v_lshlrev_b32_e32 v10, 2, v11
	global_load_dword v10, v10, s[72:73]
.LBB416_44:
	s_or_b64 exec, exec, s[20:21]
	v_or_b32_e32 v12, 0x500, v0
	v_cmp_gt_u32_e64 s[20:21], s76, v12
                                        ; implicit-def: $vgpr11
	s_and_saveexec_b64 s[22:23], s[20:21]
	s_cbranch_execz .LBB416_46
; %bb.45:
	v_lshlrev_b32_e32 v11, 2, v12
	global_load_dword v11, v11, s[72:73]
.LBB416_46:
	s_or_b64 exec, exec, s[22:23]
	v_or_b32_e32 v13, 0x580, v0
	v_cmp_gt_u32_e64 s[22:23], s76, v13
                                        ; implicit-def: $vgpr12
	s_and_saveexec_b64 s[24:25], s[22:23]
	s_cbranch_execz .LBB416_48
; %bb.47:
	v_lshlrev_b32_e32 v12, 2, v13
	global_load_dword v12, v12, s[72:73]
.LBB416_48:
	s_or_b64 exec, exec, s[24:25]
	v_or_b32_e32 v14, 0x600, v0
	v_cmp_gt_u32_e64 s[24:25], s76, v14
                                        ; implicit-def: $vgpr13
	s_and_saveexec_b64 s[26:27], s[24:25]
	s_cbranch_execz .LBB416_50
; %bb.49:
	v_lshlrev_b32_e32 v13, 2, v14
	global_load_dword v13, v13, s[72:73]
.LBB416_50:
	s_or_b64 exec, exec, s[26:27]
	v_or_b32_e32 v15, 0x680, v0
	v_cmp_gt_u32_e64 s[26:27], s76, v15
                                        ; implicit-def: $vgpr14
	s_and_saveexec_b64 s[28:29], s[26:27]
	s_cbranch_execz .LBB416_52
; %bb.51:
	v_lshlrev_b32_e32 v14, 2, v15
	global_load_dword v14, v14, s[72:73]
.LBB416_52:
	s_or_b64 exec, exec, s[28:29]
	v_or_b32_e32 v16, 0x700, v0
	v_cmp_gt_u32_e64 s[28:29], s76, v16
                                        ; implicit-def: $vgpr15
	s_and_saveexec_b64 s[30:31], s[28:29]
	s_cbranch_execz .LBB416_54
; %bb.53:
	v_lshlrev_b32_e32 v15, 2, v16
	global_load_dword v15, v15, s[72:73]
.LBB416_54:
	s_or_b64 exec, exec, s[30:31]
	v_or_b32_e32 v17, 0x780, v0
	v_cmp_gt_u32_e64 s[30:31], s76, v17
                                        ; implicit-def: $vgpr16
	s_and_saveexec_b64 s[34:35], s[30:31]
	s_cbranch_execz .LBB416_56
; %bb.55:
	v_lshlrev_b32_e32 v16, 2, v17
	global_load_dword v16, v16, s[72:73]
.LBB416_56:
	s_or_b64 exec, exec, s[34:35]
	v_or_b32_e32 v18, 0x800, v0
	v_cmp_gt_u32_e64 s[34:35], s76, v18
                                        ; implicit-def: $vgpr17
	s_and_saveexec_b64 s[36:37], s[34:35]
	s_cbranch_execz .LBB416_58
; %bb.57:
	v_lshlrev_b32_e32 v17, 2, v18
	global_load_dword v17, v17, s[72:73]
.LBB416_58:
	s_or_b64 exec, exec, s[36:37]
	v_or_b32_e32 v19, 0x880, v0
	v_cmp_gt_u32_e64 s[36:37], s76, v19
                                        ; implicit-def: $vgpr18
	s_and_saveexec_b64 s[38:39], s[36:37]
	s_cbranch_execz .LBB416_60
; %bb.59:
	v_lshlrev_b32_e32 v18, 2, v19
	global_load_dword v18, v18, s[72:73]
.LBB416_60:
	s_or_b64 exec, exec, s[38:39]
	v_or_b32_e32 v20, 0x900, v0
	v_cmp_gt_u32_e64 s[38:39], s76, v20
                                        ; implicit-def: $vgpr19
	s_and_saveexec_b64 s[40:41], s[38:39]
	s_cbranch_execz .LBB416_62
; %bb.61:
	v_lshlrev_b32_e32 v19, 2, v20
	global_load_dword v19, v19, s[72:73]
.LBB416_62:
	s_or_b64 exec, exec, s[40:41]
	v_or_b32_e32 v21, 0x980, v0
	v_cmp_gt_u32_e64 s[40:41], s76, v21
                                        ; implicit-def: $vgpr20
	s_and_saveexec_b64 s[42:43], s[40:41]
	s_cbranch_execz .LBB416_64
; %bb.63:
	v_lshlrev_b32_e32 v20, 2, v21
	global_load_dword v20, v20, s[72:73]
.LBB416_64:
	s_or_b64 exec, exec, s[42:43]
	v_or_b32_e32 v22, 0xa00, v0
	v_cmp_gt_u32_e64 s[42:43], s76, v22
                                        ; implicit-def: $vgpr21
	s_and_saveexec_b64 s[44:45], s[42:43]
	s_cbranch_execz .LBB416_66
; %bb.65:
	v_lshlrev_b32_e32 v21, 2, v22
	global_load_dword v21, v21, s[72:73]
.LBB416_66:
	s_or_b64 exec, exec, s[44:45]
	v_or_b32_e32 v23, 0xa80, v0
	v_cmp_gt_u32_e64 s[44:45], s76, v23
                                        ; implicit-def: $vgpr22
	s_and_saveexec_b64 s[46:47], s[44:45]
	s_cbranch_execz .LBB416_68
; %bb.67:
	v_lshlrev_b32_e32 v22, 2, v23
	global_load_dword v22, v22, s[72:73]
.LBB416_68:
	s_or_b64 exec, exec, s[46:47]
	v_or_b32_e32 v24, 0xb00, v0
	v_cmp_gt_u32_e64 s[46:47], s76, v24
                                        ; implicit-def: $vgpr23
	s_and_saveexec_b64 s[48:49], s[46:47]
	s_cbranch_execz .LBB416_70
; %bb.69:
	v_lshlrev_b32_e32 v23, 2, v24
	global_load_dword v23, v23, s[72:73]
.LBB416_70:
	s_or_b64 exec, exec, s[48:49]
	v_or_b32_e32 v25, 0xb80, v0
	v_cmp_gt_u32_e64 s[48:49], s76, v25
                                        ; implicit-def: $vgpr24
	s_and_saveexec_b64 s[50:51], s[48:49]
	s_cbranch_execz .LBB416_72
; %bb.71:
	v_lshlrev_b32_e32 v24, 2, v25
	global_load_dword v24, v24, s[72:73]
.LBB416_72:
	s_or_b64 exec, exec, s[50:51]
	v_or_b32_e32 v26, 0xc00, v0
	v_cmp_gt_u32_e64 s[50:51], s76, v26
                                        ; implicit-def: $vgpr25
	s_and_saveexec_b64 s[52:53], s[50:51]
	s_cbranch_execz .LBB416_74
; %bb.73:
	v_lshlrev_b32_e32 v25, 2, v26
	global_load_dword v25, v25, s[72:73]
.LBB416_74:
	s_or_b64 exec, exec, s[52:53]
	v_or_b32_e32 v27, 0xc80, v0
	v_cmp_gt_u32_e64 s[52:53], s76, v27
                                        ; implicit-def: $vgpr26
	s_and_saveexec_b64 s[54:55], s[52:53]
	s_cbranch_execz .LBB416_76
; %bb.75:
	v_lshlrev_b32_e32 v26, 2, v27
	global_load_dword v26, v26, s[72:73]
.LBB416_76:
	s_or_b64 exec, exec, s[54:55]
	v_or_b32_e32 v28, 0xd00, v0
	v_cmp_gt_u32_e64 s[54:55], s76, v28
                                        ; implicit-def: $vgpr27
	s_and_saveexec_b64 s[56:57], s[54:55]
	s_cbranch_execz .LBB416_78
; %bb.77:
	v_lshlrev_b32_e32 v27, 2, v28
	global_load_dword v27, v27, s[72:73]
.LBB416_78:
	s_or_b64 exec, exec, s[56:57]
	v_or_b32_e32 v29, 0xd80, v0
	v_cmp_gt_u32_e64 s[56:57], s76, v29
                                        ; implicit-def: $vgpr28
	s_and_saveexec_b64 s[58:59], s[56:57]
	s_cbranch_execz .LBB416_80
; %bb.79:
	v_lshlrev_b32_e32 v28, 2, v29
	global_load_dword v28, v28, s[72:73]
.LBB416_80:
	s_or_b64 exec, exec, s[58:59]
	v_or_b32_e32 v30, 0xe00, v0
	v_cmp_gt_u32_e64 s[58:59], s76, v30
                                        ; implicit-def: $vgpr29
	s_and_saveexec_b64 s[60:61], s[58:59]
	s_cbranch_execz .LBB416_82
; %bb.81:
	v_lshlrev_b32_e32 v29, 2, v30
	global_load_dword v29, v29, s[72:73]
.LBB416_82:
	s_or_b64 exec, exec, s[60:61]
	v_or_b32_e32 v31, 0xe80, v0
	v_cmp_gt_u32_e64 s[60:61], s76, v31
                                        ; implicit-def: $vgpr30
	s_and_saveexec_b64 s[62:63], s[60:61]
	s_cbranch_execz .LBB416_84
; %bb.83:
	v_lshlrev_b32_e32 v30, 2, v31
	global_load_dword v30, v30, s[72:73]
.LBB416_84:
	s_or_b64 exec, exec, s[62:63]
	v_or_b32_e32 v32, 0xf00, v0
	v_cmp_gt_u32_e64 s[62:63], s76, v32
                                        ; implicit-def: $vgpr31
	s_and_saveexec_b64 s[64:65], s[62:63]
	s_cbranch_execz .LBB416_86
; %bb.85:
	v_lshlrev_b32_e32 v31, 2, v32
	global_load_dword v31, v31, s[72:73]
.LBB416_86:
	s_or_b64 exec, exec, s[64:65]
	v_or_b32_e32 v33, 0xf80, v0
	v_cmp_gt_u32_e64 s[64:65], s76, v33
                                        ; implicit-def: $vgpr32
	s_and_saveexec_b64 s[74:75], s[64:65]
	s_cbranch_execz .LBB416_88
; %bb.87:
	v_lshlrev_b32_e32 v32, 2, v33
	global_load_dword v32, v32, s[72:73]
.LBB416_88:
	s_or_b64 exec, exec, s[74:75]
	s_waitcnt vmcnt(0)
	v_max_u32_e32 v2, v1, v2
	v_cndmask_b32_e32 v1, v1, v2, vcc
	v_max_u32_e32 v2, v1, v3
	v_cndmask_b32_e64 v1, v1, v2, s[0:1]
	v_max_u32_e32 v2, v1, v4
	v_cndmask_b32_e64 v1, v1, v2, s[2:3]
	;; [unrolled: 2-line block ×30, first 2 shown]
	v_mbcnt_lo_u32_b32 v2, -1, 0
	v_mbcnt_hi_u32_b32 v2, -1, v2
	v_and_b32_e32 v3, 63, v2
	v_cmp_ne_u32_e32 vcc, 63, v3
	v_addc_co_u32_e32 v4, vcc, 0, v2, vcc
	v_lshlrev_b32_e32 v4, 2, v4
	ds_bpermute_b32 v4, v4, v1
	s_min_u32 s2, s76, 0x80
	v_and_b32_e32 v5, 64, v0
	v_sub_u32_e64 v5, s2, v5 clamp
	v_add_u32_e32 v6, 1, v3
	s_waitcnt lgkmcnt(0)
	v_max_u32_e32 v4, v1, v4
	v_cmp_lt_u32_e32 vcc, v6, v5
	v_cndmask_b32_e32 v1, v1, v4, vcc
	v_cmp_gt_u32_e32 vcc, 62, v3
	v_cndmask_b32_e64 v4, 0, 1, vcc
	v_lshlrev_b32_e32 v4, 1, v4
	v_add_lshl_u32 v4, v4, v2, 2
	ds_bpermute_b32 v4, v4, v1
	v_add_u32_e32 v6, 2, v3
	v_cmp_lt_u32_e32 vcc, v6, v5
	v_add_u32_e32 v6, 4, v3
	s_waitcnt lgkmcnt(0)
	v_max_u32_e32 v4, v1, v4
	v_cndmask_b32_e32 v1, v1, v4, vcc
	v_cmp_gt_u32_e32 vcc, 60, v3
	v_cndmask_b32_e64 v4, 0, 1, vcc
	v_lshlrev_b32_e32 v4, 2, v4
	v_add_lshl_u32 v4, v4, v2, 2
	ds_bpermute_b32 v4, v4, v1
	v_cmp_lt_u32_e32 vcc, v6, v5
	v_add_u32_e32 v6, 8, v3
	s_waitcnt lgkmcnt(0)
	v_max_u32_e32 v4, v1, v4
	v_cndmask_b32_e32 v1, v1, v4, vcc
	v_cmp_gt_u32_e32 vcc, 56, v3
	v_cndmask_b32_e64 v4, 0, 1, vcc
	v_lshlrev_b32_e32 v4, 3, v4
	v_add_lshl_u32 v4, v4, v2, 2
	ds_bpermute_b32 v4, v4, v1
	;; [unrolled: 10-line block ×3, first 2 shown]
	v_cmp_lt_u32_e32 vcc, v6, v5
	s_waitcnt lgkmcnt(0)
	v_max_u32_e32 v4, v1, v4
	v_cndmask_b32_e32 v1, v1, v4, vcc
	v_cmp_gt_u32_e32 vcc, 32, v3
	v_cndmask_b32_e64 v4, 0, 1, vcc
	v_lshlrev_b32_e32 v4, 5, v4
	v_add_lshl_u32 v4, v4, v2, 2
	ds_bpermute_b32 v4, v4, v1
	v_add_u32_e32 v3, 32, v3
	v_cmp_lt_u32_e32 vcc, v3, v5
	s_waitcnt lgkmcnt(0)
	v_max_u32_e32 v4, v1, v4
	v_cndmask_b32_e32 v1, v1, v4, vcc
	v_cmp_eq_u32_e32 vcc, 0, v2
	s_and_saveexec_b64 s[0:1], vcc
	s_cbranch_execz .LBB416_90
; %bb.89:
	v_lshrrev_b32_e32 v3, 4, v0
	v_and_b32_e32 v3, 4, v3
	ds_write_b32 v3, v1 offset:48
.LBB416_90:
	s_or_b64 exec, exec, s[0:1]
	v_cmp_gt_u32_e32 vcc, 2, v0
	s_waitcnt lgkmcnt(0)
	s_barrier
	s_and_saveexec_b64 s[0:1], vcc
	s_cbranch_execz .LBB416_92
; %bb.91:
	v_lshlrev_b32_e32 v1, 2, v2
	ds_read_b32 v3, v1 offset:48
	v_or_b32_e32 v1, 4, v1
	s_add_i32 s2, s2, 63
	v_and_b32_e32 v2, 1, v2
	s_lshr_b32 s2, s2, 6
	s_waitcnt lgkmcnt(0)
	ds_bpermute_b32 v1, v1, v3
	v_add_u32_e32 v2, 1, v2
	v_cmp_gt_u32_e32 vcc, s2, v2
	s_waitcnt lgkmcnt(0)
	v_max_u32_e32 v1, v3, v1
	v_cndmask_b32_e32 v1, v3, v1, vcc
.LBB416_92:
	s_or_b64 exec, exec, s[0:1]
	v_cmp_eq_u32_e64 s[0:1], 0, v0
	s_and_b64 vcc, exec, s[66:67]
	s_cbranch_vccnz .LBB416_15
.LBB416_93:
	s_branch .LBB416_142
.LBB416_94:
	s_mov_b64 s[2:3], -1
                                        ; implicit-def: $vgpr1
.LBB416_95:
	s_and_b64 vcc, exec, s[2:3]
	s_cbranch_vccz .LBB416_133
; %bb.96:
	s_sub_i32 s38, s70, s0
	v_cmp_gt_u32_e32 vcc, s38, v0
                                        ; implicit-def: $vgpr2_vgpr3_vgpr4_vgpr5_vgpr6_vgpr7_vgpr8_vgpr9_vgpr10_vgpr11_vgpr12_vgpr13_vgpr14_vgpr15_vgpr16_vgpr17
	s_and_saveexec_b64 s[0:1], vcc
	s_cbranch_execz .LBB416_98
; %bb.97:
	v_lshlrev_b32_e32 v1, 2, v0
	global_load_dword v2, v1, s[34:35]
.LBB416_98:
	s_or_b64 exec, exec, s[0:1]
	v_or_b32_e32 v1, 0x80, v0
	v_cmp_gt_u32_e32 vcc, s38, v1
	s_and_saveexec_b64 s[0:1], vcc
	s_cbranch_execz .LBB416_100
; %bb.99:
	v_lshlrev_b32_e32 v1, 2, v0
	global_load_dword v3, v1, s[34:35] offset:512
.LBB416_100:
	s_or_b64 exec, exec, s[0:1]
	v_or_b32_e32 v1, 0x100, v0
	v_cmp_gt_u32_e64 s[0:1], s38, v1
	s_and_saveexec_b64 s[2:3], s[0:1]
	s_cbranch_execz .LBB416_102
; %bb.101:
	v_lshlrev_b32_e32 v1, 2, v0
	global_load_dword v4, v1, s[34:35] offset:1024
.LBB416_102:
	s_or_b64 exec, exec, s[2:3]
	v_or_b32_e32 v1, 0x180, v0
	v_cmp_gt_u32_e64 s[2:3], s38, v1
	s_and_saveexec_b64 s[8:9], s[2:3]
	;; [unrolled: 9-line block ×7, first 2 shown]
	s_cbranch_execz .LBB416_114
; %bb.113:
	v_lshlrev_b32_e32 v1, 2, v1
	global_load_dword v10, v1, s[34:35]
.LBB416_114:
	s_or_b64 exec, exec, s[18:19]
	v_or_b32_e32 v1, 0x480, v0
	v_cmp_gt_u32_e64 s[18:19], s38, v1
	s_and_saveexec_b64 s[20:21], s[18:19]
	s_cbranch_execz .LBB416_116
; %bb.115:
	v_lshlrev_b32_e32 v1, 2, v1
	global_load_dword v11, v1, s[34:35]
.LBB416_116:
	s_or_b64 exec, exec, s[20:21]
	v_or_b32_e32 v1, 0x500, v0
	v_cmp_gt_u32_e64 s[20:21], s38, v1
	s_and_saveexec_b64 s[22:23], s[20:21]
	;; [unrolled: 9-line block ×7, first 2 shown]
	s_cbranch_execz .LBB416_128
; %bb.127:
	v_lshlrev_b32_e32 v1, 2, v1
	global_load_dword v17, v1, s[34:35]
.LBB416_128:
	s_or_b64 exec, exec, s[36:37]
	s_waitcnt vmcnt(0)
	v_max_u32_e32 v1, v2, v3
	v_cndmask_b32_e32 v1, v2, v1, vcc
	v_max_u32_e32 v2, v1, v4
	v_cndmask_b32_e64 v1, v1, v2, s[0:1]
	v_max_u32_e32 v2, v1, v5
	v_cndmask_b32_e64 v1, v1, v2, s[2:3]
	;; [unrolled: 2-line block ×14, first 2 shown]
	v_mbcnt_lo_u32_b32 v2, -1, 0
	v_mbcnt_hi_u32_b32 v2, -1, v2
	v_and_b32_e32 v3, 63, v2
	v_cmp_ne_u32_e32 vcc, 63, v3
	v_addc_co_u32_e32 v4, vcc, 0, v2, vcc
	v_lshlrev_b32_e32 v4, 2, v4
	ds_bpermute_b32 v4, v4, v1
	s_min_u32 s2, s38, 0x80
	v_and_b32_e32 v5, 64, v0
	v_sub_u32_e64 v5, s2, v5 clamp
	v_add_u32_e32 v6, 1, v3
	s_waitcnt lgkmcnt(0)
	v_max_u32_e32 v4, v1, v4
	v_cmp_lt_u32_e32 vcc, v6, v5
	v_cndmask_b32_e32 v1, v1, v4, vcc
	v_cmp_gt_u32_e32 vcc, 62, v3
	v_cndmask_b32_e64 v4, 0, 1, vcc
	v_lshlrev_b32_e32 v4, 1, v4
	v_add_lshl_u32 v4, v4, v2, 2
	ds_bpermute_b32 v4, v4, v1
	v_add_u32_e32 v6, 2, v3
	v_cmp_lt_u32_e32 vcc, v6, v5
	v_add_u32_e32 v6, 4, v3
	s_waitcnt lgkmcnt(0)
	v_max_u32_e32 v4, v1, v4
	v_cndmask_b32_e32 v1, v1, v4, vcc
	v_cmp_gt_u32_e32 vcc, 60, v3
	v_cndmask_b32_e64 v4, 0, 1, vcc
	v_lshlrev_b32_e32 v4, 2, v4
	v_add_lshl_u32 v4, v4, v2, 2
	ds_bpermute_b32 v4, v4, v1
	v_cmp_lt_u32_e32 vcc, v6, v5
	v_add_u32_e32 v6, 8, v3
	s_waitcnt lgkmcnt(0)
	v_max_u32_e32 v4, v1, v4
	v_cndmask_b32_e32 v1, v1, v4, vcc
	v_cmp_gt_u32_e32 vcc, 56, v3
	v_cndmask_b32_e64 v4, 0, 1, vcc
	v_lshlrev_b32_e32 v4, 3, v4
	v_add_lshl_u32 v4, v4, v2, 2
	ds_bpermute_b32 v4, v4, v1
	;; [unrolled: 10-line block ×3, first 2 shown]
	v_cmp_lt_u32_e32 vcc, v6, v5
	s_waitcnt lgkmcnt(0)
	v_max_u32_e32 v4, v1, v4
	v_cndmask_b32_e32 v1, v1, v4, vcc
	v_cmp_gt_u32_e32 vcc, 32, v3
	v_cndmask_b32_e64 v4, 0, 1, vcc
	v_lshlrev_b32_e32 v4, 5, v4
	v_add_lshl_u32 v4, v4, v2, 2
	ds_bpermute_b32 v4, v4, v1
	v_add_u32_e32 v3, 32, v3
	v_cmp_lt_u32_e32 vcc, v3, v5
	s_waitcnt lgkmcnt(0)
	v_max_u32_e32 v4, v1, v4
	v_cndmask_b32_e32 v1, v1, v4, vcc
	v_cmp_eq_u32_e32 vcc, 0, v2
	s_and_saveexec_b64 s[0:1], vcc
	s_cbranch_execz .LBB416_130
; %bb.129:
	v_lshrrev_b32_e32 v3, 4, v0
	v_and_b32_e32 v3, 4, v3
	ds_write_b32 v3, v1 offset:48
.LBB416_130:
	s_or_b64 exec, exec, s[0:1]
	v_cmp_gt_u32_e32 vcc, 2, v0
	s_waitcnt lgkmcnt(0)
	s_barrier
	s_and_saveexec_b64 s[0:1], vcc
	s_cbranch_execz .LBB416_132
; %bb.131:
	v_lshlrev_b32_e32 v1, 2, v2
	ds_read_b32 v3, v1 offset:48
	v_or_b32_e32 v1, 4, v1
	s_add_i32 s2, s2, 63
	v_and_b32_e32 v2, 1, v2
	s_lshr_b32 s2, s2, 6
	s_waitcnt lgkmcnt(0)
	ds_bpermute_b32 v1, v1, v3
	v_add_u32_e32 v2, 1, v2
	v_cmp_gt_u32_e32 vcc, s2, v2
	s_waitcnt lgkmcnt(0)
	v_max_u32_e32 v1, v3, v1
	v_cndmask_b32_e32 v1, v3, v1, vcc
.LBB416_132:
	s_or_b64 exec, exec, s[0:1]
.LBB416_133:
	v_cmp_eq_u32_e64 s[0:1], 0, v0
	s_branch .LBB416_142
.LBB416_134:
	s_cmp_eq_u32 s33, 8
	s_cbranch_scc0 .LBB416_141
; %bb.135:
	s_mov_b32 s7, 0
	s_lshl_b32 s0, s6, 10
	s_mov_b32 s1, s7
	s_lshr_b64 s[2:3], s[70:71], 10
	s_lshl_b64 s[8:9], s[0:1], 2
	s_add_u32 s16, s68, s8
	s_addc_u32 s17, s69, s9
	s_cmp_lg_u64 s[2:3], s[6:7]
	s_cbranch_scc0 .LBB416_143
; %bb.136:
	v_lshlrev_b32_e32 v1, 2, v0
	global_load_dword v4, v1, s[16:17]
	global_load_dword v5, v1, s[16:17] offset:512
	global_load_dword v6, v1, s[16:17] offset:1024
	;; [unrolled: 1-line block ×7, first 2 shown]
	v_mbcnt_lo_u32_b32 v1, -1, 0
	v_mbcnt_hi_u32_b32 v2, -1, v1
	v_lshlrev_b32_e32 v3, 2, v2
	v_cmp_eq_u32_e32 vcc, 0, v2
	s_waitcnt vmcnt(6)
	v_max_u32_e32 v1, v4, v5
	v_or_b32_e32 v4, 0xfc, v3
	s_waitcnt vmcnt(4)
	v_max3_u32 v1, v1, v6, v7
	s_waitcnt vmcnt(2)
	v_max3_u32 v1, v1, v8, v9
	;; [unrolled: 2-line block ×3, first 2 shown]
	s_nop 1
	v_max_u32_dpp v1, v1, v1 quad_perm:[1,0,3,2] row_mask:0xf bank_mask:0xf bound_ctrl:1
	s_nop 1
	v_max_u32_dpp v1, v1, v1 quad_perm:[2,3,0,1] row_mask:0xf bank_mask:0xf bound_ctrl:1
	s_nop 1
	v_max_u32_dpp v1, v1, v1 row_ror:4 row_mask:0xf bank_mask:0xf bound_ctrl:1
	s_nop 1
	v_max_u32_dpp v1, v1, v1 row_ror:8 row_mask:0xf bank_mask:0xf bound_ctrl:1
	s_nop 1
	v_max_u32_dpp v1, v1, v1 row_bcast:15 row_mask:0xf bank_mask:0xf bound_ctrl:1
	s_nop 1
	v_max_u32_dpp v1, v1, v1 row_bcast:31 row_mask:0xf bank_mask:0xf bound_ctrl:1
	ds_bpermute_b32 v1, v4, v1
	s_and_saveexec_b64 s[2:3], vcc
	s_cbranch_execz .LBB416_138
; %bb.137:
	v_lshrrev_b32_e32 v4, 4, v0
	v_and_b32_e32 v4, 4, v4
	s_waitcnt lgkmcnt(0)
	ds_write_b32 v4, v1 offset:40
.LBB416_138:
	s_or_b64 exec, exec, s[2:3]
	v_cmp_gt_u32_e32 vcc, 64, v0
	s_waitcnt lgkmcnt(0)
	s_barrier
	s_and_saveexec_b64 s[2:3], vcc
	s_cbranch_execz .LBB416_140
; %bb.139:
	v_and_b32_e32 v1, 1, v2
	v_lshlrev_b32_e32 v1, 2, v1
	ds_read_b32 v1, v1 offset:40
	v_or_b32_e32 v2, 4, v3
	s_waitcnt lgkmcnt(0)
	ds_bpermute_b32 v2, v2, v1
	s_waitcnt lgkmcnt(0)
	v_max_u32_e32 v1, v1, v2
.LBB416_140:
	s_or_b64 exec, exec, s[2:3]
	s_branch .LBB416_165
.LBB416_141:
                                        ; implicit-def: $vgpr1
.LBB416_142:
	s_branch .LBB416_224
.LBB416_143:
                                        ; implicit-def: $vgpr1
	s_cbranch_execz .LBB416_165
; %bb.144:
	s_sub_i32 s20, s70, s0
	v_cmp_gt_u32_e32 vcc, s20, v0
                                        ; implicit-def: $vgpr2_vgpr3_vgpr4_vgpr5_vgpr6_vgpr7_vgpr8_vgpr9
	s_and_saveexec_b64 s[0:1], vcc
	s_cbranch_execz .LBB416_146
; %bb.145:
	v_lshlrev_b32_e32 v1, 2, v0
	global_load_dword v2, v1, s[16:17]
.LBB416_146:
	s_or_b64 exec, exec, s[0:1]
	v_or_b32_e32 v1, 0x80, v0
	v_cmp_gt_u32_e32 vcc, s20, v1
	s_and_saveexec_b64 s[0:1], vcc
	s_cbranch_execz .LBB416_148
; %bb.147:
	v_lshlrev_b32_e32 v1, 2, v0
	global_load_dword v3, v1, s[16:17] offset:512
.LBB416_148:
	s_or_b64 exec, exec, s[0:1]
	v_or_b32_e32 v1, 0x100, v0
	v_cmp_gt_u32_e64 s[0:1], s20, v1
	s_and_saveexec_b64 s[2:3], s[0:1]
	s_cbranch_execz .LBB416_150
; %bb.149:
	v_lshlrev_b32_e32 v1, 2, v0
	global_load_dword v4, v1, s[16:17] offset:1024
.LBB416_150:
	s_or_b64 exec, exec, s[2:3]
	v_or_b32_e32 v1, 0x180, v0
	v_cmp_gt_u32_e64 s[2:3], s20, v1
	s_and_saveexec_b64 s[8:9], s[2:3]
	;; [unrolled: 9-line block ×6, first 2 shown]
	s_cbranch_execz .LBB416_160
; %bb.159:
	v_lshlrev_b32_e32 v1, 2, v0
	global_load_dword v9, v1, s[16:17] offset:3584
.LBB416_160:
	s_or_b64 exec, exec, s[18:19]
	s_waitcnt vmcnt(0)
	v_max_u32_e32 v1, v2, v3
	v_cndmask_b32_e32 v1, v2, v1, vcc
	v_max_u32_e32 v2, v1, v4
	v_cndmask_b32_e64 v1, v1, v2, s[0:1]
	v_max_u32_e32 v2, v1, v5
	v_cndmask_b32_e64 v1, v1, v2, s[2:3]
	;; [unrolled: 2-line block ×6, first 2 shown]
	v_mbcnt_lo_u32_b32 v2, -1, 0
	v_mbcnt_hi_u32_b32 v2, -1, v2
	v_and_b32_e32 v3, 63, v2
	v_cmp_ne_u32_e32 vcc, 63, v3
	v_addc_co_u32_e32 v4, vcc, 0, v2, vcc
	v_lshlrev_b32_e32 v4, 2, v4
	ds_bpermute_b32 v4, v4, v1
	s_min_u32 s2, s20, 0x80
	v_and_b32_e32 v5, 64, v0
	v_sub_u32_e64 v5, s2, v5 clamp
	v_add_u32_e32 v6, 1, v3
	s_waitcnt lgkmcnt(0)
	v_max_u32_e32 v4, v1, v4
	v_cmp_lt_u32_e32 vcc, v6, v5
	v_cndmask_b32_e32 v1, v1, v4, vcc
	v_cmp_gt_u32_e32 vcc, 62, v3
	v_cndmask_b32_e64 v4, 0, 1, vcc
	v_lshlrev_b32_e32 v4, 1, v4
	v_add_lshl_u32 v4, v4, v2, 2
	ds_bpermute_b32 v4, v4, v1
	v_add_u32_e32 v6, 2, v3
	v_cmp_lt_u32_e32 vcc, v6, v5
	v_add_u32_e32 v6, 4, v3
	s_waitcnt lgkmcnt(0)
	v_max_u32_e32 v4, v1, v4
	v_cndmask_b32_e32 v1, v1, v4, vcc
	v_cmp_gt_u32_e32 vcc, 60, v3
	v_cndmask_b32_e64 v4, 0, 1, vcc
	v_lshlrev_b32_e32 v4, 2, v4
	v_add_lshl_u32 v4, v4, v2, 2
	ds_bpermute_b32 v4, v4, v1
	v_cmp_lt_u32_e32 vcc, v6, v5
	v_add_u32_e32 v6, 8, v3
	s_waitcnt lgkmcnt(0)
	v_max_u32_e32 v4, v1, v4
	v_cndmask_b32_e32 v1, v1, v4, vcc
	v_cmp_gt_u32_e32 vcc, 56, v3
	v_cndmask_b32_e64 v4, 0, 1, vcc
	v_lshlrev_b32_e32 v4, 3, v4
	v_add_lshl_u32 v4, v4, v2, 2
	ds_bpermute_b32 v4, v4, v1
	;; [unrolled: 10-line block ×3, first 2 shown]
	v_cmp_lt_u32_e32 vcc, v6, v5
	s_waitcnt lgkmcnt(0)
	v_max_u32_e32 v4, v1, v4
	v_cndmask_b32_e32 v1, v1, v4, vcc
	v_cmp_gt_u32_e32 vcc, 32, v3
	v_cndmask_b32_e64 v4, 0, 1, vcc
	v_lshlrev_b32_e32 v4, 5, v4
	v_add_lshl_u32 v4, v4, v2, 2
	ds_bpermute_b32 v4, v4, v1
	v_add_u32_e32 v3, 32, v3
	v_cmp_lt_u32_e32 vcc, v3, v5
	s_waitcnt lgkmcnt(0)
	v_max_u32_e32 v4, v1, v4
	v_cndmask_b32_e32 v1, v1, v4, vcc
	v_cmp_eq_u32_e32 vcc, 0, v2
	s_and_saveexec_b64 s[0:1], vcc
	s_cbranch_execz .LBB416_162
; %bb.161:
	v_lshrrev_b32_e32 v3, 4, v0
	v_and_b32_e32 v3, 4, v3
	ds_write_b32 v3, v1 offset:48
.LBB416_162:
	s_or_b64 exec, exec, s[0:1]
	v_cmp_gt_u32_e32 vcc, 2, v0
	s_waitcnt lgkmcnt(0)
	s_barrier
	s_and_saveexec_b64 s[0:1], vcc
	s_cbranch_execz .LBB416_164
; %bb.163:
	v_lshlrev_b32_e32 v1, 2, v2
	ds_read_b32 v3, v1 offset:48
	v_or_b32_e32 v1, 4, v1
	s_add_i32 s2, s2, 63
	v_and_b32_e32 v2, 1, v2
	s_lshr_b32 s2, s2, 6
	s_waitcnt lgkmcnt(0)
	ds_bpermute_b32 v1, v1, v3
	v_add_u32_e32 v2, 1, v2
	v_cmp_gt_u32_e32 vcc, s2, v2
	s_waitcnt lgkmcnt(0)
	v_max_u32_e32 v1, v3, v1
	v_cndmask_b32_e32 v1, v3, v1, vcc
.LBB416_164:
	s_or_b64 exec, exec, s[0:1]
.LBB416_165:
	v_cmp_eq_u32_e64 s[0:1], 0, v0
	s_branch .LBB416_224
.LBB416_166:
	s_cmp_gt_i32 s33, 1
	s_cbranch_scc0 .LBB416_175
; %bb.167:
	s_cmp_gt_i32 s33, 3
	s_cbranch_scc0 .LBB416_176
; %bb.168:
	s_cmp_eq_u32 s33, 4
	s_cbranch_scc0 .LBB416_177
; %bb.169:
	s_mov_b32 s7, 0
	s_lshl_b32 s0, s6, 9
	s_mov_b32 s1, s7
	s_lshr_b64 s[2:3], s[70:71], 9
	s_lshl_b64 s[8:9], s[0:1], 2
	s_add_u32 s8, s68, s8
	s_addc_u32 s9, s69, s9
	s_cmp_lg_u64 s[2:3], s[6:7]
	s_cbranch_scc0 .LBB416_179
; %bb.170:
	v_lshlrev_b32_e32 v1, 2, v0
	global_load_dword v4, v1, s[8:9]
	global_load_dword v5, v1, s[8:9] offset:512
	global_load_dword v6, v1, s[8:9] offset:1024
	;; [unrolled: 1-line block ×3, first 2 shown]
	v_mbcnt_lo_u32_b32 v1, -1, 0
	v_mbcnt_hi_u32_b32 v2, -1, v1
	v_lshlrev_b32_e32 v3, 2, v2
	v_cmp_eq_u32_e32 vcc, 0, v2
	s_waitcnt vmcnt(2)
	v_max_u32_e32 v1, v4, v5
	v_or_b32_e32 v4, 0xfc, v3
	s_waitcnt vmcnt(0)
	v_max3_u32 v1, v1, v6, v7
	s_nop 1
	v_max_u32_dpp v1, v1, v1 quad_perm:[1,0,3,2] row_mask:0xf bank_mask:0xf bound_ctrl:1
	s_nop 1
	v_max_u32_dpp v1, v1, v1 quad_perm:[2,3,0,1] row_mask:0xf bank_mask:0xf bound_ctrl:1
	s_nop 1
	v_max_u32_dpp v1, v1, v1 row_ror:4 row_mask:0xf bank_mask:0xf bound_ctrl:1
	s_nop 1
	v_max_u32_dpp v1, v1, v1 row_ror:8 row_mask:0xf bank_mask:0xf bound_ctrl:1
	s_nop 1
	v_max_u32_dpp v1, v1, v1 row_bcast:15 row_mask:0xf bank_mask:0xf bound_ctrl:1
	s_nop 1
	v_max_u32_dpp v1, v1, v1 row_bcast:31 row_mask:0xf bank_mask:0xf bound_ctrl:1
	ds_bpermute_b32 v1, v4, v1
	s_and_saveexec_b64 s[2:3], vcc
	s_cbranch_execz .LBB416_172
; %bb.171:
	v_lshrrev_b32_e32 v4, 4, v0
	v_and_b32_e32 v4, 4, v4
	s_waitcnt lgkmcnt(0)
	ds_write_b32 v4, v1 offset:32
.LBB416_172:
	s_or_b64 exec, exec, s[2:3]
	v_cmp_gt_u32_e32 vcc, 64, v0
	s_waitcnt lgkmcnt(0)
	s_barrier
	s_and_saveexec_b64 s[2:3], vcc
	s_cbranch_execz .LBB416_174
; %bb.173:
	v_and_b32_e32 v1, 1, v2
	v_lshlrev_b32_e32 v1, 2, v1
	ds_read_b32 v1, v1 offset:32
	v_or_b32_e32 v2, 4, v3
	s_waitcnt lgkmcnt(0)
	ds_bpermute_b32 v2, v2, v1
	s_waitcnt lgkmcnt(0)
	v_max_u32_e32 v1, v1, v2
.LBB416_174:
	s_or_b64 exec, exec, s[2:3]
	s_mov_b64 s[2:3], 0
	s_branch .LBB416_180
.LBB416_175:
                                        ; implicit-def: $vgpr1
	s_cbranch_execnz .LBB416_215
	s_branch .LBB416_224
.LBB416_176:
                                        ; implicit-def: $vgpr1
	s_cbranch_execz .LBB416_178
	s_branch .LBB416_195
.LBB416_177:
                                        ; implicit-def: $vgpr1
.LBB416_178:
	s_branch .LBB416_224
.LBB416_179:
	s_mov_b64 s[2:3], -1
                                        ; implicit-def: $vgpr1
.LBB416_180:
	s_and_b64 vcc, exec, s[2:3]
	s_cbranch_vccz .LBB416_194
; %bb.181:
	s_sub_i32 s12, s70, s0
	v_cmp_gt_u32_e32 vcc, s12, v0
                                        ; implicit-def: $vgpr2_vgpr3_vgpr4_vgpr5
	s_and_saveexec_b64 s[0:1], vcc
	s_cbranch_execz .LBB416_183
; %bb.182:
	v_lshlrev_b32_e32 v1, 2, v0
	global_load_dword v2, v1, s[8:9]
.LBB416_183:
	s_or_b64 exec, exec, s[0:1]
	v_or_b32_e32 v1, 0x80, v0
	v_cmp_gt_u32_e32 vcc, s12, v1
	s_and_saveexec_b64 s[0:1], vcc
	s_cbranch_execz .LBB416_185
; %bb.184:
	v_lshlrev_b32_e32 v1, 2, v0
	global_load_dword v3, v1, s[8:9] offset:512
.LBB416_185:
	s_or_b64 exec, exec, s[0:1]
	v_or_b32_e32 v1, 0x100, v0
	v_cmp_gt_u32_e64 s[0:1], s12, v1
	s_and_saveexec_b64 s[2:3], s[0:1]
	s_cbranch_execz .LBB416_187
; %bb.186:
	v_lshlrev_b32_e32 v1, 2, v0
	global_load_dword v4, v1, s[8:9] offset:1024
.LBB416_187:
	s_or_b64 exec, exec, s[2:3]
	v_or_b32_e32 v1, 0x180, v0
	v_cmp_gt_u32_e64 s[2:3], s12, v1
	s_and_saveexec_b64 s[10:11], s[2:3]
	s_cbranch_execz .LBB416_189
; %bb.188:
	v_lshlrev_b32_e32 v1, 2, v0
	global_load_dword v5, v1, s[8:9] offset:1536
.LBB416_189:
	s_or_b64 exec, exec, s[10:11]
	s_waitcnt vmcnt(0)
	v_max_u32_e32 v1, v2, v3
	v_cndmask_b32_e32 v1, v2, v1, vcc
	v_max_u32_e32 v2, v1, v4
	v_cndmask_b32_e64 v1, v1, v2, s[0:1]
	v_max_u32_e32 v2, v1, v5
	v_cndmask_b32_e64 v1, v1, v2, s[2:3]
	v_mbcnt_lo_u32_b32 v2, -1, 0
	v_mbcnt_hi_u32_b32 v2, -1, v2
	v_and_b32_e32 v3, 63, v2
	v_cmp_ne_u32_e32 vcc, 63, v3
	v_addc_co_u32_e32 v4, vcc, 0, v2, vcc
	v_lshlrev_b32_e32 v4, 2, v4
	ds_bpermute_b32 v4, v4, v1
	s_min_u32 s2, s12, 0x80
	v_and_b32_e32 v5, 64, v0
	v_sub_u32_e64 v5, s2, v5 clamp
	v_add_u32_e32 v6, 1, v3
	s_waitcnt lgkmcnt(0)
	v_max_u32_e32 v4, v1, v4
	v_cmp_lt_u32_e32 vcc, v6, v5
	v_cndmask_b32_e32 v1, v1, v4, vcc
	v_cmp_gt_u32_e32 vcc, 62, v3
	v_cndmask_b32_e64 v4, 0, 1, vcc
	v_lshlrev_b32_e32 v4, 1, v4
	v_add_lshl_u32 v4, v4, v2, 2
	ds_bpermute_b32 v4, v4, v1
	v_add_u32_e32 v6, 2, v3
	v_cmp_lt_u32_e32 vcc, v6, v5
	v_add_u32_e32 v6, 4, v3
	s_waitcnt lgkmcnt(0)
	v_max_u32_e32 v4, v1, v4
	v_cndmask_b32_e32 v1, v1, v4, vcc
	v_cmp_gt_u32_e32 vcc, 60, v3
	v_cndmask_b32_e64 v4, 0, 1, vcc
	v_lshlrev_b32_e32 v4, 2, v4
	v_add_lshl_u32 v4, v4, v2, 2
	ds_bpermute_b32 v4, v4, v1
	v_cmp_lt_u32_e32 vcc, v6, v5
	v_add_u32_e32 v6, 8, v3
	s_waitcnt lgkmcnt(0)
	v_max_u32_e32 v4, v1, v4
	v_cndmask_b32_e32 v1, v1, v4, vcc
	v_cmp_gt_u32_e32 vcc, 56, v3
	v_cndmask_b32_e64 v4, 0, 1, vcc
	v_lshlrev_b32_e32 v4, 3, v4
	v_add_lshl_u32 v4, v4, v2, 2
	ds_bpermute_b32 v4, v4, v1
	;; [unrolled: 10-line block ×3, first 2 shown]
	v_cmp_lt_u32_e32 vcc, v6, v5
	s_waitcnt lgkmcnt(0)
	v_max_u32_e32 v4, v1, v4
	v_cndmask_b32_e32 v1, v1, v4, vcc
	v_cmp_gt_u32_e32 vcc, 32, v3
	v_cndmask_b32_e64 v4, 0, 1, vcc
	v_lshlrev_b32_e32 v4, 5, v4
	v_add_lshl_u32 v4, v4, v2, 2
	ds_bpermute_b32 v4, v4, v1
	v_add_u32_e32 v3, 32, v3
	v_cmp_lt_u32_e32 vcc, v3, v5
	s_waitcnt lgkmcnt(0)
	v_max_u32_e32 v4, v1, v4
	v_cndmask_b32_e32 v1, v1, v4, vcc
	v_cmp_eq_u32_e32 vcc, 0, v2
	s_and_saveexec_b64 s[0:1], vcc
	s_cbranch_execz .LBB416_191
; %bb.190:
	v_lshrrev_b32_e32 v3, 4, v0
	v_and_b32_e32 v3, 4, v3
	ds_write_b32 v3, v1 offset:48
.LBB416_191:
	s_or_b64 exec, exec, s[0:1]
	v_cmp_gt_u32_e32 vcc, 2, v0
	s_waitcnt lgkmcnt(0)
	s_barrier
	s_and_saveexec_b64 s[0:1], vcc
	s_cbranch_execz .LBB416_193
; %bb.192:
	v_lshlrev_b32_e32 v1, 2, v2
	ds_read_b32 v3, v1 offset:48
	v_or_b32_e32 v1, 4, v1
	s_add_i32 s2, s2, 63
	v_and_b32_e32 v2, 1, v2
	s_lshr_b32 s2, s2, 6
	s_waitcnt lgkmcnt(0)
	ds_bpermute_b32 v1, v1, v3
	v_add_u32_e32 v2, 1, v2
	v_cmp_gt_u32_e32 vcc, s2, v2
	s_waitcnt lgkmcnt(0)
	v_max_u32_e32 v1, v3, v1
	v_cndmask_b32_e32 v1, v3, v1, vcc
.LBB416_193:
	s_or_b64 exec, exec, s[0:1]
.LBB416_194:
	v_cmp_eq_u32_e64 s[0:1], 0, v0
	s_branch .LBB416_178
.LBB416_195:
	s_cmp_eq_u32 s33, 2
	s_cbranch_scc0 .LBB416_202
; %bb.196:
	s_mov_b32 s7, 0
	s_lshl_b32 s2, s6, 8
	s_mov_b32 s3, s7
	s_lshr_b64 s[8:9], s[70:71], 8
	s_lshl_b64 s[0:1], s[2:3], 2
	s_add_u32 s0, s68, s0
	s_addc_u32 s1, s69, s1
	s_cmp_lg_u64 s[8:9], s[6:7]
	s_cbranch_scc0 .LBB416_203
; %bb.197:
	v_lshlrev_b32_e32 v1, 2, v0
	global_load_dword v4, v1, s[0:1]
	global_load_dword v5, v1, s[0:1] offset:512
	v_mbcnt_lo_u32_b32 v1, -1, 0
	v_mbcnt_hi_u32_b32 v2, -1, v1
	v_lshlrev_b32_e32 v3, 2, v2
	v_cmp_eq_u32_e32 vcc, 0, v2
	s_waitcnt vmcnt(0)
	v_max_u32_e32 v1, v4, v5
	s_nop 1
	v_max_u32_dpp v1, v1, v1 quad_perm:[1,0,3,2] row_mask:0xf bank_mask:0xf bound_ctrl:1
	v_or_b32_e32 v4, 0xfc, v3
	s_nop 0
	v_max_u32_dpp v1, v1, v1 quad_perm:[2,3,0,1] row_mask:0xf bank_mask:0xf bound_ctrl:1
	s_nop 1
	v_max_u32_dpp v1, v1, v1 row_ror:4 row_mask:0xf bank_mask:0xf bound_ctrl:1
	s_nop 1
	v_max_u32_dpp v1, v1, v1 row_ror:8 row_mask:0xf bank_mask:0xf bound_ctrl:1
	s_nop 1
	v_max_u32_dpp v1, v1, v1 row_bcast:15 row_mask:0xf bank_mask:0xf bound_ctrl:1
	s_nop 1
	v_max_u32_dpp v1, v1, v1 row_bcast:31 row_mask:0xf bank_mask:0xf bound_ctrl:1
	ds_bpermute_b32 v1, v4, v1
	s_and_saveexec_b64 s[8:9], vcc
	s_cbranch_execz .LBB416_199
; %bb.198:
	v_lshrrev_b32_e32 v4, 4, v0
	v_and_b32_e32 v4, 4, v4
	s_waitcnt lgkmcnt(0)
	ds_write_b32 v4, v1 offset:16
.LBB416_199:
	s_or_b64 exec, exec, s[8:9]
	v_cmp_gt_u32_e32 vcc, 64, v0
	s_waitcnt lgkmcnt(0)
	s_barrier
	s_and_saveexec_b64 s[8:9], vcc
	s_cbranch_execz .LBB416_201
; %bb.200:
	v_and_b32_e32 v1, 1, v2
	v_lshlrev_b32_e32 v1, 2, v1
	ds_read_b32 v1, v1 offset:16
	v_or_b32_e32 v2, 4, v3
	s_waitcnt lgkmcnt(0)
	ds_bpermute_b32 v2, v2, v1
	s_waitcnt lgkmcnt(0)
	v_max_u32_e32 v1, v1, v2
.LBB416_201:
	s_or_b64 exec, exec, s[8:9]
	s_mov_b64 s[8:9], 0
	s_branch .LBB416_204
.LBB416_202:
                                        ; implicit-def: $vgpr1
	s_branch .LBB416_224
.LBB416_203:
	s_mov_b64 s[8:9], -1
                                        ; implicit-def: $vgpr1
.LBB416_204:
	s_and_b64 vcc, exec, s[8:9]
	s_cbranch_vccz .LBB416_214
; %bb.205:
	s_sub_i32 s8, s70, s2
	v_cmp_gt_u32_e32 vcc, s8, v0
                                        ; implicit-def: $vgpr2_vgpr3
	s_and_saveexec_b64 s[2:3], vcc
	s_cbranch_execz .LBB416_207
; %bb.206:
	v_lshlrev_b32_e32 v1, 2, v0
	global_load_dword v2, v1, s[0:1]
.LBB416_207:
	s_or_b64 exec, exec, s[2:3]
	v_or_b32_e32 v1, 0x80, v0
	v_cmp_gt_u32_e32 vcc, s8, v1
	s_and_saveexec_b64 s[2:3], vcc
	s_cbranch_execz .LBB416_209
; %bb.208:
	v_lshlrev_b32_e32 v1, 2, v0
	global_load_dword v3, v1, s[0:1] offset:512
.LBB416_209:
	s_or_b64 exec, exec, s[2:3]
	s_waitcnt vmcnt(0)
	v_max_u32_e32 v1, v2, v3
	v_cndmask_b32_e32 v1, v2, v1, vcc
	v_mbcnt_lo_u32_b32 v2, -1, 0
	v_mbcnt_hi_u32_b32 v2, -1, v2
	v_and_b32_e32 v3, 63, v2
	v_cmp_ne_u32_e32 vcc, 63, v3
	v_addc_co_u32_e32 v4, vcc, 0, v2, vcc
	v_lshlrev_b32_e32 v4, 2, v4
	ds_bpermute_b32 v4, v4, v1
	s_min_u32 s2, s8, 0x80
	v_and_b32_e32 v5, 64, v0
	v_sub_u32_e64 v5, s2, v5 clamp
	v_add_u32_e32 v6, 1, v3
	s_waitcnt lgkmcnt(0)
	v_max_u32_e32 v4, v1, v4
	v_cmp_lt_u32_e32 vcc, v6, v5
	v_cndmask_b32_e32 v1, v1, v4, vcc
	v_cmp_gt_u32_e32 vcc, 62, v3
	v_cndmask_b32_e64 v4, 0, 1, vcc
	v_lshlrev_b32_e32 v4, 1, v4
	v_add_lshl_u32 v4, v4, v2, 2
	ds_bpermute_b32 v4, v4, v1
	v_add_u32_e32 v6, 2, v3
	v_cmp_lt_u32_e32 vcc, v6, v5
	v_add_u32_e32 v6, 4, v3
	s_waitcnt lgkmcnt(0)
	v_max_u32_e32 v4, v1, v4
	v_cndmask_b32_e32 v1, v1, v4, vcc
	v_cmp_gt_u32_e32 vcc, 60, v3
	v_cndmask_b32_e64 v4, 0, 1, vcc
	v_lshlrev_b32_e32 v4, 2, v4
	v_add_lshl_u32 v4, v4, v2, 2
	ds_bpermute_b32 v4, v4, v1
	v_cmp_lt_u32_e32 vcc, v6, v5
	v_add_u32_e32 v6, 8, v3
	s_waitcnt lgkmcnt(0)
	v_max_u32_e32 v4, v1, v4
	v_cndmask_b32_e32 v1, v1, v4, vcc
	v_cmp_gt_u32_e32 vcc, 56, v3
	v_cndmask_b32_e64 v4, 0, 1, vcc
	v_lshlrev_b32_e32 v4, 3, v4
	v_add_lshl_u32 v4, v4, v2, 2
	ds_bpermute_b32 v4, v4, v1
	;; [unrolled: 10-line block ×3, first 2 shown]
	v_cmp_lt_u32_e32 vcc, v6, v5
	s_waitcnt lgkmcnt(0)
	v_max_u32_e32 v4, v1, v4
	v_cndmask_b32_e32 v1, v1, v4, vcc
	v_cmp_gt_u32_e32 vcc, 32, v3
	v_cndmask_b32_e64 v4, 0, 1, vcc
	v_lshlrev_b32_e32 v4, 5, v4
	v_add_lshl_u32 v4, v4, v2, 2
	ds_bpermute_b32 v4, v4, v1
	v_add_u32_e32 v3, 32, v3
	v_cmp_lt_u32_e32 vcc, v3, v5
	s_waitcnt lgkmcnt(0)
	v_max_u32_e32 v4, v1, v4
	v_cndmask_b32_e32 v1, v1, v4, vcc
	v_cmp_eq_u32_e32 vcc, 0, v2
	s_and_saveexec_b64 s[0:1], vcc
	s_cbranch_execz .LBB416_211
; %bb.210:
	v_lshrrev_b32_e32 v3, 4, v0
	v_and_b32_e32 v3, 4, v3
	ds_write_b32 v3, v1 offset:48
.LBB416_211:
	s_or_b64 exec, exec, s[0:1]
	v_cmp_gt_u32_e32 vcc, 2, v0
	s_waitcnt lgkmcnt(0)
	s_barrier
	s_and_saveexec_b64 s[0:1], vcc
	s_cbranch_execz .LBB416_213
; %bb.212:
	v_lshlrev_b32_e32 v1, 2, v2
	ds_read_b32 v3, v1 offset:48
	v_or_b32_e32 v1, 4, v1
	s_add_i32 s2, s2, 63
	v_and_b32_e32 v2, 1, v2
	s_lshr_b32 s2, s2, 6
	s_waitcnt lgkmcnt(0)
	ds_bpermute_b32 v1, v1, v3
	v_add_u32_e32 v2, 1, v2
	v_cmp_gt_u32_e32 vcc, s2, v2
	s_waitcnt lgkmcnt(0)
	v_max_u32_e32 v1, v3, v1
	v_cndmask_b32_e32 v1, v3, v1, vcc
.LBB416_213:
	s_or_b64 exec, exec, s[0:1]
.LBB416_214:
	v_cmp_eq_u32_e64 s[0:1], 0, v0
	s_branch .LBB416_224
.LBB416_215:
	s_cmp_eq_u32 s33, 1
	s_cbranch_scc0 .LBB416_223
; %bb.216:
	s_mov_b32 s1, 0
	s_lshl_b32 s0, s6, 7
	s_mov_b32 s7, s1
	s_lshr_b64 s[2:3], s[70:71], 7
	s_cmp_lg_u64 s[2:3], s[6:7]
	v_mbcnt_lo_u32_b32 v2, -1, 0
	s_cbranch_scc0 .LBB416_227
; %bb.217:
	s_lshl_b64 s[2:3], s[0:1], 2
	s_add_u32 s2, s68, s2
	s_addc_u32 s3, s69, s3
	v_lshlrev_b32_e32 v1, 2, v0
	global_load_dword v1, v1, s[2:3]
	v_mbcnt_hi_u32_b32 v3, -1, v2
	v_lshlrev_b32_e32 v4, 2, v3
	v_or_b32_e32 v5, 0xfc, v4
	v_cmp_eq_u32_e32 vcc, 0, v3
	s_waitcnt vmcnt(0)
	v_max_u32_dpp v1, v1, v1 quad_perm:[1,0,3,2] row_mask:0xf bank_mask:0xf bound_ctrl:1
	s_nop 1
	v_max_u32_dpp v1, v1, v1 quad_perm:[2,3,0,1] row_mask:0xf bank_mask:0xf bound_ctrl:1
	s_nop 1
	v_max_u32_dpp v1, v1, v1 row_ror:4 row_mask:0xf bank_mask:0xf bound_ctrl:1
	s_nop 1
	v_max_u32_dpp v1, v1, v1 row_ror:8 row_mask:0xf bank_mask:0xf bound_ctrl:1
	s_nop 1
	v_max_u32_dpp v1, v1, v1 row_bcast:15 row_mask:0xf bank_mask:0xf bound_ctrl:1
	s_nop 1
	v_max_u32_dpp v1, v1, v1 row_bcast:31 row_mask:0xf bank_mask:0xf bound_ctrl:1
	ds_bpermute_b32 v1, v5, v1
	s_and_saveexec_b64 s[2:3], vcc
	s_cbranch_execz .LBB416_219
; %bb.218:
	v_lshrrev_b32_e32 v5, 4, v0
	v_and_b32_e32 v5, 4, v5
	s_waitcnt lgkmcnt(0)
	ds_write_b32 v5, v1 offset:8
.LBB416_219:
	s_or_b64 exec, exec, s[2:3]
	v_cmp_gt_u32_e32 vcc, 64, v0
	s_waitcnt lgkmcnt(0)
	s_barrier
	s_and_saveexec_b64 s[2:3], vcc
	s_cbranch_execz .LBB416_221
; %bb.220:
	v_and_b32_e32 v1, 1, v3
	v_lshlrev_b32_e32 v1, 2, v1
	ds_read_b32 v1, v1 offset:8
	v_or_b32_e32 v3, 4, v4
	s_waitcnt lgkmcnt(0)
	ds_bpermute_b32 v3, v3, v1
	s_waitcnt lgkmcnt(0)
	v_max_u32_e32 v1, v1, v3
.LBB416_221:
	s_or_b64 exec, exec, s[2:3]
.LBB416_222:
	v_cmp_eq_u32_e64 s[0:1], 0, v0
	s_and_saveexec_b64 s[2:3], s[0:1]
	s_cbranch_execnz .LBB416_225
	s_branch .LBB416_226
.LBB416_223:
                                        ; implicit-def: $vgpr1
                                        ; implicit-def: $sgpr6_sgpr7
.LBB416_224:
	s_and_saveexec_b64 s[2:3], s[0:1]
	s_cbranch_execz .LBB416_226
.LBB416_225:
	s_load_dwordx2 s[0:1], s[4:5], 0x18
	s_load_dword s8, s[4:5], 0x20
	s_lshl_b64 s[2:3], s[6:7], 2
	v_mov_b32_e32 v0, 0
	s_waitcnt lgkmcnt(0)
	s_add_u32 s0, s0, s2
	s_addc_u32 s1, s1, s3
	s_cmp_eq_u64 s[70:71], 0
	v_max_u32_e32 v1, s8, v1
	v_mov_b32_e32 v2, s8
	s_cselect_b64 vcc, -1, 0
	v_cndmask_b32_e32 v1, v1, v2, vcc
	global_store_dword v0, v1, s[0:1]
.LBB416_226:
	s_endpgm
.LBB416_227:
                                        ; implicit-def: $vgpr1
	s_cbranch_execz .LBB416_222
; %bb.228:
	s_sub_i32 s8, s70, s0
	v_cmp_gt_u32_e32 vcc, s8, v0
                                        ; implicit-def: $vgpr1
	s_and_saveexec_b64 s[2:3], vcc
	s_cbranch_execz .LBB416_230
; %bb.229:
	s_lshl_b64 s[0:1], s[0:1], 2
	s_add_u32 s0, s68, s0
	s_addc_u32 s1, s69, s1
	v_lshlrev_b32_e32 v1, 2, v0
	global_load_dword v1, v1, s[0:1]
.LBB416_230:
	s_or_b64 exec, exec, s[2:3]
	v_mbcnt_hi_u32_b32 v2, -1, v2
	v_and_b32_e32 v3, 63, v2
	v_cmp_ne_u32_e32 vcc, 63, v3
	v_addc_co_u32_e32 v4, vcc, 0, v2, vcc
	v_lshlrev_b32_e32 v4, 2, v4
	s_waitcnt vmcnt(0)
	ds_bpermute_b32 v4, v4, v1
	s_min_u32 s2, s8, 0x80
	v_and_b32_e32 v5, 64, v0
	v_sub_u32_e64 v5, s2, v5 clamp
	v_add_u32_e32 v6, 1, v3
	s_waitcnt lgkmcnt(0)
	v_max_u32_e32 v4, v1, v4
	v_cmp_lt_u32_e32 vcc, v6, v5
	v_cndmask_b32_e32 v1, v1, v4, vcc
	v_cmp_gt_u32_e32 vcc, 62, v3
	v_cndmask_b32_e64 v4, 0, 1, vcc
	v_lshlrev_b32_e32 v4, 1, v4
	v_add_lshl_u32 v4, v4, v2, 2
	ds_bpermute_b32 v4, v4, v1
	v_add_u32_e32 v6, 2, v3
	v_cmp_lt_u32_e32 vcc, v6, v5
	v_add_u32_e32 v6, 4, v3
	s_waitcnt lgkmcnt(0)
	v_max_u32_e32 v4, v1, v4
	v_cndmask_b32_e32 v1, v1, v4, vcc
	v_cmp_gt_u32_e32 vcc, 60, v3
	v_cndmask_b32_e64 v4, 0, 1, vcc
	v_lshlrev_b32_e32 v4, 2, v4
	v_add_lshl_u32 v4, v4, v2, 2
	ds_bpermute_b32 v4, v4, v1
	v_cmp_lt_u32_e32 vcc, v6, v5
	v_add_u32_e32 v6, 8, v3
	s_waitcnt lgkmcnt(0)
	v_max_u32_e32 v4, v1, v4
	v_cndmask_b32_e32 v1, v1, v4, vcc
	v_cmp_gt_u32_e32 vcc, 56, v3
	v_cndmask_b32_e64 v4, 0, 1, vcc
	v_lshlrev_b32_e32 v4, 3, v4
	v_add_lshl_u32 v4, v4, v2, 2
	ds_bpermute_b32 v4, v4, v1
	;; [unrolled: 10-line block ×3, first 2 shown]
	v_cmp_lt_u32_e32 vcc, v6, v5
	s_waitcnt lgkmcnt(0)
	v_max_u32_e32 v4, v1, v4
	v_cndmask_b32_e32 v1, v1, v4, vcc
	v_cmp_gt_u32_e32 vcc, 32, v3
	v_cndmask_b32_e64 v4, 0, 1, vcc
	v_lshlrev_b32_e32 v4, 5, v4
	v_add_lshl_u32 v4, v4, v2, 2
	ds_bpermute_b32 v4, v4, v1
	v_add_u32_e32 v3, 32, v3
	v_cmp_lt_u32_e32 vcc, v3, v5
	s_waitcnt lgkmcnt(0)
	v_max_u32_e32 v4, v1, v4
	v_cndmask_b32_e32 v1, v1, v4, vcc
	v_cmp_eq_u32_e32 vcc, 0, v2
	s_and_saveexec_b64 s[0:1], vcc
	s_cbranch_execz .LBB416_232
; %bb.231:
	v_lshrrev_b32_e32 v3, 4, v0
	v_and_b32_e32 v3, 4, v3
	ds_write_b32 v3, v1 offset:48
.LBB416_232:
	s_or_b64 exec, exec, s[0:1]
	v_cmp_gt_u32_e32 vcc, 2, v0
	s_waitcnt lgkmcnt(0)
	s_barrier
	s_and_saveexec_b64 s[0:1], vcc
	s_cbranch_execz .LBB416_234
; %bb.233:
	v_lshlrev_b32_e32 v1, 2, v2
	ds_read_b32 v3, v1 offset:48
	v_or_b32_e32 v1, 4, v1
	s_add_i32 s2, s2, 63
	v_and_b32_e32 v2, 1, v2
	s_lshr_b32 s2, s2, 6
	s_waitcnt lgkmcnt(0)
	ds_bpermute_b32 v1, v1, v3
	v_add_u32_e32 v2, 1, v2
	v_cmp_gt_u32_e32 vcc, s2, v2
	s_waitcnt lgkmcnt(0)
	v_max_u32_e32 v1, v3, v1
	v_cndmask_b32_e32 v1, v3, v1, vcc
.LBB416_234:
	s_or_b64 exec, exec, s[0:1]
	v_cmp_eq_u32_e64 s[0:1], 0, v0
	s_and_saveexec_b64 s[2:3], s[0:1]
	s_cbranch_execnz .LBB416_225
	s_branch .LBB416_226
	.section	.rodata,"a",@progbits
	.p2align	6, 0x0
	.amdhsa_kernel _ZN7rocprim17ROCPRIM_400000_NS6detail17trampoline_kernelINS0_14default_configENS1_22reduce_config_selectorIjEEZNS1_11reduce_implILb1ES3_PjPiiN6thrust23THRUST_200600_302600_NS7maximumIjEEEE10hipError_tPvRmT1_T2_T3_mT4_P12ihipStream_tbEUlT_E1_NS1_11comp_targetILNS1_3genE4ELNS1_11target_archE910ELNS1_3gpuE8ELNS1_3repE0EEENS1_30default_config_static_selectorELNS0_4arch9wavefront6targetE1EEEvSG_
		.amdhsa_group_segment_fixed_size 56
		.amdhsa_private_segment_fixed_size 0
		.amdhsa_kernarg_size 40
		.amdhsa_user_sgpr_count 6
		.amdhsa_user_sgpr_private_segment_buffer 1
		.amdhsa_user_sgpr_dispatch_ptr 0
		.amdhsa_user_sgpr_queue_ptr 0
		.amdhsa_user_sgpr_kernarg_segment_ptr 1
		.amdhsa_user_sgpr_dispatch_id 0
		.amdhsa_user_sgpr_flat_scratch_init 0
		.amdhsa_user_sgpr_kernarg_preload_length 0
		.amdhsa_user_sgpr_kernarg_preload_offset 0
		.amdhsa_user_sgpr_private_segment_size 0
		.amdhsa_uses_dynamic_stack 0
		.amdhsa_system_sgpr_private_segment_wavefront_offset 0
		.amdhsa_system_sgpr_workgroup_id_x 1
		.amdhsa_system_sgpr_workgroup_id_y 0
		.amdhsa_system_sgpr_workgroup_id_z 0
		.amdhsa_system_sgpr_workgroup_info 0
		.amdhsa_system_vgpr_workitem_id 0
		.amdhsa_next_free_vgpr 35
		.amdhsa_next_free_sgpr 77
		.amdhsa_accum_offset 36
		.amdhsa_reserve_vcc 1
		.amdhsa_reserve_flat_scratch 0
		.amdhsa_float_round_mode_32 0
		.amdhsa_float_round_mode_16_64 0
		.amdhsa_float_denorm_mode_32 3
		.amdhsa_float_denorm_mode_16_64 3
		.amdhsa_dx10_clamp 1
		.amdhsa_ieee_mode 1
		.amdhsa_fp16_overflow 0
		.amdhsa_tg_split 0
		.amdhsa_exception_fp_ieee_invalid_op 0
		.amdhsa_exception_fp_denorm_src 0
		.amdhsa_exception_fp_ieee_div_zero 0
		.amdhsa_exception_fp_ieee_overflow 0
		.amdhsa_exception_fp_ieee_underflow 0
		.amdhsa_exception_fp_ieee_inexact 0
		.amdhsa_exception_int_div_zero 0
	.end_amdhsa_kernel
	.section	.text._ZN7rocprim17ROCPRIM_400000_NS6detail17trampoline_kernelINS0_14default_configENS1_22reduce_config_selectorIjEEZNS1_11reduce_implILb1ES3_PjPiiN6thrust23THRUST_200600_302600_NS7maximumIjEEEE10hipError_tPvRmT1_T2_T3_mT4_P12ihipStream_tbEUlT_E1_NS1_11comp_targetILNS1_3genE4ELNS1_11target_archE910ELNS1_3gpuE8ELNS1_3repE0EEENS1_30default_config_static_selectorELNS0_4arch9wavefront6targetE1EEEvSG_,"axG",@progbits,_ZN7rocprim17ROCPRIM_400000_NS6detail17trampoline_kernelINS0_14default_configENS1_22reduce_config_selectorIjEEZNS1_11reduce_implILb1ES3_PjPiiN6thrust23THRUST_200600_302600_NS7maximumIjEEEE10hipError_tPvRmT1_T2_T3_mT4_P12ihipStream_tbEUlT_E1_NS1_11comp_targetILNS1_3genE4ELNS1_11target_archE910ELNS1_3gpuE8ELNS1_3repE0EEENS1_30default_config_static_selectorELNS0_4arch9wavefront6targetE1EEEvSG_,comdat
.Lfunc_end416:
	.size	_ZN7rocprim17ROCPRIM_400000_NS6detail17trampoline_kernelINS0_14default_configENS1_22reduce_config_selectorIjEEZNS1_11reduce_implILb1ES3_PjPiiN6thrust23THRUST_200600_302600_NS7maximumIjEEEE10hipError_tPvRmT1_T2_T3_mT4_P12ihipStream_tbEUlT_E1_NS1_11comp_targetILNS1_3genE4ELNS1_11target_archE910ELNS1_3gpuE8ELNS1_3repE0EEENS1_30default_config_static_selectorELNS0_4arch9wavefront6targetE1EEEvSG_, .Lfunc_end416-_ZN7rocprim17ROCPRIM_400000_NS6detail17trampoline_kernelINS0_14default_configENS1_22reduce_config_selectorIjEEZNS1_11reduce_implILb1ES3_PjPiiN6thrust23THRUST_200600_302600_NS7maximumIjEEEE10hipError_tPvRmT1_T2_T3_mT4_P12ihipStream_tbEUlT_E1_NS1_11comp_targetILNS1_3genE4ELNS1_11target_archE910ELNS1_3gpuE8ELNS1_3repE0EEENS1_30default_config_static_selectorELNS0_4arch9wavefront6targetE1EEEvSG_
                                        ; -- End function
	.section	.AMDGPU.csdata,"",@progbits
; Kernel info:
; codeLenInByte = 8760
; NumSgprs: 81
; NumVgprs: 35
; NumAgprs: 0
; TotalNumVgprs: 35
; ScratchSize: 0
; MemoryBound: 0
; FloatMode: 240
; IeeeMode: 1
; LDSByteSize: 56 bytes/workgroup (compile time only)
; SGPRBlocks: 10
; VGPRBlocks: 4
; NumSGPRsForWavesPerEU: 81
; NumVGPRsForWavesPerEU: 35
; AccumOffset: 36
; Occupancy: 8
; WaveLimiterHint : 1
; COMPUTE_PGM_RSRC2:SCRATCH_EN: 0
; COMPUTE_PGM_RSRC2:USER_SGPR: 6
; COMPUTE_PGM_RSRC2:TRAP_HANDLER: 0
; COMPUTE_PGM_RSRC2:TGID_X_EN: 1
; COMPUTE_PGM_RSRC2:TGID_Y_EN: 0
; COMPUTE_PGM_RSRC2:TGID_Z_EN: 0
; COMPUTE_PGM_RSRC2:TIDIG_COMP_CNT: 0
; COMPUTE_PGM_RSRC3_GFX90A:ACCUM_OFFSET: 8
; COMPUTE_PGM_RSRC3_GFX90A:TG_SPLIT: 0
	.section	.text._ZN7rocprim17ROCPRIM_400000_NS6detail17trampoline_kernelINS0_14default_configENS1_22reduce_config_selectorIjEEZNS1_11reduce_implILb1ES3_PjPiiN6thrust23THRUST_200600_302600_NS7maximumIjEEEE10hipError_tPvRmT1_T2_T3_mT4_P12ihipStream_tbEUlT_E1_NS1_11comp_targetILNS1_3genE3ELNS1_11target_archE908ELNS1_3gpuE7ELNS1_3repE0EEENS1_30default_config_static_selectorELNS0_4arch9wavefront6targetE1EEEvSG_,"axG",@progbits,_ZN7rocprim17ROCPRIM_400000_NS6detail17trampoline_kernelINS0_14default_configENS1_22reduce_config_selectorIjEEZNS1_11reduce_implILb1ES3_PjPiiN6thrust23THRUST_200600_302600_NS7maximumIjEEEE10hipError_tPvRmT1_T2_T3_mT4_P12ihipStream_tbEUlT_E1_NS1_11comp_targetILNS1_3genE3ELNS1_11target_archE908ELNS1_3gpuE7ELNS1_3repE0EEENS1_30default_config_static_selectorELNS0_4arch9wavefront6targetE1EEEvSG_,comdat
	.protected	_ZN7rocprim17ROCPRIM_400000_NS6detail17trampoline_kernelINS0_14default_configENS1_22reduce_config_selectorIjEEZNS1_11reduce_implILb1ES3_PjPiiN6thrust23THRUST_200600_302600_NS7maximumIjEEEE10hipError_tPvRmT1_T2_T3_mT4_P12ihipStream_tbEUlT_E1_NS1_11comp_targetILNS1_3genE3ELNS1_11target_archE908ELNS1_3gpuE7ELNS1_3repE0EEENS1_30default_config_static_selectorELNS0_4arch9wavefront6targetE1EEEvSG_ ; -- Begin function _ZN7rocprim17ROCPRIM_400000_NS6detail17trampoline_kernelINS0_14default_configENS1_22reduce_config_selectorIjEEZNS1_11reduce_implILb1ES3_PjPiiN6thrust23THRUST_200600_302600_NS7maximumIjEEEE10hipError_tPvRmT1_T2_T3_mT4_P12ihipStream_tbEUlT_E1_NS1_11comp_targetILNS1_3genE3ELNS1_11target_archE908ELNS1_3gpuE7ELNS1_3repE0EEENS1_30default_config_static_selectorELNS0_4arch9wavefront6targetE1EEEvSG_
	.globl	_ZN7rocprim17ROCPRIM_400000_NS6detail17trampoline_kernelINS0_14default_configENS1_22reduce_config_selectorIjEEZNS1_11reduce_implILb1ES3_PjPiiN6thrust23THRUST_200600_302600_NS7maximumIjEEEE10hipError_tPvRmT1_T2_T3_mT4_P12ihipStream_tbEUlT_E1_NS1_11comp_targetILNS1_3genE3ELNS1_11target_archE908ELNS1_3gpuE7ELNS1_3repE0EEENS1_30default_config_static_selectorELNS0_4arch9wavefront6targetE1EEEvSG_
	.p2align	8
	.type	_ZN7rocprim17ROCPRIM_400000_NS6detail17trampoline_kernelINS0_14default_configENS1_22reduce_config_selectorIjEEZNS1_11reduce_implILb1ES3_PjPiiN6thrust23THRUST_200600_302600_NS7maximumIjEEEE10hipError_tPvRmT1_T2_T3_mT4_P12ihipStream_tbEUlT_E1_NS1_11comp_targetILNS1_3genE3ELNS1_11target_archE908ELNS1_3gpuE7ELNS1_3repE0EEENS1_30default_config_static_selectorELNS0_4arch9wavefront6targetE1EEEvSG_,@function
_ZN7rocprim17ROCPRIM_400000_NS6detail17trampoline_kernelINS0_14default_configENS1_22reduce_config_selectorIjEEZNS1_11reduce_implILb1ES3_PjPiiN6thrust23THRUST_200600_302600_NS7maximumIjEEEE10hipError_tPvRmT1_T2_T3_mT4_P12ihipStream_tbEUlT_E1_NS1_11comp_targetILNS1_3genE3ELNS1_11target_archE908ELNS1_3gpuE7ELNS1_3repE0EEENS1_30default_config_static_selectorELNS0_4arch9wavefront6targetE1EEEvSG_: ; @_ZN7rocprim17ROCPRIM_400000_NS6detail17trampoline_kernelINS0_14default_configENS1_22reduce_config_selectorIjEEZNS1_11reduce_implILb1ES3_PjPiiN6thrust23THRUST_200600_302600_NS7maximumIjEEEE10hipError_tPvRmT1_T2_T3_mT4_P12ihipStream_tbEUlT_E1_NS1_11comp_targetILNS1_3genE3ELNS1_11target_archE908ELNS1_3gpuE7ELNS1_3repE0EEENS1_30default_config_static_selectorELNS0_4arch9wavefront6targetE1EEEvSG_
; %bb.0:
	.section	.rodata,"a",@progbits
	.p2align	6, 0x0
	.amdhsa_kernel _ZN7rocprim17ROCPRIM_400000_NS6detail17trampoline_kernelINS0_14default_configENS1_22reduce_config_selectorIjEEZNS1_11reduce_implILb1ES3_PjPiiN6thrust23THRUST_200600_302600_NS7maximumIjEEEE10hipError_tPvRmT1_T2_T3_mT4_P12ihipStream_tbEUlT_E1_NS1_11comp_targetILNS1_3genE3ELNS1_11target_archE908ELNS1_3gpuE7ELNS1_3repE0EEENS1_30default_config_static_selectorELNS0_4arch9wavefront6targetE1EEEvSG_
		.amdhsa_group_segment_fixed_size 0
		.amdhsa_private_segment_fixed_size 0
		.amdhsa_kernarg_size 40
		.amdhsa_user_sgpr_count 6
		.amdhsa_user_sgpr_private_segment_buffer 1
		.amdhsa_user_sgpr_dispatch_ptr 0
		.amdhsa_user_sgpr_queue_ptr 0
		.amdhsa_user_sgpr_kernarg_segment_ptr 1
		.amdhsa_user_sgpr_dispatch_id 0
		.amdhsa_user_sgpr_flat_scratch_init 0
		.amdhsa_user_sgpr_kernarg_preload_length 0
		.amdhsa_user_sgpr_kernarg_preload_offset 0
		.amdhsa_user_sgpr_private_segment_size 0
		.amdhsa_uses_dynamic_stack 0
		.amdhsa_system_sgpr_private_segment_wavefront_offset 0
		.amdhsa_system_sgpr_workgroup_id_x 1
		.amdhsa_system_sgpr_workgroup_id_y 0
		.amdhsa_system_sgpr_workgroup_id_z 0
		.amdhsa_system_sgpr_workgroup_info 0
		.amdhsa_system_vgpr_workitem_id 0
		.amdhsa_next_free_vgpr 1
		.amdhsa_next_free_sgpr 0
		.amdhsa_accum_offset 4
		.amdhsa_reserve_vcc 0
		.amdhsa_reserve_flat_scratch 0
		.amdhsa_float_round_mode_32 0
		.amdhsa_float_round_mode_16_64 0
		.amdhsa_float_denorm_mode_32 3
		.amdhsa_float_denorm_mode_16_64 3
		.amdhsa_dx10_clamp 1
		.amdhsa_ieee_mode 1
		.amdhsa_fp16_overflow 0
		.amdhsa_tg_split 0
		.amdhsa_exception_fp_ieee_invalid_op 0
		.amdhsa_exception_fp_denorm_src 0
		.amdhsa_exception_fp_ieee_div_zero 0
		.amdhsa_exception_fp_ieee_overflow 0
		.amdhsa_exception_fp_ieee_underflow 0
		.amdhsa_exception_fp_ieee_inexact 0
		.amdhsa_exception_int_div_zero 0
	.end_amdhsa_kernel
	.section	.text._ZN7rocprim17ROCPRIM_400000_NS6detail17trampoline_kernelINS0_14default_configENS1_22reduce_config_selectorIjEEZNS1_11reduce_implILb1ES3_PjPiiN6thrust23THRUST_200600_302600_NS7maximumIjEEEE10hipError_tPvRmT1_T2_T3_mT4_P12ihipStream_tbEUlT_E1_NS1_11comp_targetILNS1_3genE3ELNS1_11target_archE908ELNS1_3gpuE7ELNS1_3repE0EEENS1_30default_config_static_selectorELNS0_4arch9wavefront6targetE1EEEvSG_,"axG",@progbits,_ZN7rocprim17ROCPRIM_400000_NS6detail17trampoline_kernelINS0_14default_configENS1_22reduce_config_selectorIjEEZNS1_11reduce_implILb1ES3_PjPiiN6thrust23THRUST_200600_302600_NS7maximumIjEEEE10hipError_tPvRmT1_T2_T3_mT4_P12ihipStream_tbEUlT_E1_NS1_11comp_targetILNS1_3genE3ELNS1_11target_archE908ELNS1_3gpuE7ELNS1_3repE0EEENS1_30default_config_static_selectorELNS0_4arch9wavefront6targetE1EEEvSG_,comdat
.Lfunc_end417:
	.size	_ZN7rocprim17ROCPRIM_400000_NS6detail17trampoline_kernelINS0_14default_configENS1_22reduce_config_selectorIjEEZNS1_11reduce_implILb1ES3_PjPiiN6thrust23THRUST_200600_302600_NS7maximumIjEEEE10hipError_tPvRmT1_T2_T3_mT4_P12ihipStream_tbEUlT_E1_NS1_11comp_targetILNS1_3genE3ELNS1_11target_archE908ELNS1_3gpuE7ELNS1_3repE0EEENS1_30default_config_static_selectorELNS0_4arch9wavefront6targetE1EEEvSG_, .Lfunc_end417-_ZN7rocprim17ROCPRIM_400000_NS6detail17trampoline_kernelINS0_14default_configENS1_22reduce_config_selectorIjEEZNS1_11reduce_implILb1ES3_PjPiiN6thrust23THRUST_200600_302600_NS7maximumIjEEEE10hipError_tPvRmT1_T2_T3_mT4_P12ihipStream_tbEUlT_E1_NS1_11comp_targetILNS1_3genE3ELNS1_11target_archE908ELNS1_3gpuE7ELNS1_3repE0EEENS1_30default_config_static_selectorELNS0_4arch9wavefront6targetE1EEEvSG_
                                        ; -- End function
	.section	.AMDGPU.csdata,"",@progbits
; Kernel info:
; codeLenInByte = 0
; NumSgprs: 4
; NumVgprs: 0
; NumAgprs: 0
; TotalNumVgprs: 0
; ScratchSize: 0
; MemoryBound: 0
; FloatMode: 240
; IeeeMode: 1
; LDSByteSize: 0 bytes/workgroup (compile time only)
; SGPRBlocks: 0
; VGPRBlocks: 0
; NumSGPRsForWavesPerEU: 4
; NumVGPRsForWavesPerEU: 1
; AccumOffset: 4
; Occupancy: 8
; WaveLimiterHint : 0
; COMPUTE_PGM_RSRC2:SCRATCH_EN: 0
; COMPUTE_PGM_RSRC2:USER_SGPR: 6
; COMPUTE_PGM_RSRC2:TRAP_HANDLER: 0
; COMPUTE_PGM_RSRC2:TGID_X_EN: 1
; COMPUTE_PGM_RSRC2:TGID_Y_EN: 0
; COMPUTE_PGM_RSRC2:TGID_Z_EN: 0
; COMPUTE_PGM_RSRC2:TIDIG_COMP_CNT: 0
; COMPUTE_PGM_RSRC3_GFX90A:ACCUM_OFFSET: 0
; COMPUTE_PGM_RSRC3_GFX90A:TG_SPLIT: 0
	.section	.text._ZN7rocprim17ROCPRIM_400000_NS6detail17trampoline_kernelINS0_14default_configENS1_22reduce_config_selectorIjEEZNS1_11reduce_implILb1ES3_PjPiiN6thrust23THRUST_200600_302600_NS7maximumIjEEEE10hipError_tPvRmT1_T2_T3_mT4_P12ihipStream_tbEUlT_E1_NS1_11comp_targetILNS1_3genE2ELNS1_11target_archE906ELNS1_3gpuE6ELNS1_3repE0EEENS1_30default_config_static_selectorELNS0_4arch9wavefront6targetE1EEEvSG_,"axG",@progbits,_ZN7rocprim17ROCPRIM_400000_NS6detail17trampoline_kernelINS0_14default_configENS1_22reduce_config_selectorIjEEZNS1_11reduce_implILb1ES3_PjPiiN6thrust23THRUST_200600_302600_NS7maximumIjEEEE10hipError_tPvRmT1_T2_T3_mT4_P12ihipStream_tbEUlT_E1_NS1_11comp_targetILNS1_3genE2ELNS1_11target_archE906ELNS1_3gpuE6ELNS1_3repE0EEENS1_30default_config_static_selectorELNS0_4arch9wavefront6targetE1EEEvSG_,comdat
	.protected	_ZN7rocprim17ROCPRIM_400000_NS6detail17trampoline_kernelINS0_14default_configENS1_22reduce_config_selectorIjEEZNS1_11reduce_implILb1ES3_PjPiiN6thrust23THRUST_200600_302600_NS7maximumIjEEEE10hipError_tPvRmT1_T2_T3_mT4_P12ihipStream_tbEUlT_E1_NS1_11comp_targetILNS1_3genE2ELNS1_11target_archE906ELNS1_3gpuE6ELNS1_3repE0EEENS1_30default_config_static_selectorELNS0_4arch9wavefront6targetE1EEEvSG_ ; -- Begin function _ZN7rocprim17ROCPRIM_400000_NS6detail17trampoline_kernelINS0_14default_configENS1_22reduce_config_selectorIjEEZNS1_11reduce_implILb1ES3_PjPiiN6thrust23THRUST_200600_302600_NS7maximumIjEEEE10hipError_tPvRmT1_T2_T3_mT4_P12ihipStream_tbEUlT_E1_NS1_11comp_targetILNS1_3genE2ELNS1_11target_archE906ELNS1_3gpuE6ELNS1_3repE0EEENS1_30default_config_static_selectorELNS0_4arch9wavefront6targetE1EEEvSG_
	.globl	_ZN7rocprim17ROCPRIM_400000_NS6detail17trampoline_kernelINS0_14default_configENS1_22reduce_config_selectorIjEEZNS1_11reduce_implILb1ES3_PjPiiN6thrust23THRUST_200600_302600_NS7maximumIjEEEE10hipError_tPvRmT1_T2_T3_mT4_P12ihipStream_tbEUlT_E1_NS1_11comp_targetILNS1_3genE2ELNS1_11target_archE906ELNS1_3gpuE6ELNS1_3repE0EEENS1_30default_config_static_selectorELNS0_4arch9wavefront6targetE1EEEvSG_
	.p2align	8
	.type	_ZN7rocprim17ROCPRIM_400000_NS6detail17trampoline_kernelINS0_14default_configENS1_22reduce_config_selectorIjEEZNS1_11reduce_implILb1ES3_PjPiiN6thrust23THRUST_200600_302600_NS7maximumIjEEEE10hipError_tPvRmT1_T2_T3_mT4_P12ihipStream_tbEUlT_E1_NS1_11comp_targetILNS1_3genE2ELNS1_11target_archE906ELNS1_3gpuE6ELNS1_3repE0EEENS1_30default_config_static_selectorELNS0_4arch9wavefront6targetE1EEEvSG_,@function
_ZN7rocprim17ROCPRIM_400000_NS6detail17trampoline_kernelINS0_14default_configENS1_22reduce_config_selectorIjEEZNS1_11reduce_implILb1ES3_PjPiiN6thrust23THRUST_200600_302600_NS7maximumIjEEEE10hipError_tPvRmT1_T2_T3_mT4_P12ihipStream_tbEUlT_E1_NS1_11comp_targetILNS1_3genE2ELNS1_11target_archE906ELNS1_3gpuE6ELNS1_3repE0EEENS1_30default_config_static_selectorELNS0_4arch9wavefront6targetE1EEEvSG_: ; @_ZN7rocprim17ROCPRIM_400000_NS6detail17trampoline_kernelINS0_14default_configENS1_22reduce_config_selectorIjEEZNS1_11reduce_implILb1ES3_PjPiiN6thrust23THRUST_200600_302600_NS7maximumIjEEEE10hipError_tPvRmT1_T2_T3_mT4_P12ihipStream_tbEUlT_E1_NS1_11comp_targetILNS1_3genE2ELNS1_11target_archE906ELNS1_3gpuE6ELNS1_3repE0EEENS1_30default_config_static_selectorELNS0_4arch9wavefront6targetE1EEEvSG_
; %bb.0:
	.section	.rodata,"a",@progbits
	.p2align	6, 0x0
	.amdhsa_kernel _ZN7rocprim17ROCPRIM_400000_NS6detail17trampoline_kernelINS0_14default_configENS1_22reduce_config_selectorIjEEZNS1_11reduce_implILb1ES3_PjPiiN6thrust23THRUST_200600_302600_NS7maximumIjEEEE10hipError_tPvRmT1_T2_T3_mT4_P12ihipStream_tbEUlT_E1_NS1_11comp_targetILNS1_3genE2ELNS1_11target_archE906ELNS1_3gpuE6ELNS1_3repE0EEENS1_30default_config_static_selectorELNS0_4arch9wavefront6targetE1EEEvSG_
		.amdhsa_group_segment_fixed_size 0
		.amdhsa_private_segment_fixed_size 0
		.amdhsa_kernarg_size 40
		.amdhsa_user_sgpr_count 6
		.amdhsa_user_sgpr_private_segment_buffer 1
		.amdhsa_user_sgpr_dispatch_ptr 0
		.amdhsa_user_sgpr_queue_ptr 0
		.amdhsa_user_sgpr_kernarg_segment_ptr 1
		.amdhsa_user_sgpr_dispatch_id 0
		.amdhsa_user_sgpr_flat_scratch_init 0
		.amdhsa_user_sgpr_kernarg_preload_length 0
		.amdhsa_user_sgpr_kernarg_preload_offset 0
		.amdhsa_user_sgpr_private_segment_size 0
		.amdhsa_uses_dynamic_stack 0
		.amdhsa_system_sgpr_private_segment_wavefront_offset 0
		.amdhsa_system_sgpr_workgroup_id_x 1
		.amdhsa_system_sgpr_workgroup_id_y 0
		.amdhsa_system_sgpr_workgroup_id_z 0
		.amdhsa_system_sgpr_workgroup_info 0
		.amdhsa_system_vgpr_workitem_id 0
		.amdhsa_next_free_vgpr 1
		.amdhsa_next_free_sgpr 0
		.amdhsa_accum_offset 4
		.amdhsa_reserve_vcc 0
		.amdhsa_reserve_flat_scratch 0
		.amdhsa_float_round_mode_32 0
		.amdhsa_float_round_mode_16_64 0
		.amdhsa_float_denorm_mode_32 3
		.amdhsa_float_denorm_mode_16_64 3
		.amdhsa_dx10_clamp 1
		.amdhsa_ieee_mode 1
		.amdhsa_fp16_overflow 0
		.amdhsa_tg_split 0
		.amdhsa_exception_fp_ieee_invalid_op 0
		.amdhsa_exception_fp_denorm_src 0
		.amdhsa_exception_fp_ieee_div_zero 0
		.amdhsa_exception_fp_ieee_overflow 0
		.amdhsa_exception_fp_ieee_underflow 0
		.amdhsa_exception_fp_ieee_inexact 0
		.amdhsa_exception_int_div_zero 0
	.end_amdhsa_kernel
	.section	.text._ZN7rocprim17ROCPRIM_400000_NS6detail17trampoline_kernelINS0_14default_configENS1_22reduce_config_selectorIjEEZNS1_11reduce_implILb1ES3_PjPiiN6thrust23THRUST_200600_302600_NS7maximumIjEEEE10hipError_tPvRmT1_T2_T3_mT4_P12ihipStream_tbEUlT_E1_NS1_11comp_targetILNS1_3genE2ELNS1_11target_archE906ELNS1_3gpuE6ELNS1_3repE0EEENS1_30default_config_static_selectorELNS0_4arch9wavefront6targetE1EEEvSG_,"axG",@progbits,_ZN7rocprim17ROCPRIM_400000_NS6detail17trampoline_kernelINS0_14default_configENS1_22reduce_config_selectorIjEEZNS1_11reduce_implILb1ES3_PjPiiN6thrust23THRUST_200600_302600_NS7maximumIjEEEE10hipError_tPvRmT1_T2_T3_mT4_P12ihipStream_tbEUlT_E1_NS1_11comp_targetILNS1_3genE2ELNS1_11target_archE906ELNS1_3gpuE6ELNS1_3repE0EEENS1_30default_config_static_selectorELNS0_4arch9wavefront6targetE1EEEvSG_,comdat
.Lfunc_end418:
	.size	_ZN7rocprim17ROCPRIM_400000_NS6detail17trampoline_kernelINS0_14default_configENS1_22reduce_config_selectorIjEEZNS1_11reduce_implILb1ES3_PjPiiN6thrust23THRUST_200600_302600_NS7maximumIjEEEE10hipError_tPvRmT1_T2_T3_mT4_P12ihipStream_tbEUlT_E1_NS1_11comp_targetILNS1_3genE2ELNS1_11target_archE906ELNS1_3gpuE6ELNS1_3repE0EEENS1_30default_config_static_selectorELNS0_4arch9wavefront6targetE1EEEvSG_, .Lfunc_end418-_ZN7rocprim17ROCPRIM_400000_NS6detail17trampoline_kernelINS0_14default_configENS1_22reduce_config_selectorIjEEZNS1_11reduce_implILb1ES3_PjPiiN6thrust23THRUST_200600_302600_NS7maximumIjEEEE10hipError_tPvRmT1_T2_T3_mT4_P12ihipStream_tbEUlT_E1_NS1_11comp_targetILNS1_3genE2ELNS1_11target_archE906ELNS1_3gpuE6ELNS1_3repE0EEENS1_30default_config_static_selectorELNS0_4arch9wavefront6targetE1EEEvSG_
                                        ; -- End function
	.section	.AMDGPU.csdata,"",@progbits
; Kernel info:
; codeLenInByte = 0
; NumSgprs: 4
; NumVgprs: 0
; NumAgprs: 0
; TotalNumVgprs: 0
; ScratchSize: 0
; MemoryBound: 0
; FloatMode: 240
; IeeeMode: 1
; LDSByteSize: 0 bytes/workgroup (compile time only)
; SGPRBlocks: 0
; VGPRBlocks: 0
; NumSGPRsForWavesPerEU: 4
; NumVGPRsForWavesPerEU: 1
; AccumOffset: 4
; Occupancy: 8
; WaveLimiterHint : 0
; COMPUTE_PGM_RSRC2:SCRATCH_EN: 0
; COMPUTE_PGM_RSRC2:USER_SGPR: 6
; COMPUTE_PGM_RSRC2:TRAP_HANDLER: 0
; COMPUTE_PGM_RSRC2:TGID_X_EN: 1
; COMPUTE_PGM_RSRC2:TGID_Y_EN: 0
; COMPUTE_PGM_RSRC2:TGID_Z_EN: 0
; COMPUTE_PGM_RSRC2:TIDIG_COMP_CNT: 0
; COMPUTE_PGM_RSRC3_GFX90A:ACCUM_OFFSET: 0
; COMPUTE_PGM_RSRC3_GFX90A:TG_SPLIT: 0
	.section	.text._ZN7rocprim17ROCPRIM_400000_NS6detail17trampoline_kernelINS0_14default_configENS1_22reduce_config_selectorIjEEZNS1_11reduce_implILb1ES3_PjPiiN6thrust23THRUST_200600_302600_NS7maximumIjEEEE10hipError_tPvRmT1_T2_T3_mT4_P12ihipStream_tbEUlT_E1_NS1_11comp_targetILNS1_3genE10ELNS1_11target_archE1201ELNS1_3gpuE5ELNS1_3repE0EEENS1_30default_config_static_selectorELNS0_4arch9wavefront6targetE1EEEvSG_,"axG",@progbits,_ZN7rocprim17ROCPRIM_400000_NS6detail17trampoline_kernelINS0_14default_configENS1_22reduce_config_selectorIjEEZNS1_11reduce_implILb1ES3_PjPiiN6thrust23THRUST_200600_302600_NS7maximumIjEEEE10hipError_tPvRmT1_T2_T3_mT4_P12ihipStream_tbEUlT_E1_NS1_11comp_targetILNS1_3genE10ELNS1_11target_archE1201ELNS1_3gpuE5ELNS1_3repE0EEENS1_30default_config_static_selectorELNS0_4arch9wavefront6targetE1EEEvSG_,comdat
	.protected	_ZN7rocprim17ROCPRIM_400000_NS6detail17trampoline_kernelINS0_14default_configENS1_22reduce_config_selectorIjEEZNS1_11reduce_implILb1ES3_PjPiiN6thrust23THRUST_200600_302600_NS7maximumIjEEEE10hipError_tPvRmT1_T2_T3_mT4_P12ihipStream_tbEUlT_E1_NS1_11comp_targetILNS1_3genE10ELNS1_11target_archE1201ELNS1_3gpuE5ELNS1_3repE0EEENS1_30default_config_static_selectorELNS0_4arch9wavefront6targetE1EEEvSG_ ; -- Begin function _ZN7rocprim17ROCPRIM_400000_NS6detail17trampoline_kernelINS0_14default_configENS1_22reduce_config_selectorIjEEZNS1_11reduce_implILb1ES3_PjPiiN6thrust23THRUST_200600_302600_NS7maximumIjEEEE10hipError_tPvRmT1_T2_T3_mT4_P12ihipStream_tbEUlT_E1_NS1_11comp_targetILNS1_3genE10ELNS1_11target_archE1201ELNS1_3gpuE5ELNS1_3repE0EEENS1_30default_config_static_selectorELNS0_4arch9wavefront6targetE1EEEvSG_
	.globl	_ZN7rocprim17ROCPRIM_400000_NS6detail17trampoline_kernelINS0_14default_configENS1_22reduce_config_selectorIjEEZNS1_11reduce_implILb1ES3_PjPiiN6thrust23THRUST_200600_302600_NS7maximumIjEEEE10hipError_tPvRmT1_T2_T3_mT4_P12ihipStream_tbEUlT_E1_NS1_11comp_targetILNS1_3genE10ELNS1_11target_archE1201ELNS1_3gpuE5ELNS1_3repE0EEENS1_30default_config_static_selectorELNS0_4arch9wavefront6targetE1EEEvSG_
	.p2align	8
	.type	_ZN7rocprim17ROCPRIM_400000_NS6detail17trampoline_kernelINS0_14default_configENS1_22reduce_config_selectorIjEEZNS1_11reduce_implILb1ES3_PjPiiN6thrust23THRUST_200600_302600_NS7maximumIjEEEE10hipError_tPvRmT1_T2_T3_mT4_P12ihipStream_tbEUlT_E1_NS1_11comp_targetILNS1_3genE10ELNS1_11target_archE1201ELNS1_3gpuE5ELNS1_3repE0EEENS1_30default_config_static_selectorELNS0_4arch9wavefront6targetE1EEEvSG_,@function
_ZN7rocprim17ROCPRIM_400000_NS6detail17trampoline_kernelINS0_14default_configENS1_22reduce_config_selectorIjEEZNS1_11reduce_implILb1ES3_PjPiiN6thrust23THRUST_200600_302600_NS7maximumIjEEEE10hipError_tPvRmT1_T2_T3_mT4_P12ihipStream_tbEUlT_E1_NS1_11comp_targetILNS1_3genE10ELNS1_11target_archE1201ELNS1_3gpuE5ELNS1_3repE0EEENS1_30default_config_static_selectorELNS0_4arch9wavefront6targetE1EEEvSG_: ; @_ZN7rocprim17ROCPRIM_400000_NS6detail17trampoline_kernelINS0_14default_configENS1_22reduce_config_selectorIjEEZNS1_11reduce_implILb1ES3_PjPiiN6thrust23THRUST_200600_302600_NS7maximumIjEEEE10hipError_tPvRmT1_T2_T3_mT4_P12ihipStream_tbEUlT_E1_NS1_11comp_targetILNS1_3genE10ELNS1_11target_archE1201ELNS1_3gpuE5ELNS1_3repE0EEENS1_30default_config_static_selectorELNS0_4arch9wavefront6targetE1EEEvSG_
; %bb.0:
	.section	.rodata,"a",@progbits
	.p2align	6, 0x0
	.amdhsa_kernel _ZN7rocprim17ROCPRIM_400000_NS6detail17trampoline_kernelINS0_14default_configENS1_22reduce_config_selectorIjEEZNS1_11reduce_implILb1ES3_PjPiiN6thrust23THRUST_200600_302600_NS7maximumIjEEEE10hipError_tPvRmT1_T2_T3_mT4_P12ihipStream_tbEUlT_E1_NS1_11comp_targetILNS1_3genE10ELNS1_11target_archE1201ELNS1_3gpuE5ELNS1_3repE0EEENS1_30default_config_static_selectorELNS0_4arch9wavefront6targetE1EEEvSG_
		.amdhsa_group_segment_fixed_size 0
		.amdhsa_private_segment_fixed_size 0
		.amdhsa_kernarg_size 40
		.amdhsa_user_sgpr_count 6
		.amdhsa_user_sgpr_private_segment_buffer 1
		.amdhsa_user_sgpr_dispatch_ptr 0
		.amdhsa_user_sgpr_queue_ptr 0
		.amdhsa_user_sgpr_kernarg_segment_ptr 1
		.amdhsa_user_sgpr_dispatch_id 0
		.amdhsa_user_sgpr_flat_scratch_init 0
		.amdhsa_user_sgpr_kernarg_preload_length 0
		.amdhsa_user_sgpr_kernarg_preload_offset 0
		.amdhsa_user_sgpr_private_segment_size 0
		.amdhsa_uses_dynamic_stack 0
		.amdhsa_system_sgpr_private_segment_wavefront_offset 0
		.amdhsa_system_sgpr_workgroup_id_x 1
		.amdhsa_system_sgpr_workgroup_id_y 0
		.amdhsa_system_sgpr_workgroup_id_z 0
		.amdhsa_system_sgpr_workgroup_info 0
		.amdhsa_system_vgpr_workitem_id 0
		.amdhsa_next_free_vgpr 1
		.amdhsa_next_free_sgpr 0
		.amdhsa_accum_offset 4
		.amdhsa_reserve_vcc 0
		.amdhsa_reserve_flat_scratch 0
		.amdhsa_float_round_mode_32 0
		.amdhsa_float_round_mode_16_64 0
		.amdhsa_float_denorm_mode_32 3
		.amdhsa_float_denorm_mode_16_64 3
		.amdhsa_dx10_clamp 1
		.amdhsa_ieee_mode 1
		.amdhsa_fp16_overflow 0
		.amdhsa_tg_split 0
		.amdhsa_exception_fp_ieee_invalid_op 0
		.amdhsa_exception_fp_denorm_src 0
		.amdhsa_exception_fp_ieee_div_zero 0
		.amdhsa_exception_fp_ieee_overflow 0
		.amdhsa_exception_fp_ieee_underflow 0
		.amdhsa_exception_fp_ieee_inexact 0
		.amdhsa_exception_int_div_zero 0
	.end_amdhsa_kernel
	.section	.text._ZN7rocprim17ROCPRIM_400000_NS6detail17trampoline_kernelINS0_14default_configENS1_22reduce_config_selectorIjEEZNS1_11reduce_implILb1ES3_PjPiiN6thrust23THRUST_200600_302600_NS7maximumIjEEEE10hipError_tPvRmT1_T2_T3_mT4_P12ihipStream_tbEUlT_E1_NS1_11comp_targetILNS1_3genE10ELNS1_11target_archE1201ELNS1_3gpuE5ELNS1_3repE0EEENS1_30default_config_static_selectorELNS0_4arch9wavefront6targetE1EEEvSG_,"axG",@progbits,_ZN7rocprim17ROCPRIM_400000_NS6detail17trampoline_kernelINS0_14default_configENS1_22reduce_config_selectorIjEEZNS1_11reduce_implILb1ES3_PjPiiN6thrust23THRUST_200600_302600_NS7maximumIjEEEE10hipError_tPvRmT1_T2_T3_mT4_P12ihipStream_tbEUlT_E1_NS1_11comp_targetILNS1_3genE10ELNS1_11target_archE1201ELNS1_3gpuE5ELNS1_3repE0EEENS1_30default_config_static_selectorELNS0_4arch9wavefront6targetE1EEEvSG_,comdat
.Lfunc_end419:
	.size	_ZN7rocprim17ROCPRIM_400000_NS6detail17trampoline_kernelINS0_14default_configENS1_22reduce_config_selectorIjEEZNS1_11reduce_implILb1ES3_PjPiiN6thrust23THRUST_200600_302600_NS7maximumIjEEEE10hipError_tPvRmT1_T2_T3_mT4_P12ihipStream_tbEUlT_E1_NS1_11comp_targetILNS1_3genE10ELNS1_11target_archE1201ELNS1_3gpuE5ELNS1_3repE0EEENS1_30default_config_static_selectorELNS0_4arch9wavefront6targetE1EEEvSG_, .Lfunc_end419-_ZN7rocprim17ROCPRIM_400000_NS6detail17trampoline_kernelINS0_14default_configENS1_22reduce_config_selectorIjEEZNS1_11reduce_implILb1ES3_PjPiiN6thrust23THRUST_200600_302600_NS7maximumIjEEEE10hipError_tPvRmT1_T2_T3_mT4_P12ihipStream_tbEUlT_E1_NS1_11comp_targetILNS1_3genE10ELNS1_11target_archE1201ELNS1_3gpuE5ELNS1_3repE0EEENS1_30default_config_static_selectorELNS0_4arch9wavefront6targetE1EEEvSG_
                                        ; -- End function
	.section	.AMDGPU.csdata,"",@progbits
; Kernel info:
; codeLenInByte = 0
; NumSgprs: 4
; NumVgprs: 0
; NumAgprs: 0
; TotalNumVgprs: 0
; ScratchSize: 0
; MemoryBound: 0
; FloatMode: 240
; IeeeMode: 1
; LDSByteSize: 0 bytes/workgroup (compile time only)
; SGPRBlocks: 0
; VGPRBlocks: 0
; NumSGPRsForWavesPerEU: 4
; NumVGPRsForWavesPerEU: 1
; AccumOffset: 4
; Occupancy: 8
; WaveLimiterHint : 0
; COMPUTE_PGM_RSRC2:SCRATCH_EN: 0
; COMPUTE_PGM_RSRC2:USER_SGPR: 6
; COMPUTE_PGM_RSRC2:TRAP_HANDLER: 0
; COMPUTE_PGM_RSRC2:TGID_X_EN: 1
; COMPUTE_PGM_RSRC2:TGID_Y_EN: 0
; COMPUTE_PGM_RSRC2:TGID_Z_EN: 0
; COMPUTE_PGM_RSRC2:TIDIG_COMP_CNT: 0
; COMPUTE_PGM_RSRC3_GFX90A:ACCUM_OFFSET: 0
; COMPUTE_PGM_RSRC3_GFX90A:TG_SPLIT: 0
	.section	.text._ZN7rocprim17ROCPRIM_400000_NS6detail17trampoline_kernelINS0_14default_configENS1_22reduce_config_selectorIjEEZNS1_11reduce_implILb1ES3_PjPiiN6thrust23THRUST_200600_302600_NS7maximumIjEEEE10hipError_tPvRmT1_T2_T3_mT4_P12ihipStream_tbEUlT_E1_NS1_11comp_targetILNS1_3genE10ELNS1_11target_archE1200ELNS1_3gpuE4ELNS1_3repE0EEENS1_30default_config_static_selectorELNS0_4arch9wavefront6targetE1EEEvSG_,"axG",@progbits,_ZN7rocprim17ROCPRIM_400000_NS6detail17trampoline_kernelINS0_14default_configENS1_22reduce_config_selectorIjEEZNS1_11reduce_implILb1ES3_PjPiiN6thrust23THRUST_200600_302600_NS7maximumIjEEEE10hipError_tPvRmT1_T2_T3_mT4_P12ihipStream_tbEUlT_E1_NS1_11comp_targetILNS1_3genE10ELNS1_11target_archE1200ELNS1_3gpuE4ELNS1_3repE0EEENS1_30default_config_static_selectorELNS0_4arch9wavefront6targetE1EEEvSG_,comdat
	.protected	_ZN7rocprim17ROCPRIM_400000_NS6detail17trampoline_kernelINS0_14default_configENS1_22reduce_config_selectorIjEEZNS1_11reduce_implILb1ES3_PjPiiN6thrust23THRUST_200600_302600_NS7maximumIjEEEE10hipError_tPvRmT1_T2_T3_mT4_P12ihipStream_tbEUlT_E1_NS1_11comp_targetILNS1_3genE10ELNS1_11target_archE1200ELNS1_3gpuE4ELNS1_3repE0EEENS1_30default_config_static_selectorELNS0_4arch9wavefront6targetE1EEEvSG_ ; -- Begin function _ZN7rocprim17ROCPRIM_400000_NS6detail17trampoline_kernelINS0_14default_configENS1_22reduce_config_selectorIjEEZNS1_11reduce_implILb1ES3_PjPiiN6thrust23THRUST_200600_302600_NS7maximumIjEEEE10hipError_tPvRmT1_T2_T3_mT4_P12ihipStream_tbEUlT_E1_NS1_11comp_targetILNS1_3genE10ELNS1_11target_archE1200ELNS1_3gpuE4ELNS1_3repE0EEENS1_30default_config_static_selectorELNS0_4arch9wavefront6targetE1EEEvSG_
	.globl	_ZN7rocprim17ROCPRIM_400000_NS6detail17trampoline_kernelINS0_14default_configENS1_22reduce_config_selectorIjEEZNS1_11reduce_implILb1ES3_PjPiiN6thrust23THRUST_200600_302600_NS7maximumIjEEEE10hipError_tPvRmT1_T2_T3_mT4_P12ihipStream_tbEUlT_E1_NS1_11comp_targetILNS1_3genE10ELNS1_11target_archE1200ELNS1_3gpuE4ELNS1_3repE0EEENS1_30default_config_static_selectorELNS0_4arch9wavefront6targetE1EEEvSG_
	.p2align	8
	.type	_ZN7rocprim17ROCPRIM_400000_NS6detail17trampoline_kernelINS0_14default_configENS1_22reduce_config_selectorIjEEZNS1_11reduce_implILb1ES3_PjPiiN6thrust23THRUST_200600_302600_NS7maximumIjEEEE10hipError_tPvRmT1_T2_T3_mT4_P12ihipStream_tbEUlT_E1_NS1_11comp_targetILNS1_3genE10ELNS1_11target_archE1200ELNS1_3gpuE4ELNS1_3repE0EEENS1_30default_config_static_selectorELNS0_4arch9wavefront6targetE1EEEvSG_,@function
_ZN7rocprim17ROCPRIM_400000_NS6detail17trampoline_kernelINS0_14default_configENS1_22reduce_config_selectorIjEEZNS1_11reduce_implILb1ES3_PjPiiN6thrust23THRUST_200600_302600_NS7maximumIjEEEE10hipError_tPvRmT1_T2_T3_mT4_P12ihipStream_tbEUlT_E1_NS1_11comp_targetILNS1_3genE10ELNS1_11target_archE1200ELNS1_3gpuE4ELNS1_3repE0EEENS1_30default_config_static_selectorELNS0_4arch9wavefront6targetE1EEEvSG_: ; @_ZN7rocprim17ROCPRIM_400000_NS6detail17trampoline_kernelINS0_14default_configENS1_22reduce_config_selectorIjEEZNS1_11reduce_implILb1ES3_PjPiiN6thrust23THRUST_200600_302600_NS7maximumIjEEEE10hipError_tPvRmT1_T2_T3_mT4_P12ihipStream_tbEUlT_E1_NS1_11comp_targetILNS1_3genE10ELNS1_11target_archE1200ELNS1_3gpuE4ELNS1_3repE0EEENS1_30default_config_static_selectorELNS0_4arch9wavefront6targetE1EEEvSG_
; %bb.0:
	.section	.rodata,"a",@progbits
	.p2align	6, 0x0
	.amdhsa_kernel _ZN7rocprim17ROCPRIM_400000_NS6detail17trampoline_kernelINS0_14default_configENS1_22reduce_config_selectorIjEEZNS1_11reduce_implILb1ES3_PjPiiN6thrust23THRUST_200600_302600_NS7maximumIjEEEE10hipError_tPvRmT1_T2_T3_mT4_P12ihipStream_tbEUlT_E1_NS1_11comp_targetILNS1_3genE10ELNS1_11target_archE1200ELNS1_3gpuE4ELNS1_3repE0EEENS1_30default_config_static_selectorELNS0_4arch9wavefront6targetE1EEEvSG_
		.amdhsa_group_segment_fixed_size 0
		.amdhsa_private_segment_fixed_size 0
		.amdhsa_kernarg_size 40
		.amdhsa_user_sgpr_count 6
		.amdhsa_user_sgpr_private_segment_buffer 1
		.amdhsa_user_sgpr_dispatch_ptr 0
		.amdhsa_user_sgpr_queue_ptr 0
		.amdhsa_user_sgpr_kernarg_segment_ptr 1
		.amdhsa_user_sgpr_dispatch_id 0
		.amdhsa_user_sgpr_flat_scratch_init 0
		.amdhsa_user_sgpr_kernarg_preload_length 0
		.amdhsa_user_sgpr_kernarg_preload_offset 0
		.amdhsa_user_sgpr_private_segment_size 0
		.amdhsa_uses_dynamic_stack 0
		.amdhsa_system_sgpr_private_segment_wavefront_offset 0
		.amdhsa_system_sgpr_workgroup_id_x 1
		.amdhsa_system_sgpr_workgroup_id_y 0
		.amdhsa_system_sgpr_workgroup_id_z 0
		.amdhsa_system_sgpr_workgroup_info 0
		.amdhsa_system_vgpr_workitem_id 0
		.amdhsa_next_free_vgpr 1
		.amdhsa_next_free_sgpr 0
		.amdhsa_accum_offset 4
		.amdhsa_reserve_vcc 0
		.amdhsa_reserve_flat_scratch 0
		.amdhsa_float_round_mode_32 0
		.amdhsa_float_round_mode_16_64 0
		.amdhsa_float_denorm_mode_32 3
		.amdhsa_float_denorm_mode_16_64 3
		.amdhsa_dx10_clamp 1
		.amdhsa_ieee_mode 1
		.amdhsa_fp16_overflow 0
		.amdhsa_tg_split 0
		.amdhsa_exception_fp_ieee_invalid_op 0
		.amdhsa_exception_fp_denorm_src 0
		.amdhsa_exception_fp_ieee_div_zero 0
		.amdhsa_exception_fp_ieee_overflow 0
		.amdhsa_exception_fp_ieee_underflow 0
		.amdhsa_exception_fp_ieee_inexact 0
		.amdhsa_exception_int_div_zero 0
	.end_amdhsa_kernel
	.section	.text._ZN7rocprim17ROCPRIM_400000_NS6detail17trampoline_kernelINS0_14default_configENS1_22reduce_config_selectorIjEEZNS1_11reduce_implILb1ES3_PjPiiN6thrust23THRUST_200600_302600_NS7maximumIjEEEE10hipError_tPvRmT1_T2_T3_mT4_P12ihipStream_tbEUlT_E1_NS1_11comp_targetILNS1_3genE10ELNS1_11target_archE1200ELNS1_3gpuE4ELNS1_3repE0EEENS1_30default_config_static_selectorELNS0_4arch9wavefront6targetE1EEEvSG_,"axG",@progbits,_ZN7rocprim17ROCPRIM_400000_NS6detail17trampoline_kernelINS0_14default_configENS1_22reduce_config_selectorIjEEZNS1_11reduce_implILb1ES3_PjPiiN6thrust23THRUST_200600_302600_NS7maximumIjEEEE10hipError_tPvRmT1_T2_T3_mT4_P12ihipStream_tbEUlT_E1_NS1_11comp_targetILNS1_3genE10ELNS1_11target_archE1200ELNS1_3gpuE4ELNS1_3repE0EEENS1_30default_config_static_selectorELNS0_4arch9wavefront6targetE1EEEvSG_,comdat
.Lfunc_end420:
	.size	_ZN7rocprim17ROCPRIM_400000_NS6detail17trampoline_kernelINS0_14default_configENS1_22reduce_config_selectorIjEEZNS1_11reduce_implILb1ES3_PjPiiN6thrust23THRUST_200600_302600_NS7maximumIjEEEE10hipError_tPvRmT1_T2_T3_mT4_P12ihipStream_tbEUlT_E1_NS1_11comp_targetILNS1_3genE10ELNS1_11target_archE1200ELNS1_3gpuE4ELNS1_3repE0EEENS1_30default_config_static_selectorELNS0_4arch9wavefront6targetE1EEEvSG_, .Lfunc_end420-_ZN7rocprim17ROCPRIM_400000_NS6detail17trampoline_kernelINS0_14default_configENS1_22reduce_config_selectorIjEEZNS1_11reduce_implILb1ES3_PjPiiN6thrust23THRUST_200600_302600_NS7maximumIjEEEE10hipError_tPvRmT1_T2_T3_mT4_P12ihipStream_tbEUlT_E1_NS1_11comp_targetILNS1_3genE10ELNS1_11target_archE1200ELNS1_3gpuE4ELNS1_3repE0EEENS1_30default_config_static_selectorELNS0_4arch9wavefront6targetE1EEEvSG_
                                        ; -- End function
	.section	.AMDGPU.csdata,"",@progbits
; Kernel info:
; codeLenInByte = 0
; NumSgprs: 4
; NumVgprs: 0
; NumAgprs: 0
; TotalNumVgprs: 0
; ScratchSize: 0
; MemoryBound: 0
; FloatMode: 240
; IeeeMode: 1
; LDSByteSize: 0 bytes/workgroup (compile time only)
; SGPRBlocks: 0
; VGPRBlocks: 0
; NumSGPRsForWavesPerEU: 4
; NumVGPRsForWavesPerEU: 1
; AccumOffset: 4
; Occupancy: 8
; WaveLimiterHint : 0
; COMPUTE_PGM_RSRC2:SCRATCH_EN: 0
; COMPUTE_PGM_RSRC2:USER_SGPR: 6
; COMPUTE_PGM_RSRC2:TRAP_HANDLER: 0
; COMPUTE_PGM_RSRC2:TGID_X_EN: 1
; COMPUTE_PGM_RSRC2:TGID_Y_EN: 0
; COMPUTE_PGM_RSRC2:TGID_Z_EN: 0
; COMPUTE_PGM_RSRC2:TIDIG_COMP_CNT: 0
; COMPUTE_PGM_RSRC3_GFX90A:ACCUM_OFFSET: 0
; COMPUTE_PGM_RSRC3_GFX90A:TG_SPLIT: 0
	.section	.text._ZN7rocprim17ROCPRIM_400000_NS6detail17trampoline_kernelINS0_14default_configENS1_22reduce_config_selectorIjEEZNS1_11reduce_implILb1ES3_PjPiiN6thrust23THRUST_200600_302600_NS7maximumIjEEEE10hipError_tPvRmT1_T2_T3_mT4_P12ihipStream_tbEUlT_E1_NS1_11comp_targetILNS1_3genE9ELNS1_11target_archE1100ELNS1_3gpuE3ELNS1_3repE0EEENS1_30default_config_static_selectorELNS0_4arch9wavefront6targetE1EEEvSG_,"axG",@progbits,_ZN7rocprim17ROCPRIM_400000_NS6detail17trampoline_kernelINS0_14default_configENS1_22reduce_config_selectorIjEEZNS1_11reduce_implILb1ES3_PjPiiN6thrust23THRUST_200600_302600_NS7maximumIjEEEE10hipError_tPvRmT1_T2_T3_mT4_P12ihipStream_tbEUlT_E1_NS1_11comp_targetILNS1_3genE9ELNS1_11target_archE1100ELNS1_3gpuE3ELNS1_3repE0EEENS1_30default_config_static_selectorELNS0_4arch9wavefront6targetE1EEEvSG_,comdat
	.protected	_ZN7rocprim17ROCPRIM_400000_NS6detail17trampoline_kernelINS0_14default_configENS1_22reduce_config_selectorIjEEZNS1_11reduce_implILb1ES3_PjPiiN6thrust23THRUST_200600_302600_NS7maximumIjEEEE10hipError_tPvRmT1_T2_T3_mT4_P12ihipStream_tbEUlT_E1_NS1_11comp_targetILNS1_3genE9ELNS1_11target_archE1100ELNS1_3gpuE3ELNS1_3repE0EEENS1_30default_config_static_selectorELNS0_4arch9wavefront6targetE1EEEvSG_ ; -- Begin function _ZN7rocprim17ROCPRIM_400000_NS6detail17trampoline_kernelINS0_14default_configENS1_22reduce_config_selectorIjEEZNS1_11reduce_implILb1ES3_PjPiiN6thrust23THRUST_200600_302600_NS7maximumIjEEEE10hipError_tPvRmT1_T2_T3_mT4_P12ihipStream_tbEUlT_E1_NS1_11comp_targetILNS1_3genE9ELNS1_11target_archE1100ELNS1_3gpuE3ELNS1_3repE0EEENS1_30default_config_static_selectorELNS0_4arch9wavefront6targetE1EEEvSG_
	.globl	_ZN7rocprim17ROCPRIM_400000_NS6detail17trampoline_kernelINS0_14default_configENS1_22reduce_config_selectorIjEEZNS1_11reduce_implILb1ES3_PjPiiN6thrust23THRUST_200600_302600_NS7maximumIjEEEE10hipError_tPvRmT1_T2_T3_mT4_P12ihipStream_tbEUlT_E1_NS1_11comp_targetILNS1_3genE9ELNS1_11target_archE1100ELNS1_3gpuE3ELNS1_3repE0EEENS1_30default_config_static_selectorELNS0_4arch9wavefront6targetE1EEEvSG_
	.p2align	8
	.type	_ZN7rocprim17ROCPRIM_400000_NS6detail17trampoline_kernelINS0_14default_configENS1_22reduce_config_selectorIjEEZNS1_11reduce_implILb1ES3_PjPiiN6thrust23THRUST_200600_302600_NS7maximumIjEEEE10hipError_tPvRmT1_T2_T3_mT4_P12ihipStream_tbEUlT_E1_NS1_11comp_targetILNS1_3genE9ELNS1_11target_archE1100ELNS1_3gpuE3ELNS1_3repE0EEENS1_30default_config_static_selectorELNS0_4arch9wavefront6targetE1EEEvSG_,@function
_ZN7rocprim17ROCPRIM_400000_NS6detail17trampoline_kernelINS0_14default_configENS1_22reduce_config_selectorIjEEZNS1_11reduce_implILb1ES3_PjPiiN6thrust23THRUST_200600_302600_NS7maximumIjEEEE10hipError_tPvRmT1_T2_T3_mT4_P12ihipStream_tbEUlT_E1_NS1_11comp_targetILNS1_3genE9ELNS1_11target_archE1100ELNS1_3gpuE3ELNS1_3repE0EEENS1_30default_config_static_selectorELNS0_4arch9wavefront6targetE1EEEvSG_: ; @_ZN7rocprim17ROCPRIM_400000_NS6detail17trampoline_kernelINS0_14default_configENS1_22reduce_config_selectorIjEEZNS1_11reduce_implILb1ES3_PjPiiN6thrust23THRUST_200600_302600_NS7maximumIjEEEE10hipError_tPvRmT1_T2_T3_mT4_P12ihipStream_tbEUlT_E1_NS1_11comp_targetILNS1_3genE9ELNS1_11target_archE1100ELNS1_3gpuE3ELNS1_3repE0EEENS1_30default_config_static_selectorELNS0_4arch9wavefront6targetE1EEEvSG_
; %bb.0:
	.section	.rodata,"a",@progbits
	.p2align	6, 0x0
	.amdhsa_kernel _ZN7rocprim17ROCPRIM_400000_NS6detail17trampoline_kernelINS0_14default_configENS1_22reduce_config_selectorIjEEZNS1_11reduce_implILb1ES3_PjPiiN6thrust23THRUST_200600_302600_NS7maximumIjEEEE10hipError_tPvRmT1_T2_T3_mT4_P12ihipStream_tbEUlT_E1_NS1_11comp_targetILNS1_3genE9ELNS1_11target_archE1100ELNS1_3gpuE3ELNS1_3repE0EEENS1_30default_config_static_selectorELNS0_4arch9wavefront6targetE1EEEvSG_
		.amdhsa_group_segment_fixed_size 0
		.amdhsa_private_segment_fixed_size 0
		.amdhsa_kernarg_size 40
		.amdhsa_user_sgpr_count 6
		.amdhsa_user_sgpr_private_segment_buffer 1
		.amdhsa_user_sgpr_dispatch_ptr 0
		.amdhsa_user_sgpr_queue_ptr 0
		.amdhsa_user_sgpr_kernarg_segment_ptr 1
		.amdhsa_user_sgpr_dispatch_id 0
		.amdhsa_user_sgpr_flat_scratch_init 0
		.amdhsa_user_sgpr_kernarg_preload_length 0
		.amdhsa_user_sgpr_kernarg_preload_offset 0
		.amdhsa_user_sgpr_private_segment_size 0
		.amdhsa_uses_dynamic_stack 0
		.amdhsa_system_sgpr_private_segment_wavefront_offset 0
		.amdhsa_system_sgpr_workgroup_id_x 1
		.amdhsa_system_sgpr_workgroup_id_y 0
		.amdhsa_system_sgpr_workgroup_id_z 0
		.amdhsa_system_sgpr_workgroup_info 0
		.amdhsa_system_vgpr_workitem_id 0
		.amdhsa_next_free_vgpr 1
		.amdhsa_next_free_sgpr 0
		.amdhsa_accum_offset 4
		.amdhsa_reserve_vcc 0
		.amdhsa_reserve_flat_scratch 0
		.amdhsa_float_round_mode_32 0
		.amdhsa_float_round_mode_16_64 0
		.amdhsa_float_denorm_mode_32 3
		.amdhsa_float_denorm_mode_16_64 3
		.amdhsa_dx10_clamp 1
		.amdhsa_ieee_mode 1
		.amdhsa_fp16_overflow 0
		.amdhsa_tg_split 0
		.amdhsa_exception_fp_ieee_invalid_op 0
		.amdhsa_exception_fp_denorm_src 0
		.amdhsa_exception_fp_ieee_div_zero 0
		.amdhsa_exception_fp_ieee_overflow 0
		.amdhsa_exception_fp_ieee_underflow 0
		.amdhsa_exception_fp_ieee_inexact 0
		.amdhsa_exception_int_div_zero 0
	.end_amdhsa_kernel
	.section	.text._ZN7rocprim17ROCPRIM_400000_NS6detail17trampoline_kernelINS0_14default_configENS1_22reduce_config_selectorIjEEZNS1_11reduce_implILb1ES3_PjPiiN6thrust23THRUST_200600_302600_NS7maximumIjEEEE10hipError_tPvRmT1_T2_T3_mT4_P12ihipStream_tbEUlT_E1_NS1_11comp_targetILNS1_3genE9ELNS1_11target_archE1100ELNS1_3gpuE3ELNS1_3repE0EEENS1_30default_config_static_selectorELNS0_4arch9wavefront6targetE1EEEvSG_,"axG",@progbits,_ZN7rocprim17ROCPRIM_400000_NS6detail17trampoline_kernelINS0_14default_configENS1_22reduce_config_selectorIjEEZNS1_11reduce_implILb1ES3_PjPiiN6thrust23THRUST_200600_302600_NS7maximumIjEEEE10hipError_tPvRmT1_T2_T3_mT4_P12ihipStream_tbEUlT_E1_NS1_11comp_targetILNS1_3genE9ELNS1_11target_archE1100ELNS1_3gpuE3ELNS1_3repE0EEENS1_30default_config_static_selectorELNS0_4arch9wavefront6targetE1EEEvSG_,comdat
.Lfunc_end421:
	.size	_ZN7rocprim17ROCPRIM_400000_NS6detail17trampoline_kernelINS0_14default_configENS1_22reduce_config_selectorIjEEZNS1_11reduce_implILb1ES3_PjPiiN6thrust23THRUST_200600_302600_NS7maximumIjEEEE10hipError_tPvRmT1_T2_T3_mT4_P12ihipStream_tbEUlT_E1_NS1_11comp_targetILNS1_3genE9ELNS1_11target_archE1100ELNS1_3gpuE3ELNS1_3repE0EEENS1_30default_config_static_selectorELNS0_4arch9wavefront6targetE1EEEvSG_, .Lfunc_end421-_ZN7rocprim17ROCPRIM_400000_NS6detail17trampoline_kernelINS0_14default_configENS1_22reduce_config_selectorIjEEZNS1_11reduce_implILb1ES3_PjPiiN6thrust23THRUST_200600_302600_NS7maximumIjEEEE10hipError_tPvRmT1_T2_T3_mT4_P12ihipStream_tbEUlT_E1_NS1_11comp_targetILNS1_3genE9ELNS1_11target_archE1100ELNS1_3gpuE3ELNS1_3repE0EEENS1_30default_config_static_selectorELNS0_4arch9wavefront6targetE1EEEvSG_
                                        ; -- End function
	.section	.AMDGPU.csdata,"",@progbits
; Kernel info:
; codeLenInByte = 0
; NumSgprs: 4
; NumVgprs: 0
; NumAgprs: 0
; TotalNumVgprs: 0
; ScratchSize: 0
; MemoryBound: 0
; FloatMode: 240
; IeeeMode: 1
; LDSByteSize: 0 bytes/workgroup (compile time only)
; SGPRBlocks: 0
; VGPRBlocks: 0
; NumSGPRsForWavesPerEU: 4
; NumVGPRsForWavesPerEU: 1
; AccumOffset: 4
; Occupancy: 8
; WaveLimiterHint : 0
; COMPUTE_PGM_RSRC2:SCRATCH_EN: 0
; COMPUTE_PGM_RSRC2:USER_SGPR: 6
; COMPUTE_PGM_RSRC2:TRAP_HANDLER: 0
; COMPUTE_PGM_RSRC2:TGID_X_EN: 1
; COMPUTE_PGM_RSRC2:TGID_Y_EN: 0
; COMPUTE_PGM_RSRC2:TGID_Z_EN: 0
; COMPUTE_PGM_RSRC2:TIDIG_COMP_CNT: 0
; COMPUTE_PGM_RSRC3_GFX90A:ACCUM_OFFSET: 0
; COMPUTE_PGM_RSRC3_GFX90A:TG_SPLIT: 0
	.section	.text._ZN7rocprim17ROCPRIM_400000_NS6detail17trampoline_kernelINS0_14default_configENS1_22reduce_config_selectorIjEEZNS1_11reduce_implILb1ES3_PjPiiN6thrust23THRUST_200600_302600_NS7maximumIjEEEE10hipError_tPvRmT1_T2_T3_mT4_P12ihipStream_tbEUlT_E1_NS1_11comp_targetILNS1_3genE8ELNS1_11target_archE1030ELNS1_3gpuE2ELNS1_3repE0EEENS1_30default_config_static_selectorELNS0_4arch9wavefront6targetE1EEEvSG_,"axG",@progbits,_ZN7rocprim17ROCPRIM_400000_NS6detail17trampoline_kernelINS0_14default_configENS1_22reduce_config_selectorIjEEZNS1_11reduce_implILb1ES3_PjPiiN6thrust23THRUST_200600_302600_NS7maximumIjEEEE10hipError_tPvRmT1_T2_T3_mT4_P12ihipStream_tbEUlT_E1_NS1_11comp_targetILNS1_3genE8ELNS1_11target_archE1030ELNS1_3gpuE2ELNS1_3repE0EEENS1_30default_config_static_selectorELNS0_4arch9wavefront6targetE1EEEvSG_,comdat
	.protected	_ZN7rocprim17ROCPRIM_400000_NS6detail17trampoline_kernelINS0_14default_configENS1_22reduce_config_selectorIjEEZNS1_11reduce_implILb1ES3_PjPiiN6thrust23THRUST_200600_302600_NS7maximumIjEEEE10hipError_tPvRmT1_T2_T3_mT4_P12ihipStream_tbEUlT_E1_NS1_11comp_targetILNS1_3genE8ELNS1_11target_archE1030ELNS1_3gpuE2ELNS1_3repE0EEENS1_30default_config_static_selectorELNS0_4arch9wavefront6targetE1EEEvSG_ ; -- Begin function _ZN7rocprim17ROCPRIM_400000_NS6detail17trampoline_kernelINS0_14default_configENS1_22reduce_config_selectorIjEEZNS1_11reduce_implILb1ES3_PjPiiN6thrust23THRUST_200600_302600_NS7maximumIjEEEE10hipError_tPvRmT1_T2_T3_mT4_P12ihipStream_tbEUlT_E1_NS1_11comp_targetILNS1_3genE8ELNS1_11target_archE1030ELNS1_3gpuE2ELNS1_3repE0EEENS1_30default_config_static_selectorELNS0_4arch9wavefront6targetE1EEEvSG_
	.globl	_ZN7rocprim17ROCPRIM_400000_NS6detail17trampoline_kernelINS0_14default_configENS1_22reduce_config_selectorIjEEZNS1_11reduce_implILb1ES3_PjPiiN6thrust23THRUST_200600_302600_NS7maximumIjEEEE10hipError_tPvRmT1_T2_T3_mT4_P12ihipStream_tbEUlT_E1_NS1_11comp_targetILNS1_3genE8ELNS1_11target_archE1030ELNS1_3gpuE2ELNS1_3repE0EEENS1_30default_config_static_selectorELNS0_4arch9wavefront6targetE1EEEvSG_
	.p2align	8
	.type	_ZN7rocprim17ROCPRIM_400000_NS6detail17trampoline_kernelINS0_14default_configENS1_22reduce_config_selectorIjEEZNS1_11reduce_implILb1ES3_PjPiiN6thrust23THRUST_200600_302600_NS7maximumIjEEEE10hipError_tPvRmT1_T2_T3_mT4_P12ihipStream_tbEUlT_E1_NS1_11comp_targetILNS1_3genE8ELNS1_11target_archE1030ELNS1_3gpuE2ELNS1_3repE0EEENS1_30default_config_static_selectorELNS0_4arch9wavefront6targetE1EEEvSG_,@function
_ZN7rocprim17ROCPRIM_400000_NS6detail17trampoline_kernelINS0_14default_configENS1_22reduce_config_selectorIjEEZNS1_11reduce_implILb1ES3_PjPiiN6thrust23THRUST_200600_302600_NS7maximumIjEEEE10hipError_tPvRmT1_T2_T3_mT4_P12ihipStream_tbEUlT_E1_NS1_11comp_targetILNS1_3genE8ELNS1_11target_archE1030ELNS1_3gpuE2ELNS1_3repE0EEENS1_30default_config_static_selectorELNS0_4arch9wavefront6targetE1EEEvSG_: ; @_ZN7rocprim17ROCPRIM_400000_NS6detail17trampoline_kernelINS0_14default_configENS1_22reduce_config_selectorIjEEZNS1_11reduce_implILb1ES3_PjPiiN6thrust23THRUST_200600_302600_NS7maximumIjEEEE10hipError_tPvRmT1_T2_T3_mT4_P12ihipStream_tbEUlT_E1_NS1_11comp_targetILNS1_3genE8ELNS1_11target_archE1030ELNS1_3gpuE2ELNS1_3repE0EEENS1_30default_config_static_selectorELNS0_4arch9wavefront6targetE1EEEvSG_
; %bb.0:
	.section	.rodata,"a",@progbits
	.p2align	6, 0x0
	.amdhsa_kernel _ZN7rocprim17ROCPRIM_400000_NS6detail17trampoline_kernelINS0_14default_configENS1_22reduce_config_selectorIjEEZNS1_11reduce_implILb1ES3_PjPiiN6thrust23THRUST_200600_302600_NS7maximumIjEEEE10hipError_tPvRmT1_T2_T3_mT4_P12ihipStream_tbEUlT_E1_NS1_11comp_targetILNS1_3genE8ELNS1_11target_archE1030ELNS1_3gpuE2ELNS1_3repE0EEENS1_30default_config_static_selectorELNS0_4arch9wavefront6targetE1EEEvSG_
		.amdhsa_group_segment_fixed_size 0
		.amdhsa_private_segment_fixed_size 0
		.amdhsa_kernarg_size 40
		.amdhsa_user_sgpr_count 6
		.amdhsa_user_sgpr_private_segment_buffer 1
		.amdhsa_user_sgpr_dispatch_ptr 0
		.amdhsa_user_sgpr_queue_ptr 0
		.amdhsa_user_sgpr_kernarg_segment_ptr 1
		.amdhsa_user_sgpr_dispatch_id 0
		.amdhsa_user_sgpr_flat_scratch_init 0
		.amdhsa_user_sgpr_kernarg_preload_length 0
		.amdhsa_user_sgpr_kernarg_preload_offset 0
		.amdhsa_user_sgpr_private_segment_size 0
		.amdhsa_uses_dynamic_stack 0
		.amdhsa_system_sgpr_private_segment_wavefront_offset 0
		.amdhsa_system_sgpr_workgroup_id_x 1
		.amdhsa_system_sgpr_workgroup_id_y 0
		.amdhsa_system_sgpr_workgroup_id_z 0
		.amdhsa_system_sgpr_workgroup_info 0
		.amdhsa_system_vgpr_workitem_id 0
		.amdhsa_next_free_vgpr 1
		.amdhsa_next_free_sgpr 0
		.amdhsa_accum_offset 4
		.amdhsa_reserve_vcc 0
		.amdhsa_reserve_flat_scratch 0
		.amdhsa_float_round_mode_32 0
		.amdhsa_float_round_mode_16_64 0
		.amdhsa_float_denorm_mode_32 3
		.amdhsa_float_denorm_mode_16_64 3
		.amdhsa_dx10_clamp 1
		.amdhsa_ieee_mode 1
		.amdhsa_fp16_overflow 0
		.amdhsa_tg_split 0
		.amdhsa_exception_fp_ieee_invalid_op 0
		.amdhsa_exception_fp_denorm_src 0
		.amdhsa_exception_fp_ieee_div_zero 0
		.amdhsa_exception_fp_ieee_overflow 0
		.amdhsa_exception_fp_ieee_underflow 0
		.amdhsa_exception_fp_ieee_inexact 0
		.amdhsa_exception_int_div_zero 0
	.end_amdhsa_kernel
	.section	.text._ZN7rocprim17ROCPRIM_400000_NS6detail17trampoline_kernelINS0_14default_configENS1_22reduce_config_selectorIjEEZNS1_11reduce_implILb1ES3_PjPiiN6thrust23THRUST_200600_302600_NS7maximumIjEEEE10hipError_tPvRmT1_T2_T3_mT4_P12ihipStream_tbEUlT_E1_NS1_11comp_targetILNS1_3genE8ELNS1_11target_archE1030ELNS1_3gpuE2ELNS1_3repE0EEENS1_30default_config_static_selectorELNS0_4arch9wavefront6targetE1EEEvSG_,"axG",@progbits,_ZN7rocprim17ROCPRIM_400000_NS6detail17trampoline_kernelINS0_14default_configENS1_22reduce_config_selectorIjEEZNS1_11reduce_implILb1ES3_PjPiiN6thrust23THRUST_200600_302600_NS7maximumIjEEEE10hipError_tPvRmT1_T2_T3_mT4_P12ihipStream_tbEUlT_E1_NS1_11comp_targetILNS1_3genE8ELNS1_11target_archE1030ELNS1_3gpuE2ELNS1_3repE0EEENS1_30default_config_static_selectorELNS0_4arch9wavefront6targetE1EEEvSG_,comdat
.Lfunc_end422:
	.size	_ZN7rocprim17ROCPRIM_400000_NS6detail17trampoline_kernelINS0_14default_configENS1_22reduce_config_selectorIjEEZNS1_11reduce_implILb1ES3_PjPiiN6thrust23THRUST_200600_302600_NS7maximumIjEEEE10hipError_tPvRmT1_T2_T3_mT4_P12ihipStream_tbEUlT_E1_NS1_11comp_targetILNS1_3genE8ELNS1_11target_archE1030ELNS1_3gpuE2ELNS1_3repE0EEENS1_30default_config_static_selectorELNS0_4arch9wavefront6targetE1EEEvSG_, .Lfunc_end422-_ZN7rocprim17ROCPRIM_400000_NS6detail17trampoline_kernelINS0_14default_configENS1_22reduce_config_selectorIjEEZNS1_11reduce_implILb1ES3_PjPiiN6thrust23THRUST_200600_302600_NS7maximumIjEEEE10hipError_tPvRmT1_T2_T3_mT4_P12ihipStream_tbEUlT_E1_NS1_11comp_targetILNS1_3genE8ELNS1_11target_archE1030ELNS1_3gpuE2ELNS1_3repE0EEENS1_30default_config_static_selectorELNS0_4arch9wavefront6targetE1EEEvSG_
                                        ; -- End function
	.section	.AMDGPU.csdata,"",@progbits
; Kernel info:
; codeLenInByte = 0
; NumSgprs: 4
; NumVgprs: 0
; NumAgprs: 0
; TotalNumVgprs: 0
; ScratchSize: 0
; MemoryBound: 0
; FloatMode: 240
; IeeeMode: 1
; LDSByteSize: 0 bytes/workgroup (compile time only)
; SGPRBlocks: 0
; VGPRBlocks: 0
; NumSGPRsForWavesPerEU: 4
; NumVGPRsForWavesPerEU: 1
; AccumOffset: 4
; Occupancy: 8
; WaveLimiterHint : 0
; COMPUTE_PGM_RSRC2:SCRATCH_EN: 0
; COMPUTE_PGM_RSRC2:USER_SGPR: 6
; COMPUTE_PGM_RSRC2:TRAP_HANDLER: 0
; COMPUTE_PGM_RSRC2:TGID_X_EN: 1
; COMPUTE_PGM_RSRC2:TGID_Y_EN: 0
; COMPUTE_PGM_RSRC2:TGID_Z_EN: 0
; COMPUTE_PGM_RSRC2:TIDIG_COMP_CNT: 0
; COMPUTE_PGM_RSRC3_GFX90A:ACCUM_OFFSET: 0
; COMPUTE_PGM_RSRC3_GFX90A:TG_SPLIT: 0
	.section	.text._ZN7rocprim17ROCPRIM_400000_NS6detail17trampoline_kernelINS0_14default_configENS1_22reduce_config_selectorIiEEZNS1_11reduce_implILb1ES3_N6thrust23THRUST_200600_302600_NS11hip_rocprim26transform_input_iterator_tIiNS8_12zip_iteratorINS8_5tupleIPjPiNS8_9null_typeESF_SF_SF_SF_SF_SF_SF_EEEEN6dUtils22getValueFilteredByMaskIjiEEEESE_iNS8_7maximumIjEEEE10hipError_tPvRmT1_T2_T3_mT4_P12ihipStream_tbEUlT_E0_NS1_11comp_targetILNS1_3genE0ELNS1_11target_archE4294967295ELNS1_3gpuE0ELNS1_3repE0EEENS1_30default_config_static_selectorELNS0_4arch9wavefront6targetE1EEEvSR_,"axG",@progbits,_ZN7rocprim17ROCPRIM_400000_NS6detail17trampoline_kernelINS0_14default_configENS1_22reduce_config_selectorIiEEZNS1_11reduce_implILb1ES3_N6thrust23THRUST_200600_302600_NS11hip_rocprim26transform_input_iterator_tIiNS8_12zip_iteratorINS8_5tupleIPjPiNS8_9null_typeESF_SF_SF_SF_SF_SF_SF_EEEEN6dUtils22getValueFilteredByMaskIjiEEEESE_iNS8_7maximumIjEEEE10hipError_tPvRmT1_T2_T3_mT4_P12ihipStream_tbEUlT_E0_NS1_11comp_targetILNS1_3genE0ELNS1_11target_archE4294967295ELNS1_3gpuE0ELNS1_3repE0EEENS1_30default_config_static_selectorELNS0_4arch9wavefront6targetE1EEEvSR_,comdat
	.protected	_ZN7rocprim17ROCPRIM_400000_NS6detail17trampoline_kernelINS0_14default_configENS1_22reduce_config_selectorIiEEZNS1_11reduce_implILb1ES3_N6thrust23THRUST_200600_302600_NS11hip_rocprim26transform_input_iterator_tIiNS8_12zip_iteratorINS8_5tupleIPjPiNS8_9null_typeESF_SF_SF_SF_SF_SF_SF_EEEEN6dUtils22getValueFilteredByMaskIjiEEEESE_iNS8_7maximumIjEEEE10hipError_tPvRmT1_T2_T3_mT4_P12ihipStream_tbEUlT_E0_NS1_11comp_targetILNS1_3genE0ELNS1_11target_archE4294967295ELNS1_3gpuE0ELNS1_3repE0EEENS1_30default_config_static_selectorELNS0_4arch9wavefront6targetE1EEEvSR_ ; -- Begin function _ZN7rocprim17ROCPRIM_400000_NS6detail17trampoline_kernelINS0_14default_configENS1_22reduce_config_selectorIiEEZNS1_11reduce_implILb1ES3_N6thrust23THRUST_200600_302600_NS11hip_rocprim26transform_input_iterator_tIiNS8_12zip_iteratorINS8_5tupleIPjPiNS8_9null_typeESF_SF_SF_SF_SF_SF_SF_EEEEN6dUtils22getValueFilteredByMaskIjiEEEESE_iNS8_7maximumIjEEEE10hipError_tPvRmT1_T2_T3_mT4_P12ihipStream_tbEUlT_E0_NS1_11comp_targetILNS1_3genE0ELNS1_11target_archE4294967295ELNS1_3gpuE0ELNS1_3repE0EEENS1_30default_config_static_selectorELNS0_4arch9wavefront6targetE1EEEvSR_
	.globl	_ZN7rocprim17ROCPRIM_400000_NS6detail17trampoline_kernelINS0_14default_configENS1_22reduce_config_selectorIiEEZNS1_11reduce_implILb1ES3_N6thrust23THRUST_200600_302600_NS11hip_rocprim26transform_input_iterator_tIiNS8_12zip_iteratorINS8_5tupleIPjPiNS8_9null_typeESF_SF_SF_SF_SF_SF_SF_EEEEN6dUtils22getValueFilteredByMaskIjiEEEESE_iNS8_7maximumIjEEEE10hipError_tPvRmT1_T2_T3_mT4_P12ihipStream_tbEUlT_E0_NS1_11comp_targetILNS1_3genE0ELNS1_11target_archE4294967295ELNS1_3gpuE0ELNS1_3repE0EEENS1_30default_config_static_selectorELNS0_4arch9wavefront6targetE1EEEvSR_
	.p2align	8
	.type	_ZN7rocprim17ROCPRIM_400000_NS6detail17trampoline_kernelINS0_14default_configENS1_22reduce_config_selectorIiEEZNS1_11reduce_implILb1ES3_N6thrust23THRUST_200600_302600_NS11hip_rocprim26transform_input_iterator_tIiNS8_12zip_iteratorINS8_5tupleIPjPiNS8_9null_typeESF_SF_SF_SF_SF_SF_SF_EEEEN6dUtils22getValueFilteredByMaskIjiEEEESE_iNS8_7maximumIjEEEE10hipError_tPvRmT1_T2_T3_mT4_P12ihipStream_tbEUlT_E0_NS1_11comp_targetILNS1_3genE0ELNS1_11target_archE4294967295ELNS1_3gpuE0ELNS1_3repE0EEENS1_30default_config_static_selectorELNS0_4arch9wavefront6targetE1EEEvSR_,@function
_ZN7rocprim17ROCPRIM_400000_NS6detail17trampoline_kernelINS0_14default_configENS1_22reduce_config_selectorIiEEZNS1_11reduce_implILb1ES3_N6thrust23THRUST_200600_302600_NS11hip_rocprim26transform_input_iterator_tIiNS8_12zip_iteratorINS8_5tupleIPjPiNS8_9null_typeESF_SF_SF_SF_SF_SF_SF_EEEEN6dUtils22getValueFilteredByMaskIjiEEEESE_iNS8_7maximumIjEEEE10hipError_tPvRmT1_T2_T3_mT4_P12ihipStream_tbEUlT_E0_NS1_11comp_targetILNS1_3genE0ELNS1_11target_archE4294967295ELNS1_3gpuE0ELNS1_3repE0EEENS1_30default_config_static_selectorELNS0_4arch9wavefront6targetE1EEEvSR_: ; @_ZN7rocprim17ROCPRIM_400000_NS6detail17trampoline_kernelINS0_14default_configENS1_22reduce_config_selectorIiEEZNS1_11reduce_implILb1ES3_N6thrust23THRUST_200600_302600_NS11hip_rocprim26transform_input_iterator_tIiNS8_12zip_iteratorINS8_5tupleIPjPiNS8_9null_typeESF_SF_SF_SF_SF_SF_SF_EEEEN6dUtils22getValueFilteredByMaskIjiEEEESE_iNS8_7maximumIjEEEE10hipError_tPvRmT1_T2_T3_mT4_P12ihipStream_tbEUlT_E0_NS1_11comp_targetILNS1_3genE0ELNS1_11target_archE4294967295ELNS1_3gpuE0ELNS1_3repE0EEENS1_30default_config_static_selectorELNS0_4arch9wavefront6targetE1EEEvSR_
; %bb.0:
	.section	.rodata,"a",@progbits
	.p2align	6, 0x0
	.amdhsa_kernel _ZN7rocprim17ROCPRIM_400000_NS6detail17trampoline_kernelINS0_14default_configENS1_22reduce_config_selectorIiEEZNS1_11reduce_implILb1ES3_N6thrust23THRUST_200600_302600_NS11hip_rocprim26transform_input_iterator_tIiNS8_12zip_iteratorINS8_5tupleIPjPiNS8_9null_typeESF_SF_SF_SF_SF_SF_SF_EEEEN6dUtils22getValueFilteredByMaskIjiEEEESE_iNS8_7maximumIjEEEE10hipError_tPvRmT1_T2_T3_mT4_P12ihipStream_tbEUlT_E0_NS1_11comp_targetILNS1_3genE0ELNS1_11target_archE4294967295ELNS1_3gpuE0ELNS1_3repE0EEENS1_30default_config_static_selectorELNS0_4arch9wavefront6targetE1EEEvSR_
		.amdhsa_group_segment_fixed_size 0
		.amdhsa_private_segment_fixed_size 0
		.amdhsa_kernarg_size 72
		.amdhsa_user_sgpr_count 6
		.amdhsa_user_sgpr_private_segment_buffer 1
		.amdhsa_user_sgpr_dispatch_ptr 0
		.amdhsa_user_sgpr_queue_ptr 0
		.amdhsa_user_sgpr_kernarg_segment_ptr 1
		.amdhsa_user_sgpr_dispatch_id 0
		.amdhsa_user_sgpr_flat_scratch_init 0
		.amdhsa_user_sgpr_kernarg_preload_length 0
		.amdhsa_user_sgpr_kernarg_preload_offset 0
		.amdhsa_user_sgpr_private_segment_size 0
		.amdhsa_uses_dynamic_stack 0
		.amdhsa_system_sgpr_private_segment_wavefront_offset 0
		.amdhsa_system_sgpr_workgroup_id_x 1
		.amdhsa_system_sgpr_workgroup_id_y 0
		.amdhsa_system_sgpr_workgroup_id_z 0
		.amdhsa_system_sgpr_workgroup_info 0
		.amdhsa_system_vgpr_workitem_id 0
		.amdhsa_next_free_vgpr 1
		.amdhsa_next_free_sgpr 0
		.amdhsa_accum_offset 4
		.amdhsa_reserve_vcc 0
		.amdhsa_reserve_flat_scratch 0
		.amdhsa_float_round_mode_32 0
		.amdhsa_float_round_mode_16_64 0
		.amdhsa_float_denorm_mode_32 3
		.amdhsa_float_denorm_mode_16_64 3
		.amdhsa_dx10_clamp 1
		.amdhsa_ieee_mode 1
		.amdhsa_fp16_overflow 0
		.amdhsa_tg_split 0
		.amdhsa_exception_fp_ieee_invalid_op 0
		.amdhsa_exception_fp_denorm_src 0
		.amdhsa_exception_fp_ieee_div_zero 0
		.amdhsa_exception_fp_ieee_overflow 0
		.amdhsa_exception_fp_ieee_underflow 0
		.amdhsa_exception_fp_ieee_inexact 0
		.amdhsa_exception_int_div_zero 0
	.end_amdhsa_kernel
	.section	.text._ZN7rocprim17ROCPRIM_400000_NS6detail17trampoline_kernelINS0_14default_configENS1_22reduce_config_selectorIiEEZNS1_11reduce_implILb1ES3_N6thrust23THRUST_200600_302600_NS11hip_rocprim26transform_input_iterator_tIiNS8_12zip_iteratorINS8_5tupleIPjPiNS8_9null_typeESF_SF_SF_SF_SF_SF_SF_EEEEN6dUtils22getValueFilteredByMaskIjiEEEESE_iNS8_7maximumIjEEEE10hipError_tPvRmT1_T2_T3_mT4_P12ihipStream_tbEUlT_E0_NS1_11comp_targetILNS1_3genE0ELNS1_11target_archE4294967295ELNS1_3gpuE0ELNS1_3repE0EEENS1_30default_config_static_selectorELNS0_4arch9wavefront6targetE1EEEvSR_,"axG",@progbits,_ZN7rocprim17ROCPRIM_400000_NS6detail17trampoline_kernelINS0_14default_configENS1_22reduce_config_selectorIiEEZNS1_11reduce_implILb1ES3_N6thrust23THRUST_200600_302600_NS11hip_rocprim26transform_input_iterator_tIiNS8_12zip_iteratorINS8_5tupleIPjPiNS8_9null_typeESF_SF_SF_SF_SF_SF_SF_EEEEN6dUtils22getValueFilteredByMaskIjiEEEESE_iNS8_7maximumIjEEEE10hipError_tPvRmT1_T2_T3_mT4_P12ihipStream_tbEUlT_E0_NS1_11comp_targetILNS1_3genE0ELNS1_11target_archE4294967295ELNS1_3gpuE0ELNS1_3repE0EEENS1_30default_config_static_selectorELNS0_4arch9wavefront6targetE1EEEvSR_,comdat
.Lfunc_end423:
	.size	_ZN7rocprim17ROCPRIM_400000_NS6detail17trampoline_kernelINS0_14default_configENS1_22reduce_config_selectorIiEEZNS1_11reduce_implILb1ES3_N6thrust23THRUST_200600_302600_NS11hip_rocprim26transform_input_iterator_tIiNS8_12zip_iteratorINS8_5tupleIPjPiNS8_9null_typeESF_SF_SF_SF_SF_SF_SF_EEEEN6dUtils22getValueFilteredByMaskIjiEEEESE_iNS8_7maximumIjEEEE10hipError_tPvRmT1_T2_T3_mT4_P12ihipStream_tbEUlT_E0_NS1_11comp_targetILNS1_3genE0ELNS1_11target_archE4294967295ELNS1_3gpuE0ELNS1_3repE0EEENS1_30default_config_static_selectorELNS0_4arch9wavefront6targetE1EEEvSR_, .Lfunc_end423-_ZN7rocprim17ROCPRIM_400000_NS6detail17trampoline_kernelINS0_14default_configENS1_22reduce_config_selectorIiEEZNS1_11reduce_implILb1ES3_N6thrust23THRUST_200600_302600_NS11hip_rocprim26transform_input_iterator_tIiNS8_12zip_iteratorINS8_5tupleIPjPiNS8_9null_typeESF_SF_SF_SF_SF_SF_SF_EEEEN6dUtils22getValueFilteredByMaskIjiEEEESE_iNS8_7maximumIjEEEE10hipError_tPvRmT1_T2_T3_mT4_P12ihipStream_tbEUlT_E0_NS1_11comp_targetILNS1_3genE0ELNS1_11target_archE4294967295ELNS1_3gpuE0ELNS1_3repE0EEENS1_30default_config_static_selectorELNS0_4arch9wavefront6targetE1EEEvSR_
                                        ; -- End function
	.section	.AMDGPU.csdata,"",@progbits
; Kernel info:
; codeLenInByte = 0
; NumSgprs: 4
; NumVgprs: 0
; NumAgprs: 0
; TotalNumVgprs: 0
; ScratchSize: 0
; MemoryBound: 0
; FloatMode: 240
; IeeeMode: 1
; LDSByteSize: 0 bytes/workgroup (compile time only)
; SGPRBlocks: 0
; VGPRBlocks: 0
; NumSGPRsForWavesPerEU: 4
; NumVGPRsForWavesPerEU: 1
; AccumOffset: 4
; Occupancy: 8
; WaveLimiterHint : 0
; COMPUTE_PGM_RSRC2:SCRATCH_EN: 0
; COMPUTE_PGM_RSRC2:USER_SGPR: 6
; COMPUTE_PGM_RSRC2:TRAP_HANDLER: 0
; COMPUTE_PGM_RSRC2:TGID_X_EN: 1
; COMPUTE_PGM_RSRC2:TGID_Y_EN: 0
; COMPUTE_PGM_RSRC2:TGID_Z_EN: 0
; COMPUTE_PGM_RSRC2:TIDIG_COMP_CNT: 0
; COMPUTE_PGM_RSRC3_GFX90A:ACCUM_OFFSET: 0
; COMPUTE_PGM_RSRC3_GFX90A:TG_SPLIT: 0
	.section	.text._ZN7rocprim17ROCPRIM_400000_NS6detail17trampoline_kernelINS0_14default_configENS1_22reduce_config_selectorIiEEZNS1_11reduce_implILb1ES3_N6thrust23THRUST_200600_302600_NS11hip_rocprim26transform_input_iterator_tIiNS8_12zip_iteratorINS8_5tupleIPjPiNS8_9null_typeESF_SF_SF_SF_SF_SF_SF_EEEEN6dUtils22getValueFilteredByMaskIjiEEEESE_iNS8_7maximumIjEEEE10hipError_tPvRmT1_T2_T3_mT4_P12ihipStream_tbEUlT_E0_NS1_11comp_targetILNS1_3genE5ELNS1_11target_archE942ELNS1_3gpuE9ELNS1_3repE0EEENS1_30default_config_static_selectorELNS0_4arch9wavefront6targetE1EEEvSR_,"axG",@progbits,_ZN7rocprim17ROCPRIM_400000_NS6detail17trampoline_kernelINS0_14default_configENS1_22reduce_config_selectorIiEEZNS1_11reduce_implILb1ES3_N6thrust23THRUST_200600_302600_NS11hip_rocprim26transform_input_iterator_tIiNS8_12zip_iteratorINS8_5tupleIPjPiNS8_9null_typeESF_SF_SF_SF_SF_SF_SF_EEEEN6dUtils22getValueFilteredByMaskIjiEEEESE_iNS8_7maximumIjEEEE10hipError_tPvRmT1_T2_T3_mT4_P12ihipStream_tbEUlT_E0_NS1_11comp_targetILNS1_3genE5ELNS1_11target_archE942ELNS1_3gpuE9ELNS1_3repE0EEENS1_30default_config_static_selectorELNS0_4arch9wavefront6targetE1EEEvSR_,comdat
	.protected	_ZN7rocprim17ROCPRIM_400000_NS6detail17trampoline_kernelINS0_14default_configENS1_22reduce_config_selectorIiEEZNS1_11reduce_implILb1ES3_N6thrust23THRUST_200600_302600_NS11hip_rocprim26transform_input_iterator_tIiNS8_12zip_iteratorINS8_5tupleIPjPiNS8_9null_typeESF_SF_SF_SF_SF_SF_SF_EEEEN6dUtils22getValueFilteredByMaskIjiEEEESE_iNS8_7maximumIjEEEE10hipError_tPvRmT1_T2_T3_mT4_P12ihipStream_tbEUlT_E0_NS1_11comp_targetILNS1_3genE5ELNS1_11target_archE942ELNS1_3gpuE9ELNS1_3repE0EEENS1_30default_config_static_selectorELNS0_4arch9wavefront6targetE1EEEvSR_ ; -- Begin function _ZN7rocprim17ROCPRIM_400000_NS6detail17trampoline_kernelINS0_14default_configENS1_22reduce_config_selectorIiEEZNS1_11reduce_implILb1ES3_N6thrust23THRUST_200600_302600_NS11hip_rocprim26transform_input_iterator_tIiNS8_12zip_iteratorINS8_5tupleIPjPiNS8_9null_typeESF_SF_SF_SF_SF_SF_SF_EEEEN6dUtils22getValueFilteredByMaskIjiEEEESE_iNS8_7maximumIjEEEE10hipError_tPvRmT1_T2_T3_mT4_P12ihipStream_tbEUlT_E0_NS1_11comp_targetILNS1_3genE5ELNS1_11target_archE942ELNS1_3gpuE9ELNS1_3repE0EEENS1_30default_config_static_selectorELNS0_4arch9wavefront6targetE1EEEvSR_
	.globl	_ZN7rocprim17ROCPRIM_400000_NS6detail17trampoline_kernelINS0_14default_configENS1_22reduce_config_selectorIiEEZNS1_11reduce_implILb1ES3_N6thrust23THRUST_200600_302600_NS11hip_rocprim26transform_input_iterator_tIiNS8_12zip_iteratorINS8_5tupleIPjPiNS8_9null_typeESF_SF_SF_SF_SF_SF_SF_EEEEN6dUtils22getValueFilteredByMaskIjiEEEESE_iNS8_7maximumIjEEEE10hipError_tPvRmT1_T2_T3_mT4_P12ihipStream_tbEUlT_E0_NS1_11comp_targetILNS1_3genE5ELNS1_11target_archE942ELNS1_3gpuE9ELNS1_3repE0EEENS1_30default_config_static_selectorELNS0_4arch9wavefront6targetE1EEEvSR_
	.p2align	8
	.type	_ZN7rocprim17ROCPRIM_400000_NS6detail17trampoline_kernelINS0_14default_configENS1_22reduce_config_selectorIiEEZNS1_11reduce_implILb1ES3_N6thrust23THRUST_200600_302600_NS11hip_rocprim26transform_input_iterator_tIiNS8_12zip_iteratorINS8_5tupleIPjPiNS8_9null_typeESF_SF_SF_SF_SF_SF_SF_EEEEN6dUtils22getValueFilteredByMaskIjiEEEESE_iNS8_7maximumIjEEEE10hipError_tPvRmT1_T2_T3_mT4_P12ihipStream_tbEUlT_E0_NS1_11comp_targetILNS1_3genE5ELNS1_11target_archE942ELNS1_3gpuE9ELNS1_3repE0EEENS1_30default_config_static_selectorELNS0_4arch9wavefront6targetE1EEEvSR_,@function
_ZN7rocprim17ROCPRIM_400000_NS6detail17trampoline_kernelINS0_14default_configENS1_22reduce_config_selectorIiEEZNS1_11reduce_implILb1ES3_N6thrust23THRUST_200600_302600_NS11hip_rocprim26transform_input_iterator_tIiNS8_12zip_iteratorINS8_5tupleIPjPiNS8_9null_typeESF_SF_SF_SF_SF_SF_SF_EEEEN6dUtils22getValueFilteredByMaskIjiEEEESE_iNS8_7maximumIjEEEE10hipError_tPvRmT1_T2_T3_mT4_P12ihipStream_tbEUlT_E0_NS1_11comp_targetILNS1_3genE5ELNS1_11target_archE942ELNS1_3gpuE9ELNS1_3repE0EEENS1_30default_config_static_selectorELNS0_4arch9wavefront6targetE1EEEvSR_: ; @_ZN7rocprim17ROCPRIM_400000_NS6detail17trampoline_kernelINS0_14default_configENS1_22reduce_config_selectorIiEEZNS1_11reduce_implILb1ES3_N6thrust23THRUST_200600_302600_NS11hip_rocprim26transform_input_iterator_tIiNS8_12zip_iteratorINS8_5tupleIPjPiNS8_9null_typeESF_SF_SF_SF_SF_SF_SF_EEEEN6dUtils22getValueFilteredByMaskIjiEEEESE_iNS8_7maximumIjEEEE10hipError_tPvRmT1_T2_T3_mT4_P12ihipStream_tbEUlT_E0_NS1_11comp_targetILNS1_3genE5ELNS1_11target_archE942ELNS1_3gpuE9ELNS1_3repE0EEENS1_30default_config_static_selectorELNS0_4arch9wavefront6targetE1EEEvSR_
; %bb.0:
	.section	.rodata,"a",@progbits
	.p2align	6, 0x0
	.amdhsa_kernel _ZN7rocprim17ROCPRIM_400000_NS6detail17trampoline_kernelINS0_14default_configENS1_22reduce_config_selectorIiEEZNS1_11reduce_implILb1ES3_N6thrust23THRUST_200600_302600_NS11hip_rocprim26transform_input_iterator_tIiNS8_12zip_iteratorINS8_5tupleIPjPiNS8_9null_typeESF_SF_SF_SF_SF_SF_SF_EEEEN6dUtils22getValueFilteredByMaskIjiEEEESE_iNS8_7maximumIjEEEE10hipError_tPvRmT1_T2_T3_mT4_P12ihipStream_tbEUlT_E0_NS1_11comp_targetILNS1_3genE5ELNS1_11target_archE942ELNS1_3gpuE9ELNS1_3repE0EEENS1_30default_config_static_selectorELNS0_4arch9wavefront6targetE1EEEvSR_
		.amdhsa_group_segment_fixed_size 0
		.amdhsa_private_segment_fixed_size 0
		.amdhsa_kernarg_size 72
		.amdhsa_user_sgpr_count 6
		.amdhsa_user_sgpr_private_segment_buffer 1
		.amdhsa_user_sgpr_dispatch_ptr 0
		.amdhsa_user_sgpr_queue_ptr 0
		.amdhsa_user_sgpr_kernarg_segment_ptr 1
		.amdhsa_user_sgpr_dispatch_id 0
		.amdhsa_user_sgpr_flat_scratch_init 0
		.amdhsa_user_sgpr_kernarg_preload_length 0
		.amdhsa_user_sgpr_kernarg_preload_offset 0
		.amdhsa_user_sgpr_private_segment_size 0
		.amdhsa_uses_dynamic_stack 0
		.amdhsa_system_sgpr_private_segment_wavefront_offset 0
		.amdhsa_system_sgpr_workgroup_id_x 1
		.amdhsa_system_sgpr_workgroup_id_y 0
		.amdhsa_system_sgpr_workgroup_id_z 0
		.amdhsa_system_sgpr_workgroup_info 0
		.amdhsa_system_vgpr_workitem_id 0
		.amdhsa_next_free_vgpr 1
		.amdhsa_next_free_sgpr 0
		.amdhsa_accum_offset 4
		.amdhsa_reserve_vcc 0
		.amdhsa_reserve_flat_scratch 0
		.amdhsa_float_round_mode_32 0
		.amdhsa_float_round_mode_16_64 0
		.amdhsa_float_denorm_mode_32 3
		.amdhsa_float_denorm_mode_16_64 3
		.amdhsa_dx10_clamp 1
		.amdhsa_ieee_mode 1
		.amdhsa_fp16_overflow 0
		.amdhsa_tg_split 0
		.amdhsa_exception_fp_ieee_invalid_op 0
		.amdhsa_exception_fp_denorm_src 0
		.amdhsa_exception_fp_ieee_div_zero 0
		.amdhsa_exception_fp_ieee_overflow 0
		.amdhsa_exception_fp_ieee_underflow 0
		.amdhsa_exception_fp_ieee_inexact 0
		.amdhsa_exception_int_div_zero 0
	.end_amdhsa_kernel
	.section	.text._ZN7rocprim17ROCPRIM_400000_NS6detail17trampoline_kernelINS0_14default_configENS1_22reduce_config_selectorIiEEZNS1_11reduce_implILb1ES3_N6thrust23THRUST_200600_302600_NS11hip_rocprim26transform_input_iterator_tIiNS8_12zip_iteratorINS8_5tupleIPjPiNS8_9null_typeESF_SF_SF_SF_SF_SF_SF_EEEEN6dUtils22getValueFilteredByMaskIjiEEEESE_iNS8_7maximumIjEEEE10hipError_tPvRmT1_T2_T3_mT4_P12ihipStream_tbEUlT_E0_NS1_11comp_targetILNS1_3genE5ELNS1_11target_archE942ELNS1_3gpuE9ELNS1_3repE0EEENS1_30default_config_static_selectorELNS0_4arch9wavefront6targetE1EEEvSR_,"axG",@progbits,_ZN7rocprim17ROCPRIM_400000_NS6detail17trampoline_kernelINS0_14default_configENS1_22reduce_config_selectorIiEEZNS1_11reduce_implILb1ES3_N6thrust23THRUST_200600_302600_NS11hip_rocprim26transform_input_iterator_tIiNS8_12zip_iteratorINS8_5tupleIPjPiNS8_9null_typeESF_SF_SF_SF_SF_SF_SF_EEEEN6dUtils22getValueFilteredByMaskIjiEEEESE_iNS8_7maximumIjEEEE10hipError_tPvRmT1_T2_T3_mT4_P12ihipStream_tbEUlT_E0_NS1_11comp_targetILNS1_3genE5ELNS1_11target_archE942ELNS1_3gpuE9ELNS1_3repE0EEENS1_30default_config_static_selectorELNS0_4arch9wavefront6targetE1EEEvSR_,comdat
.Lfunc_end424:
	.size	_ZN7rocprim17ROCPRIM_400000_NS6detail17trampoline_kernelINS0_14default_configENS1_22reduce_config_selectorIiEEZNS1_11reduce_implILb1ES3_N6thrust23THRUST_200600_302600_NS11hip_rocprim26transform_input_iterator_tIiNS8_12zip_iteratorINS8_5tupleIPjPiNS8_9null_typeESF_SF_SF_SF_SF_SF_SF_EEEEN6dUtils22getValueFilteredByMaskIjiEEEESE_iNS8_7maximumIjEEEE10hipError_tPvRmT1_T2_T3_mT4_P12ihipStream_tbEUlT_E0_NS1_11comp_targetILNS1_3genE5ELNS1_11target_archE942ELNS1_3gpuE9ELNS1_3repE0EEENS1_30default_config_static_selectorELNS0_4arch9wavefront6targetE1EEEvSR_, .Lfunc_end424-_ZN7rocprim17ROCPRIM_400000_NS6detail17trampoline_kernelINS0_14default_configENS1_22reduce_config_selectorIiEEZNS1_11reduce_implILb1ES3_N6thrust23THRUST_200600_302600_NS11hip_rocprim26transform_input_iterator_tIiNS8_12zip_iteratorINS8_5tupleIPjPiNS8_9null_typeESF_SF_SF_SF_SF_SF_SF_EEEEN6dUtils22getValueFilteredByMaskIjiEEEESE_iNS8_7maximumIjEEEE10hipError_tPvRmT1_T2_T3_mT4_P12ihipStream_tbEUlT_E0_NS1_11comp_targetILNS1_3genE5ELNS1_11target_archE942ELNS1_3gpuE9ELNS1_3repE0EEENS1_30default_config_static_selectorELNS0_4arch9wavefront6targetE1EEEvSR_
                                        ; -- End function
	.section	.AMDGPU.csdata,"",@progbits
; Kernel info:
; codeLenInByte = 0
; NumSgprs: 4
; NumVgprs: 0
; NumAgprs: 0
; TotalNumVgprs: 0
; ScratchSize: 0
; MemoryBound: 0
; FloatMode: 240
; IeeeMode: 1
; LDSByteSize: 0 bytes/workgroup (compile time only)
; SGPRBlocks: 0
; VGPRBlocks: 0
; NumSGPRsForWavesPerEU: 4
; NumVGPRsForWavesPerEU: 1
; AccumOffset: 4
; Occupancy: 8
; WaveLimiterHint : 0
; COMPUTE_PGM_RSRC2:SCRATCH_EN: 0
; COMPUTE_PGM_RSRC2:USER_SGPR: 6
; COMPUTE_PGM_RSRC2:TRAP_HANDLER: 0
; COMPUTE_PGM_RSRC2:TGID_X_EN: 1
; COMPUTE_PGM_RSRC2:TGID_Y_EN: 0
; COMPUTE_PGM_RSRC2:TGID_Z_EN: 0
; COMPUTE_PGM_RSRC2:TIDIG_COMP_CNT: 0
; COMPUTE_PGM_RSRC3_GFX90A:ACCUM_OFFSET: 0
; COMPUTE_PGM_RSRC3_GFX90A:TG_SPLIT: 0
	.section	.text._ZN7rocprim17ROCPRIM_400000_NS6detail17trampoline_kernelINS0_14default_configENS1_22reduce_config_selectorIiEEZNS1_11reduce_implILb1ES3_N6thrust23THRUST_200600_302600_NS11hip_rocprim26transform_input_iterator_tIiNS8_12zip_iteratorINS8_5tupleIPjPiNS8_9null_typeESF_SF_SF_SF_SF_SF_SF_EEEEN6dUtils22getValueFilteredByMaskIjiEEEESE_iNS8_7maximumIjEEEE10hipError_tPvRmT1_T2_T3_mT4_P12ihipStream_tbEUlT_E0_NS1_11comp_targetILNS1_3genE4ELNS1_11target_archE910ELNS1_3gpuE8ELNS1_3repE0EEENS1_30default_config_static_selectorELNS0_4arch9wavefront6targetE1EEEvSR_,"axG",@progbits,_ZN7rocprim17ROCPRIM_400000_NS6detail17trampoline_kernelINS0_14default_configENS1_22reduce_config_selectorIiEEZNS1_11reduce_implILb1ES3_N6thrust23THRUST_200600_302600_NS11hip_rocprim26transform_input_iterator_tIiNS8_12zip_iteratorINS8_5tupleIPjPiNS8_9null_typeESF_SF_SF_SF_SF_SF_SF_EEEEN6dUtils22getValueFilteredByMaskIjiEEEESE_iNS8_7maximumIjEEEE10hipError_tPvRmT1_T2_T3_mT4_P12ihipStream_tbEUlT_E0_NS1_11comp_targetILNS1_3genE4ELNS1_11target_archE910ELNS1_3gpuE8ELNS1_3repE0EEENS1_30default_config_static_selectorELNS0_4arch9wavefront6targetE1EEEvSR_,comdat
	.protected	_ZN7rocprim17ROCPRIM_400000_NS6detail17trampoline_kernelINS0_14default_configENS1_22reduce_config_selectorIiEEZNS1_11reduce_implILb1ES3_N6thrust23THRUST_200600_302600_NS11hip_rocprim26transform_input_iterator_tIiNS8_12zip_iteratorINS8_5tupleIPjPiNS8_9null_typeESF_SF_SF_SF_SF_SF_SF_EEEEN6dUtils22getValueFilteredByMaskIjiEEEESE_iNS8_7maximumIjEEEE10hipError_tPvRmT1_T2_T3_mT4_P12ihipStream_tbEUlT_E0_NS1_11comp_targetILNS1_3genE4ELNS1_11target_archE910ELNS1_3gpuE8ELNS1_3repE0EEENS1_30default_config_static_selectorELNS0_4arch9wavefront6targetE1EEEvSR_ ; -- Begin function _ZN7rocprim17ROCPRIM_400000_NS6detail17trampoline_kernelINS0_14default_configENS1_22reduce_config_selectorIiEEZNS1_11reduce_implILb1ES3_N6thrust23THRUST_200600_302600_NS11hip_rocprim26transform_input_iterator_tIiNS8_12zip_iteratorINS8_5tupleIPjPiNS8_9null_typeESF_SF_SF_SF_SF_SF_SF_EEEEN6dUtils22getValueFilteredByMaskIjiEEEESE_iNS8_7maximumIjEEEE10hipError_tPvRmT1_T2_T3_mT4_P12ihipStream_tbEUlT_E0_NS1_11comp_targetILNS1_3genE4ELNS1_11target_archE910ELNS1_3gpuE8ELNS1_3repE0EEENS1_30default_config_static_selectorELNS0_4arch9wavefront6targetE1EEEvSR_
	.globl	_ZN7rocprim17ROCPRIM_400000_NS6detail17trampoline_kernelINS0_14default_configENS1_22reduce_config_selectorIiEEZNS1_11reduce_implILb1ES3_N6thrust23THRUST_200600_302600_NS11hip_rocprim26transform_input_iterator_tIiNS8_12zip_iteratorINS8_5tupleIPjPiNS8_9null_typeESF_SF_SF_SF_SF_SF_SF_EEEEN6dUtils22getValueFilteredByMaskIjiEEEESE_iNS8_7maximumIjEEEE10hipError_tPvRmT1_T2_T3_mT4_P12ihipStream_tbEUlT_E0_NS1_11comp_targetILNS1_3genE4ELNS1_11target_archE910ELNS1_3gpuE8ELNS1_3repE0EEENS1_30default_config_static_selectorELNS0_4arch9wavefront6targetE1EEEvSR_
	.p2align	8
	.type	_ZN7rocprim17ROCPRIM_400000_NS6detail17trampoline_kernelINS0_14default_configENS1_22reduce_config_selectorIiEEZNS1_11reduce_implILb1ES3_N6thrust23THRUST_200600_302600_NS11hip_rocprim26transform_input_iterator_tIiNS8_12zip_iteratorINS8_5tupleIPjPiNS8_9null_typeESF_SF_SF_SF_SF_SF_SF_EEEEN6dUtils22getValueFilteredByMaskIjiEEEESE_iNS8_7maximumIjEEEE10hipError_tPvRmT1_T2_T3_mT4_P12ihipStream_tbEUlT_E0_NS1_11comp_targetILNS1_3genE4ELNS1_11target_archE910ELNS1_3gpuE8ELNS1_3repE0EEENS1_30default_config_static_selectorELNS0_4arch9wavefront6targetE1EEEvSR_,@function
_ZN7rocprim17ROCPRIM_400000_NS6detail17trampoline_kernelINS0_14default_configENS1_22reduce_config_selectorIiEEZNS1_11reduce_implILb1ES3_N6thrust23THRUST_200600_302600_NS11hip_rocprim26transform_input_iterator_tIiNS8_12zip_iteratorINS8_5tupleIPjPiNS8_9null_typeESF_SF_SF_SF_SF_SF_SF_EEEEN6dUtils22getValueFilteredByMaskIjiEEEESE_iNS8_7maximumIjEEEE10hipError_tPvRmT1_T2_T3_mT4_P12ihipStream_tbEUlT_E0_NS1_11comp_targetILNS1_3genE4ELNS1_11target_archE910ELNS1_3gpuE8ELNS1_3repE0EEENS1_30default_config_static_selectorELNS0_4arch9wavefront6targetE1EEEvSR_: ; @_ZN7rocprim17ROCPRIM_400000_NS6detail17trampoline_kernelINS0_14default_configENS1_22reduce_config_selectorIiEEZNS1_11reduce_implILb1ES3_N6thrust23THRUST_200600_302600_NS11hip_rocprim26transform_input_iterator_tIiNS8_12zip_iteratorINS8_5tupleIPjPiNS8_9null_typeESF_SF_SF_SF_SF_SF_SF_EEEEN6dUtils22getValueFilteredByMaskIjiEEEESE_iNS8_7maximumIjEEEE10hipError_tPvRmT1_T2_T3_mT4_P12ihipStream_tbEUlT_E0_NS1_11comp_targetILNS1_3genE4ELNS1_11target_archE910ELNS1_3gpuE8ELNS1_3repE0EEENS1_30default_config_static_selectorELNS0_4arch9wavefront6targetE1EEEvSR_
; %bb.0:
	s_load_dwordx8 s[16:23], s[4:5], 0x18
	s_load_dwordx4 s[0:3], s[4:5], 0x0
	s_load_dword s29, s[4:5], 0x10
	s_load_dwordx2 s[24:25], s[4:5], 0x38
	v_lshlrev_b32_e32 v10, 2, v0
	s_waitcnt lgkmcnt(0)
	s_lshl_b64 s[8:9], s[16:17], 2
	s_add_u32 s10, s0, s8
	s_addc_u32 s11, s1, s9
	s_add_u32 s12, s2, s8
	s_addc_u32 s13, s3, s9
	s_lshl_b32 s0, s6, 10
	s_mov_b32 s1, 0
	s_lshr_b64 s[2:3], s[18:19], 10
	s_lshl_b64 s[8:9], s[0:1], 2
	s_add_u32 s14, s10, s8
	s_addc_u32 s15, s11, s9
	s_add_u32 s16, s12, s8
	s_mov_b32 s7, s1
	s_addc_u32 s17, s13, s9
	s_cmp_lg_u64 s[2:3], s[6:7]
	v_mbcnt_lo_u32_b32 v1, -1, 0
	s_cbranch_scc0 .LBB425_6
; %bb.1:
	global_load_dword v2, v10, s[16:17]
	global_load_dword v5, v10, s[14:15]
	global_load_dword v6, v10, s[16:17] offset:512
	global_load_dword v7, v10, s[14:15] offset:512
	;; [unrolled: 1-line block ×14, first 2 shown]
	v_mbcnt_hi_u32_b32 v3, -1, v1
	v_lshlrev_b32_e32 v4, 2, v3
	s_waitcnt vmcnt(15)
	v_cmp_eq_u32_e32 vcc, s29, v2
	s_waitcnt vmcnt(14)
	v_cndmask_b32_e32 v2, 0, v5, vcc
	s_waitcnt vmcnt(13)
	v_cmp_eq_u32_e32 vcc, s29, v6
	s_waitcnt vmcnt(12)
	v_cndmask_b32_e32 v5, 0, v7, vcc
	;; [unrolled: 4-line block ×6, first 2 shown]
	s_waitcnt vmcnt(3)
	v_cmp_eq_u32_e32 vcc, s29, v17
	v_max_u32_e32 v2, v2, v5
	s_waitcnt vmcnt(2)
	v_cndmask_b32_e32 v11, 0, v18, vcc
	s_waitcnt vmcnt(1)
	v_cmp_eq_u32_e32 vcc, s29, v19
	v_max3_u32 v2, v2, v6, v7
	s_waitcnt vmcnt(0)
	v_cndmask_b32_e32 v12, 0, v20, vcc
	v_max3_u32 v2, v2, v8, v9
	v_max3_u32 v2, v2, v11, v12
	v_or_b32_e32 v5, 0xfc, v4
	v_cmp_eq_u32_e32 vcc, 0, v3
	v_max_u32_dpp v2, v2, v2 quad_perm:[1,0,3,2] row_mask:0xf bank_mask:0xf bound_ctrl:1
	s_nop 1
	v_max_u32_dpp v2, v2, v2 quad_perm:[2,3,0,1] row_mask:0xf bank_mask:0xf bound_ctrl:1
	s_nop 1
	v_max_u32_dpp v2, v2, v2 row_ror:4 row_mask:0xf bank_mask:0xf bound_ctrl:1
	s_nop 1
	v_max_u32_dpp v2, v2, v2 row_ror:8 row_mask:0xf bank_mask:0xf bound_ctrl:1
	s_nop 1
	v_max_u32_dpp v2, v2, v2 row_bcast:15 row_mask:0xf bank_mask:0xf bound_ctrl:1
	s_nop 1
	v_max_u32_dpp v2, v2, v2 row_bcast:31 row_mask:0xf bank_mask:0xf bound_ctrl:1
	ds_bpermute_b32 v2, v5, v2
	s_and_saveexec_b64 s[2:3], vcc
	s_cbranch_execz .LBB425_3
; %bb.2:
	v_lshrrev_b32_e32 v5, 4, v0
	v_and_b32_e32 v5, 4, v5
	s_waitcnt lgkmcnt(0)
	ds_write_b32 v5, v2
.LBB425_3:
	s_or_b64 exec, exec, s[2:3]
	v_cmp_gt_u32_e32 vcc, 64, v0
	s_waitcnt lgkmcnt(0)
	s_barrier
	s_and_saveexec_b64 s[2:3], vcc
	s_cbranch_execz .LBB425_5
; %bb.4:
	v_and_b32_e32 v2, 1, v3
	v_lshlrev_b32_e32 v2, 2, v2
	ds_read_b32 v2, v2
	v_or_b32_e32 v3, 4, v4
	s_waitcnt lgkmcnt(0)
	ds_bpermute_b32 v3, v3, v2
	s_waitcnt lgkmcnt(0)
	v_max_u32_e32 v2, v2, v3
.LBB425_5:
	s_or_b64 exec, exec, s[2:3]
	s_load_dword s28, s[4:5], 0x40
	s_branch .LBB425_28
.LBB425_6:
                                        ; implicit-def: $vgpr2
	s_load_dword s28, s[4:5], 0x40
	s_cbranch_execz .LBB425_28
; %bb.7:
	s_sub_i32 s30, s18, s0
	v_cmp_gt_u32_e32 vcc, s30, v0
                                        ; implicit-def: $vgpr2_vgpr3_vgpr4_vgpr5_vgpr6_vgpr7_vgpr8_vgpr9
	s_and_saveexec_b64 s[0:1], vcc
	s_cbranch_execz .LBB425_9
; %bb.8:
	global_load_dword v2, v10, s[16:17]
	global_load_dword v3, v10, s[14:15]
	s_waitcnt vmcnt(1)
	v_cmp_eq_u32_e32 vcc, s29, v2
	s_waitcnt vmcnt(0)
	v_cndmask_b32_e32 v2, 0, v3, vcc
.LBB425_9:
	s_or_b64 exec, exec, s[0:1]
	v_or_b32_e32 v11, 0x80, v0
	v_cmp_gt_u32_e32 vcc, s30, v11
	s_and_saveexec_b64 s[2:3], vcc
	s_cbranch_execz .LBB425_11
; %bb.10:
	global_load_dword v3, v10, s[16:17] offset:512
	global_load_dword v11, v10, s[14:15] offset:512
	s_waitcnt vmcnt(1)
	v_cmp_eq_u32_e64 s[0:1], s29, v3
	s_waitcnt vmcnt(0)
	v_cndmask_b32_e64 v3, 0, v11, s[0:1]
.LBB425_11:
	s_or_b64 exec, exec, s[2:3]
	v_or_b32_e32 v11, 0x100, v0
	v_cmp_gt_u32_e64 s[0:1], s30, v11
	s_and_saveexec_b64 s[4:5], s[0:1]
	s_cbranch_execz .LBB425_13
; %bb.12:
	global_load_dword v4, v10, s[16:17] offset:1024
	global_load_dword v11, v10, s[14:15] offset:1024
	s_waitcnt vmcnt(1)
	v_cmp_eq_u32_e64 s[2:3], s29, v4
	s_waitcnt vmcnt(0)
	v_cndmask_b32_e64 v4, 0, v11, s[2:3]
.LBB425_13:
	s_or_b64 exec, exec, s[4:5]
	v_or_b32_e32 v11, 0x180, v0
	v_cmp_gt_u32_e64 s[2:3], s30, v11
	s_and_saveexec_b64 s[8:9], s[2:3]
	;; [unrolled: 13-line block ×6, first 2 shown]
	s_cbranch_execz .LBB425_23
; %bb.22:
	global_load_dword v9, v10, s[16:17] offset:3584
	global_load_dword v11, v10, s[14:15] offset:3584
	s_waitcnt vmcnt(1)
	v_cmp_eq_u32_e64 s[14:15], s29, v9
	s_waitcnt vmcnt(0)
	v_cndmask_b32_e64 v9, 0, v11, s[14:15]
.LBB425_23:
	s_or_b64 exec, exec, s[26:27]
	v_max_u32_e32 v3, v2, v3
	v_cndmask_b32_e32 v2, v2, v3, vcc
	v_max_u32_e32 v3, v2, v4
	v_cndmask_b32_e64 v2, v2, v3, s[0:1]
	v_max_u32_e32 v3, v2, v5
	v_cndmask_b32_e64 v2, v2, v3, s[2:3]
	;; [unrolled: 2-line block ×5, first 2 shown]
	v_max_u32_e32 v3, v2, v9
	v_mbcnt_hi_u32_b32 v1, -1, v1
	v_cndmask_b32_e64 v2, v2, v3, s[12:13]
	v_and_b32_e32 v3, 63, v1
	v_cmp_ne_u32_e32 vcc, 63, v3
	v_addc_co_u32_e32 v4, vcc, 0, v1, vcc
	v_lshlrev_b32_e32 v4, 2, v4
	ds_bpermute_b32 v4, v4, v2
	s_min_u32 s2, s30, 0x80
	v_and_b32_e32 v5, 64, v0
	v_sub_u32_e64 v5, s2, v5 clamp
	v_add_u32_e32 v6, 1, v3
	s_waitcnt lgkmcnt(0)
	v_max_u32_e32 v4, v2, v4
	v_cmp_lt_u32_e32 vcc, v6, v5
	v_cndmask_b32_e32 v2, v2, v4, vcc
	v_cmp_gt_u32_e32 vcc, 62, v3
	v_cndmask_b32_e64 v4, 0, 1, vcc
	v_lshlrev_b32_e32 v4, 1, v4
	v_add_lshl_u32 v4, v4, v1, 2
	ds_bpermute_b32 v4, v4, v2
	v_add_u32_e32 v6, 2, v3
	v_cmp_lt_u32_e32 vcc, v6, v5
	v_add_u32_e32 v6, 4, v3
	s_waitcnt lgkmcnt(0)
	v_max_u32_e32 v4, v2, v4
	v_cndmask_b32_e32 v2, v2, v4, vcc
	v_cmp_gt_u32_e32 vcc, 60, v3
	v_cndmask_b32_e64 v4, 0, 1, vcc
	v_lshlrev_b32_e32 v4, 2, v4
	v_add_lshl_u32 v4, v4, v1, 2
	ds_bpermute_b32 v4, v4, v2
	v_cmp_lt_u32_e32 vcc, v6, v5
	v_add_u32_e32 v6, 8, v3
	s_waitcnt lgkmcnt(0)
	v_max_u32_e32 v4, v2, v4
	v_cndmask_b32_e32 v2, v2, v4, vcc
	v_cmp_gt_u32_e32 vcc, 56, v3
	v_cndmask_b32_e64 v4, 0, 1, vcc
	v_lshlrev_b32_e32 v4, 3, v4
	v_add_lshl_u32 v4, v4, v1, 2
	ds_bpermute_b32 v4, v4, v2
	;; [unrolled: 10-line block ×3, first 2 shown]
	v_cmp_lt_u32_e32 vcc, v6, v5
	s_waitcnt lgkmcnt(0)
	v_max_u32_e32 v4, v2, v4
	v_cndmask_b32_e32 v2, v2, v4, vcc
	v_cmp_gt_u32_e32 vcc, 32, v3
	v_cndmask_b32_e64 v4, 0, 1, vcc
	v_lshlrev_b32_e32 v4, 5, v4
	v_add_lshl_u32 v4, v4, v1, 2
	ds_bpermute_b32 v4, v4, v2
	v_add_u32_e32 v3, 32, v3
	v_cmp_lt_u32_e32 vcc, v3, v5
	s_waitcnt lgkmcnt(0)
	v_max_u32_e32 v4, v2, v4
	v_cndmask_b32_e32 v2, v2, v4, vcc
	v_cmp_eq_u32_e32 vcc, 0, v1
	s_and_saveexec_b64 s[0:1], vcc
	s_cbranch_execz .LBB425_25
; %bb.24:
	v_lshrrev_b32_e32 v3, 4, v0
	v_and_b32_e32 v3, 4, v3
	ds_write_b32 v3, v2 offset:8
.LBB425_25:
	s_or_b64 exec, exec, s[0:1]
	v_cmp_gt_u32_e32 vcc, 2, v0
	s_waitcnt lgkmcnt(0)
	s_barrier
	s_and_saveexec_b64 s[0:1], vcc
	s_cbranch_execz .LBB425_27
; %bb.26:
	v_lshlrev_b32_e32 v2, 2, v1
	ds_read_b32 v3, v2 offset:8
	v_or_b32_e32 v2, 4, v2
	s_add_i32 s2, s2, 63
	v_and_b32_e32 v1, 1, v1
	s_lshr_b32 s2, s2, 6
	s_waitcnt lgkmcnt(0)
	ds_bpermute_b32 v2, v2, v3
	v_add_u32_e32 v1, 1, v1
	v_cmp_gt_u32_e32 vcc, s2, v1
	s_waitcnt lgkmcnt(0)
	v_max_u32_e32 v2, v3, v2
	v_cndmask_b32_e32 v2, v3, v2, vcc
.LBB425_27:
	s_or_b64 exec, exec, s[0:1]
.LBB425_28:
	v_cmp_eq_u32_e32 vcc, 0, v0
	s_and_saveexec_b64 s[0:1], vcc
	s_cbranch_execnz .LBB425_30
; %bb.29:
	s_endpgm
.LBB425_30:
	s_mul_i32 s0, s24, s23
	s_mul_hi_u32 s1, s24, s22
	s_add_i32 s0, s1, s0
	s_mul_i32 s1, s25, s22
	s_add_i32 s1, s0, s1
	s_mul_i32 s0, s24, s22
	s_lshl_b64 s[0:1], s[0:1], 2
	s_add_u32 s2, s20, s0
	s_addc_u32 s3, s21, s1
	s_cmp_eq_u64 s[18:19], 0
	s_cselect_b64 vcc, -1, 0
	s_lshl_b64 s[0:1], s[6:7], 2
	s_waitcnt lgkmcnt(0)
	v_mov_b32_e32 v0, s28
	s_add_u32 s0, s2, s0
	v_cndmask_b32_e32 v0, v2, v0, vcc
	s_addc_u32 s1, s3, s1
	v_mov_b32_e32 v1, 0
	global_store_dword v1, v0, s[0:1]
	s_endpgm
	.section	.rodata,"a",@progbits
	.p2align	6, 0x0
	.amdhsa_kernel _ZN7rocprim17ROCPRIM_400000_NS6detail17trampoline_kernelINS0_14default_configENS1_22reduce_config_selectorIiEEZNS1_11reduce_implILb1ES3_N6thrust23THRUST_200600_302600_NS11hip_rocprim26transform_input_iterator_tIiNS8_12zip_iteratorINS8_5tupleIPjPiNS8_9null_typeESF_SF_SF_SF_SF_SF_SF_EEEEN6dUtils22getValueFilteredByMaskIjiEEEESE_iNS8_7maximumIjEEEE10hipError_tPvRmT1_T2_T3_mT4_P12ihipStream_tbEUlT_E0_NS1_11comp_targetILNS1_3genE4ELNS1_11target_archE910ELNS1_3gpuE8ELNS1_3repE0EEENS1_30default_config_static_selectorELNS0_4arch9wavefront6targetE1EEEvSR_
		.amdhsa_group_segment_fixed_size 16
		.amdhsa_private_segment_fixed_size 0
		.amdhsa_kernarg_size 72
		.amdhsa_user_sgpr_count 6
		.amdhsa_user_sgpr_private_segment_buffer 1
		.amdhsa_user_sgpr_dispatch_ptr 0
		.amdhsa_user_sgpr_queue_ptr 0
		.amdhsa_user_sgpr_kernarg_segment_ptr 1
		.amdhsa_user_sgpr_dispatch_id 0
		.amdhsa_user_sgpr_flat_scratch_init 0
		.amdhsa_user_sgpr_kernarg_preload_length 0
		.amdhsa_user_sgpr_kernarg_preload_offset 0
		.amdhsa_user_sgpr_private_segment_size 0
		.amdhsa_uses_dynamic_stack 0
		.amdhsa_system_sgpr_private_segment_wavefront_offset 0
		.amdhsa_system_sgpr_workgroup_id_x 1
		.amdhsa_system_sgpr_workgroup_id_y 0
		.amdhsa_system_sgpr_workgroup_id_z 0
		.amdhsa_system_sgpr_workgroup_info 0
		.amdhsa_system_vgpr_workitem_id 0
		.amdhsa_next_free_vgpr 21
		.amdhsa_next_free_sgpr 31
		.amdhsa_accum_offset 24
		.amdhsa_reserve_vcc 1
		.amdhsa_reserve_flat_scratch 0
		.amdhsa_float_round_mode_32 0
		.amdhsa_float_round_mode_16_64 0
		.amdhsa_float_denorm_mode_32 3
		.amdhsa_float_denorm_mode_16_64 3
		.amdhsa_dx10_clamp 1
		.amdhsa_ieee_mode 1
		.amdhsa_fp16_overflow 0
		.amdhsa_tg_split 0
		.amdhsa_exception_fp_ieee_invalid_op 0
		.amdhsa_exception_fp_denorm_src 0
		.amdhsa_exception_fp_ieee_div_zero 0
		.amdhsa_exception_fp_ieee_overflow 0
		.amdhsa_exception_fp_ieee_underflow 0
		.amdhsa_exception_fp_ieee_inexact 0
		.amdhsa_exception_int_div_zero 0
	.end_amdhsa_kernel
	.section	.text._ZN7rocprim17ROCPRIM_400000_NS6detail17trampoline_kernelINS0_14default_configENS1_22reduce_config_selectorIiEEZNS1_11reduce_implILb1ES3_N6thrust23THRUST_200600_302600_NS11hip_rocprim26transform_input_iterator_tIiNS8_12zip_iteratorINS8_5tupleIPjPiNS8_9null_typeESF_SF_SF_SF_SF_SF_SF_EEEEN6dUtils22getValueFilteredByMaskIjiEEEESE_iNS8_7maximumIjEEEE10hipError_tPvRmT1_T2_T3_mT4_P12ihipStream_tbEUlT_E0_NS1_11comp_targetILNS1_3genE4ELNS1_11target_archE910ELNS1_3gpuE8ELNS1_3repE0EEENS1_30default_config_static_selectorELNS0_4arch9wavefront6targetE1EEEvSR_,"axG",@progbits,_ZN7rocprim17ROCPRIM_400000_NS6detail17trampoline_kernelINS0_14default_configENS1_22reduce_config_selectorIiEEZNS1_11reduce_implILb1ES3_N6thrust23THRUST_200600_302600_NS11hip_rocprim26transform_input_iterator_tIiNS8_12zip_iteratorINS8_5tupleIPjPiNS8_9null_typeESF_SF_SF_SF_SF_SF_SF_EEEEN6dUtils22getValueFilteredByMaskIjiEEEESE_iNS8_7maximumIjEEEE10hipError_tPvRmT1_T2_T3_mT4_P12ihipStream_tbEUlT_E0_NS1_11comp_targetILNS1_3genE4ELNS1_11target_archE910ELNS1_3gpuE8ELNS1_3repE0EEENS1_30default_config_static_selectorELNS0_4arch9wavefront6targetE1EEEvSR_,comdat
.Lfunc_end425:
	.size	_ZN7rocprim17ROCPRIM_400000_NS6detail17trampoline_kernelINS0_14default_configENS1_22reduce_config_selectorIiEEZNS1_11reduce_implILb1ES3_N6thrust23THRUST_200600_302600_NS11hip_rocprim26transform_input_iterator_tIiNS8_12zip_iteratorINS8_5tupleIPjPiNS8_9null_typeESF_SF_SF_SF_SF_SF_SF_EEEEN6dUtils22getValueFilteredByMaskIjiEEEESE_iNS8_7maximumIjEEEE10hipError_tPvRmT1_T2_T3_mT4_P12ihipStream_tbEUlT_E0_NS1_11comp_targetILNS1_3genE4ELNS1_11target_archE910ELNS1_3gpuE8ELNS1_3repE0EEENS1_30default_config_static_selectorELNS0_4arch9wavefront6targetE1EEEvSR_, .Lfunc_end425-_ZN7rocprim17ROCPRIM_400000_NS6detail17trampoline_kernelINS0_14default_configENS1_22reduce_config_selectorIiEEZNS1_11reduce_implILb1ES3_N6thrust23THRUST_200600_302600_NS11hip_rocprim26transform_input_iterator_tIiNS8_12zip_iteratorINS8_5tupleIPjPiNS8_9null_typeESF_SF_SF_SF_SF_SF_SF_EEEEN6dUtils22getValueFilteredByMaskIjiEEEESE_iNS8_7maximumIjEEEE10hipError_tPvRmT1_T2_T3_mT4_P12ihipStream_tbEUlT_E0_NS1_11comp_targetILNS1_3genE4ELNS1_11target_archE910ELNS1_3gpuE8ELNS1_3repE0EEENS1_30default_config_static_selectorELNS0_4arch9wavefront6targetE1EEEvSR_
                                        ; -- End function
	.section	.AMDGPU.csdata,"",@progbits
; Kernel info:
; codeLenInByte = 1768
; NumSgprs: 35
; NumVgprs: 21
; NumAgprs: 0
; TotalNumVgprs: 21
; ScratchSize: 0
; MemoryBound: 0
; FloatMode: 240
; IeeeMode: 1
; LDSByteSize: 16 bytes/workgroup (compile time only)
; SGPRBlocks: 4
; VGPRBlocks: 2
; NumSGPRsForWavesPerEU: 35
; NumVGPRsForWavesPerEU: 21
; AccumOffset: 24
; Occupancy: 8
; WaveLimiterHint : 0
; COMPUTE_PGM_RSRC2:SCRATCH_EN: 0
; COMPUTE_PGM_RSRC2:USER_SGPR: 6
; COMPUTE_PGM_RSRC2:TRAP_HANDLER: 0
; COMPUTE_PGM_RSRC2:TGID_X_EN: 1
; COMPUTE_PGM_RSRC2:TGID_Y_EN: 0
; COMPUTE_PGM_RSRC2:TGID_Z_EN: 0
; COMPUTE_PGM_RSRC2:TIDIG_COMP_CNT: 0
; COMPUTE_PGM_RSRC3_GFX90A:ACCUM_OFFSET: 5
; COMPUTE_PGM_RSRC3_GFX90A:TG_SPLIT: 0
	.section	.text._ZN7rocprim17ROCPRIM_400000_NS6detail17trampoline_kernelINS0_14default_configENS1_22reduce_config_selectorIiEEZNS1_11reduce_implILb1ES3_N6thrust23THRUST_200600_302600_NS11hip_rocprim26transform_input_iterator_tIiNS8_12zip_iteratorINS8_5tupleIPjPiNS8_9null_typeESF_SF_SF_SF_SF_SF_SF_EEEEN6dUtils22getValueFilteredByMaskIjiEEEESE_iNS8_7maximumIjEEEE10hipError_tPvRmT1_T2_T3_mT4_P12ihipStream_tbEUlT_E0_NS1_11comp_targetILNS1_3genE3ELNS1_11target_archE908ELNS1_3gpuE7ELNS1_3repE0EEENS1_30default_config_static_selectorELNS0_4arch9wavefront6targetE1EEEvSR_,"axG",@progbits,_ZN7rocprim17ROCPRIM_400000_NS6detail17trampoline_kernelINS0_14default_configENS1_22reduce_config_selectorIiEEZNS1_11reduce_implILb1ES3_N6thrust23THRUST_200600_302600_NS11hip_rocprim26transform_input_iterator_tIiNS8_12zip_iteratorINS8_5tupleIPjPiNS8_9null_typeESF_SF_SF_SF_SF_SF_SF_EEEEN6dUtils22getValueFilteredByMaskIjiEEEESE_iNS8_7maximumIjEEEE10hipError_tPvRmT1_T2_T3_mT4_P12ihipStream_tbEUlT_E0_NS1_11comp_targetILNS1_3genE3ELNS1_11target_archE908ELNS1_3gpuE7ELNS1_3repE0EEENS1_30default_config_static_selectorELNS0_4arch9wavefront6targetE1EEEvSR_,comdat
	.protected	_ZN7rocprim17ROCPRIM_400000_NS6detail17trampoline_kernelINS0_14default_configENS1_22reduce_config_selectorIiEEZNS1_11reduce_implILb1ES3_N6thrust23THRUST_200600_302600_NS11hip_rocprim26transform_input_iterator_tIiNS8_12zip_iteratorINS8_5tupleIPjPiNS8_9null_typeESF_SF_SF_SF_SF_SF_SF_EEEEN6dUtils22getValueFilteredByMaskIjiEEEESE_iNS8_7maximumIjEEEE10hipError_tPvRmT1_T2_T3_mT4_P12ihipStream_tbEUlT_E0_NS1_11comp_targetILNS1_3genE3ELNS1_11target_archE908ELNS1_3gpuE7ELNS1_3repE0EEENS1_30default_config_static_selectorELNS0_4arch9wavefront6targetE1EEEvSR_ ; -- Begin function _ZN7rocprim17ROCPRIM_400000_NS6detail17trampoline_kernelINS0_14default_configENS1_22reduce_config_selectorIiEEZNS1_11reduce_implILb1ES3_N6thrust23THRUST_200600_302600_NS11hip_rocprim26transform_input_iterator_tIiNS8_12zip_iteratorINS8_5tupleIPjPiNS8_9null_typeESF_SF_SF_SF_SF_SF_SF_EEEEN6dUtils22getValueFilteredByMaskIjiEEEESE_iNS8_7maximumIjEEEE10hipError_tPvRmT1_T2_T3_mT4_P12ihipStream_tbEUlT_E0_NS1_11comp_targetILNS1_3genE3ELNS1_11target_archE908ELNS1_3gpuE7ELNS1_3repE0EEENS1_30default_config_static_selectorELNS0_4arch9wavefront6targetE1EEEvSR_
	.globl	_ZN7rocprim17ROCPRIM_400000_NS6detail17trampoline_kernelINS0_14default_configENS1_22reduce_config_selectorIiEEZNS1_11reduce_implILb1ES3_N6thrust23THRUST_200600_302600_NS11hip_rocprim26transform_input_iterator_tIiNS8_12zip_iteratorINS8_5tupleIPjPiNS8_9null_typeESF_SF_SF_SF_SF_SF_SF_EEEEN6dUtils22getValueFilteredByMaskIjiEEEESE_iNS8_7maximumIjEEEE10hipError_tPvRmT1_T2_T3_mT4_P12ihipStream_tbEUlT_E0_NS1_11comp_targetILNS1_3genE3ELNS1_11target_archE908ELNS1_3gpuE7ELNS1_3repE0EEENS1_30default_config_static_selectorELNS0_4arch9wavefront6targetE1EEEvSR_
	.p2align	8
	.type	_ZN7rocprim17ROCPRIM_400000_NS6detail17trampoline_kernelINS0_14default_configENS1_22reduce_config_selectorIiEEZNS1_11reduce_implILb1ES3_N6thrust23THRUST_200600_302600_NS11hip_rocprim26transform_input_iterator_tIiNS8_12zip_iteratorINS8_5tupleIPjPiNS8_9null_typeESF_SF_SF_SF_SF_SF_SF_EEEEN6dUtils22getValueFilteredByMaskIjiEEEESE_iNS8_7maximumIjEEEE10hipError_tPvRmT1_T2_T3_mT4_P12ihipStream_tbEUlT_E0_NS1_11comp_targetILNS1_3genE3ELNS1_11target_archE908ELNS1_3gpuE7ELNS1_3repE0EEENS1_30default_config_static_selectorELNS0_4arch9wavefront6targetE1EEEvSR_,@function
_ZN7rocprim17ROCPRIM_400000_NS6detail17trampoline_kernelINS0_14default_configENS1_22reduce_config_selectorIiEEZNS1_11reduce_implILb1ES3_N6thrust23THRUST_200600_302600_NS11hip_rocprim26transform_input_iterator_tIiNS8_12zip_iteratorINS8_5tupleIPjPiNS8_9null_typeESF_SF_SF_SF_SF_SF_SF_EEEEN6dUtils22getValueFilteredByMaskIjiEEEESE_iNS8_7maximumIjEEEE10hipError_tPvRmT1_T2_T3_mT4_P12ihipStream_tbEUlT_E0_NS1_11comp_targetILNS1_3genE3ELNS1_11target_archE908ELNS1_3gpuE7ELNS1_3repE0EEENS1_30default_config_static_selectorELNS0_4arch9wavefront6targetE1EEEvSR_: ; @_ZN7rocprim17ROCPRIM_400000_NS6detail17trampoline_kernelINS0_14default_configENS1_22reduce_config_selectorIiEEZNS1_11reduce_implILb1ES3_N6thrust23THRUST_200600_302600_NS11hip_rocprim26transform_input_iterator_tIiNS8_12zip_iteratorINS8_5tupleIPjPiNS8_9null_typeESF_SF_SF_SF_SF_SF_SF_EEEEN6dUtils22getValueFilteredByMaskIjiEEEESE_iNS8_7maximumIjEEEE10hipError_tPvRmT1_T2_T3_mT4_P12ihipStream_tbEUlT_E0_NS1_11comp_targetILNS1_3genE3ELNS1_11target_archE908ELNS1_3gpuE7ELNS1_3repE0EEENS1_30default_config_static_selectorELNS0_4arch9wavefront6targetE1EEEvSR_
; %bb.0:
	.section	.rodata,"a",@progbits
	.p2align	6, 0x0
	.amdhsa_kernel _ZN7rocprim17ROCPRIM_400000_NS6detail17trampoline_kernelINS0_14default_configENS1_22reduce_config_selectorIiEEZNS1_11reduce_implILb1ES3_N6thrust23THRUST_200600_302600_NS11hip_rocprim26transform_input_iterator_tIiNS8_12zip_iteratorINS8_5tupleIPjPiNS8_9null_typeESF_SF_SF_SF_SF_SF_SF_EEEEN6dUtils22getValueFilteredByMaskIjiEEEESE_iNS8_7maximumIjEEEE10hipError_tPvRmT1_T2_T3_mT4_P12ihipStream_tbEUlT_E0_NS1_11comp_targetILNS1_3genE3ELNS1_11target_archE908ELNS1_3gpuE7ELNS1_3repE0EEENS1_30default_config_static_selectorELNS0_4arch9wavefront6targetE1EEEvSR_
		.amdhsa_group_segment_fixed_size 0
		.amdhsa_private_segment_fixed_size 0
		.amdhsa_kernarg_size 72
		.amdhsa_user_sgpr_count 6
		.amdhsa_user_sgpr_private_segment_buffer 1
		.amdhsa_user_sgpr_dispatch_ptr 0
		.amdhsa_user_sgpr_queue_ptr 0
		.amdhsa_user_sgpr_kernarg_segment_ptr 1
		.amdhsa_user_sgpr_dispatch_id 0
		.amdhsa_user_sgpr_flat_scratch_init 0
		.amdhsa_user_sgpr_kernarg_preload_length 0
		.amdhsa_user_sgpr_kernarg_preload_offset 0
		.amdhsa_user_sgpr_private_segment_size 0
		.amdhsa_uses_dynamic_stack 0
		.amdhsa_system_sgpr_private_segment_wavefront_offset 0
		.amdhsa_system_sgpr_workgroup_id_x 1
		.amdhsa_system_sgpr_workgroup_id_y 0
		.amdhsa_system_sgpr_workgroup_id_z 0
		.amdhsa_system_sgpr_workgroup_info 0
		.amdhsa_system_vgpr_workitem_id 0
		.amdhsa_next_free_vgpr 1
		.amdhsa_next_free_sgpr 0
		.amdhsa_accum_offset 4
		.amdhsa_reserve_vcc 0
		.amdhsa_reserve_flat_scratch 0
		.amdhsa_float_round_mode_32 0
		.amdhsa_float_round_mode_16_64 0
		.amdhsa_float_denorm_mode_32 3
		.amdhsa_float_denorm_mode_16_64 3
		.amdhsa_dx10_clamp 1
		.amdhsa_ieee_mode 1
		.amdhsa_fp16_overflow 0
		.amdhsa_tg_split 0
		.amdhsa_exception_fp_ieee_invalid_op 0
		.amdhsa_exception_fp_denorm_src 0
		.amdhsa_exception_fp_ieee_div_zero 0
		.amdhsa_exception_fp_ieee_overflow 0
		.amdhsa_exception_fp_ieee_underflow 0
		.amdhsa_exception_fp_ieee_inexact 0
		.amdhsa_exception_int_div_zero 0
	.end_amdhsa_kernel
	.section	.text._ZN7rocprim17ROCPRIM_400000_NS6detail17trampoline_kernelINS0_14default_configENS1_22reduce_config_selectorIiEEZNS1_11reduce_implILb1ES3_N6thrust23THRUST_200600_302600_NS11hip_rocprim26transform_input_iterator_tIiNS8_12zip_iteratorINS8_5tupleIPjPiNS8_9null_typeESF_SF_SF_SF_SF_SF_SF_EEEEN6dUtils22getValueFilteredByMaskIjiEEEESE_iNS8_7maximumIjEEEE10hipError_tPvRmT1_T2_T3_mT4_P12ihipStream_tbEUlT_E0_NS1_11comp_targetILNS1_3genE3ELNS1_11target_archE908ELNS1_3gpuE7ELNS1_3repE0EEENS1_30default_config_static_selectorELNS0_4arch9wavefront6targetE1EEEvSR_,"axG",@progbits,_ZN7rocprim17ROCPRIM_400000_NS6detail17trampoline_kernelINS0_14default_configENS1_22reduce_config_selectorIiEEZNS1_11reduce_implILb1ES3_N6thrust23THRUST_200600_302600_NS11hip_rocprim26transform_input_iterator_tIiNS8_12zip_iteratorINS8_5tupleIPjPiNS8_9null_typeESF_SF_SF_SF_SF_SF_SF_EEEEN6dUtils22getValueFilteredByMaskIjiEEEESE_iNS8_7maximumIjEEEE10hipError_tPvRmT1_T2_T3_mT4_P12ihipStream_tbEUlT_E0_NS1_11comp_targetILNS1_3genE3ELNS1_11target_archE908ELNS1_3gpuE7ELNS1_3repE0EEENS1_30default_config_static_selectorELNS0_4arch9wavefront6targetE1EEEvSR_,comdat
.Lfunc_end426:
	.size	_ZN7rocprim17ROCPRIM_400000_NS6detail17trampoline_kernelINS0_14default_configENS1_22reduce_config_selectorIiEEZNS1_11reduce_implILb1ES3_N6thrust23THRUST_200600_302600_NS11hip_rocprim26transform_input_iterator_tIiNS8_12zip_iteratorINS8_5tupleIPjPiNS8_9null_typeESF_SF_SF_SF_SF_SF_SF_EEEEN6dUtils22getValueFilteredByMaskIjiEEEESE_iNS8_7maximumIjEEEE10hipError_tPvRmT1_T2_T3_mT4_P12ihipStream_tbEUlT_E0_NS1_11comp_targetILNS1_3genE3ELNS1_11target_archE908ELNS1_3gpuE7ELNS1_3repE0EEENS1_30default_config_static_selectorELNS0_4arch9wavefront6targetE1EEEvSR_, .Lfunc_end426-_ZN7rocprim17ROCPRIM_400000_NS6detail17trampoline_kernelINS0_14default_configENS1_22reduce_config_selectorIiEEZNS1_11reduce_implILb1ES3_N6thrust23THRUST_200600_302600_NS11hip_rocprim26transform_input_iterator_tIiNS8_12zip_iteratorINS8_5tupleIPjPiNS8_9null_typeESF_SF_SF_SF_SF_SF_SF_EEEEN6dUtils22getValueFilteredByMaskIjiEEEESE_iNS8_7maximumIjEEEE10hipError_tPvRmT1_T2_T3_mT4_P12ihipStream_tbEUlT_E0_NS1_11comp_targetILNS1_3genE3ELNS1_11target_archE908ELNS1_3gpuE7ELNS1_3repE0EEENS1_30default_config_static_selectorELNS0_4arch9wavefront6targetE1EEEvSR_
                                        ; -- End function
	.section	.AMDGPU.csdata,"",@progbits
; Kernel info:
; codeLenInByte = 0
; NumSgprs: 4
; NumVgprs: 0
; NumAgprs: 0
; TotalNumVgprs: 0
; ScratchSize: 0
; MemoryBound: 0
; FloatMode: 240
; IeeeMode: 1
; LDSByteSize: 0 bytes/workgroup (compile time only)
; SGPRBlocks: 0
; VGPRBlocks: 0
; NumSGPRsForWavesPerEU: 4
; NumVGPRsForWavesPerEU: 1
; AccumOffset: 4
; Occupancy: 8
; WaveLimiterHint : 0
; COMPUTE_PGM_RSRC2:SCRATCH_EN: 0
; COMPUTE_PGM_RSRC2:USER_SGPR: 6
; COMPUTE_PGM_RSRC2:TRAP_HANDLER: 0
; COMPUTE_PGM_RSRC2:TGID_X_EN: 1
; COMPUTE_PGM_RSRC2:TGID_Y_EN: 0
; COMPUTE_PGM_RSRC2:TGID_Z_EN: 0
; COMPUTE_PGM_RSRC2:TIDIG_COMP_CNT: 0
; COMPUTE_PGM_RSRC3_GFX90A:ACCUM_OFFSET: 0
; COMPUTE_PGM_RSRC3_GFX90A:TG_SPLIT: 0
	.section	.text._ZN7rocprim17ROCPRIM_400000_NS6detail17trampoline_kernelINS0_14default_configENS1_22reduce_config_selectorIiEEZNS1_11reduce_implILb1ES3_N6thrust23THRUST_200600_302600_NS11hip_rocprim26transform_input_iterator_tIiNS8_12zip_iteratorINS8_5tupleIPjPiNS8_9null_typeESF_SF_SF_SF_SF_SF_SF_EEEEN6dUtils22getValueFilteredByMaskIjiEEEESE_iNS8_7maximumIjEEEE10hipError_tPvRmT1_T2_T3_mT4_P12ihipStream_tbEUlT_E0_NS1_11comp_targetILNS1_3genE2ELNS1_11target_archE906ELNS1_3gpuE6ELNS1_3repE0EEENS1_30default_config_static_selectorELNS0_4arch9wavefront6targetE1EEEvSR_,"axG",@progbits,_ZN7rocprim17ROCPRIM_400000_NS6detail17trampoline_kernelINS0_14default_configENS1_22reduce_config_selectorIiEEZNS1_11reduce_implILb1ES3_N6thrust23THRUST_200600_302600_NS11hip_rocprim26transform_input_iterator_tIiNS8_12zip_iteratorINS8_5tupleIPjPiNS8_9null_typeESF_SF_SF_SF_SF_SF_SF_EEEEN6dUtils22getValueFilteredByMaskIjiEEEESE_iNS8_7maximumIjEEEE10hipError_tPvRmT1_T2_T3_mT4_P12ihipStream_tbEUlT_E0_NS1_11comp_targetILNS1_3genE2ELNS1_11target_archE906ELNS1_3gpuE6ELNS1_3repE0EEENS1_30default_config_static_selectorELNS0_4arch9wavefront6targetE1EEEvSR_,comdat
	.protected	_ZN7rocprim17ROCPRIM_400000_NS6detail17trampoline_kernelINS0_14default_configENS1_22reduce_config_selectorIiEEZNS1_11reduce_implILb1ES3_N6thrust23THRUST_200600_302600_NS11hip_rocprim26transform_input_iterator_tIiNS8_12zip_iteratorINS8_5tupleIPjPiNS8_9null_typeESF_SF_SF_SF_SF_SF_SF_EEEEN6dUtils22getValueFilteredByMaskIjiEEEESE_iNS8_7maximumIjEEEE10hipError_tPvRmT1_T2_T3_mT4_P12ihipStream_tbEUlT_E0_NS1_11comp_targetILNS1_3genE2ELNS1_11target_archE906ELNS1_3gpuE6ELNS1_3repE0EEENS1_30default_config_static_selectorELNS0_4arch9wavefront6targetE1EEEvSR_ ; -- Begin function _ZN7rocprim17ROCPRIM_400000_NS6detail17trampoline_kernelINS0_14default_configENS1_22reduce_config_selectorIiEEZNS1_11reduce_implILb1ES3_N6thrust23THRUST_200600_302600_NS11hip_rocprim26transform_input_iterator_tIiNS8_12zip_iteratorINS8_5tupleIPjPiNS8_9null_typeESF_SF_SF_SF_SF_SF_SF_EEEEN6dUtils22getValueFilteredByMaskIjiEEEESE_iNS8_7maximumIjEEEE10hipError_tPvRmT1_T2_T3_mT4_P12ihipStream_tbEUlT_E0_NS1_11comp_targetILNS1_3genE2ELNS1_11target_archE906ELNS1_3gpuE6ELNS1_3repE0EEENS1_30default_config_static_selectorELNS0_4arch9wavefront6targetE1EEEvSR_
	.globl	_ZN7rocprim17ROCPRIM_400000_NS6detail17trampoline_kernelINS0_14default_configENS1_22reduce_config_selectorIiEEZNS1_11reduce_implILb1ES3_N6thrust23THRUST_200600_302600_NS11hip_rocprim26transform_input_iterator_tIiNS8_12zip_iteratorINS8_5tupleIPjPiNS8_9null_typeESF_SF_SF_SF_SF_SF_SF_EEEEN6dUtils22getValueFilteredByMaskIjiEEEESE_iNS8_7maximumIjEEEE10hipError_tPvRmT1_T2_T3_mT4_P12ihipStream_tbEUlT_E0_NS1_11comp_targetILNS1_3genE2ELNS1_11target_archE906ELNS1_3gpuE6ELNS1_3repE0EEENS1_30default_config_static_selectorELNS0_4arch9wavefront6targetE1EEEvSR_
	.p2align	8
	.type	_ZN7rocprim17ROCPRIM_400000_NS6detail17trampoline_kernelINS0_14default_configENS1_22reduce_config_selectorIiEEZNS1_11reduce_implILb1ES3_N6thrust23THRUST_200600_302600_NS11hip_rocprim26transform_input_iterator_tIiNS8_12zip_iteratorINS8_5tupleIPjPiNS8_9null_typeESF_SF_SF_SF_SF_SF_SF_EEEEN6dUtils22getValueFilteredByMaskIjiEEEESE_iNS8_7maximumIjEEEE10hipError_tPvRmT1_T2_T3_mT4_P12ihipStream_tbEUlT_E0_NS1_11comp_targetILNS1_3genE2ELNS1_11target_archE906ELNS1_3gpuE6ELNS1_3repE0EEENS1_30default_config_static_selectorELNS0_4arch9wavefront6targetE1EEEvSR_,@function
_ZN7rocprim17ROCPRIM_400000_NS6detail17trampoline_kernelINS0_14default_configENS1_22reduce_config_selectorIiEEZNS1_11reduce_implILb1ES3_N6thrust23THRUST_200600_302600_NS11hip_rocprim26transform_input_iterator_tIiNS8_12zip_iteratorINS8_5tupleIPjPiNS8_9null_typeESF_SF_SF_SF_SF_SF_SF_EEEEN6dUtils22getValueFilteredByMaskIjiEEEESE_iNS8_7maximumIjEEEE10hipError_tPvRmT1_T2_T3_mT4_P12ihipStream_tbEUlT_E0_NS1_11comp_targetILNS1_3genE2ELNS1_11target_archE906ELNS1_3gpuE6ELNS1_3repE0EEENS1_30default_config_static_selectorELNS0_4arch9wavefront6targetE1EEEvSR_: ; @_ZN7rocprim17ROCPRIM_400000_NS6detail17trampoline_kernelINS0_14default_configENS1_22reduce_config_selectorIiEEZNS1_11reduce_implILb1ES3_N6thrust23THRUST_200600_302600_NS11hip_rocprim26transform_input_iterator_tIiNS8_12zip_iteratorINS8_5tupleIPjPiNS8_9null_typeESF_SF_SF_SF_SF_SF_SF_EEEEN6dUtils22getValueFilteredByMaskIjiEEEESE_iNS8_7maximumIjEEEE10hipError_tPvRmT1_T2_T3_mT4_P12ihipStream_tbEUlT_E0_NS1_11comp_targetILNS1_3genE2ELNS1_11target_archE906ELNS1_3gpuE6ELNS1_3repE0EEENS1_30default_config_static_selectorELNS0_4arch9wavefront6targetE1EEEvSR_
; %bb.0:
	.section	.rodata,"a",@progbits
	.p2align	6, 0x0
	.amdhsa_kernel _ZN7rocprim17ROCPRIM_400000_NS6detail17trampoline_kernelINS0_14default_configENS1_22reduce_config_selectorIiEEZNS1_11reduce_implILb1ES3_N6thrust23THRUST_200600_302600_NS11hip_rocprim26transform_input_iterator_tIiNS8_12zip_iteratorINS8_5tupleIPjPiNS8_9null_typeESF_SF_SF_SF_SF_SF_SF_EEEEN6dUtils22getValueFilteredByMaskIjiEEEESE_iNS8_7maximumIjEEEE10hipError_tPvRmT1_T2_T3_mT4_P12ihipStream_tbEUlT_E0_NS1_11comp_targetILNS1_3genE2ELNS1_11target_archE906ELNS1_3gpuE6ELNS1_3repE0EEENS1_30default_config_static_selectorELNS0_4arch9wavefront6targetE1EEEvSR_
		.amdhsa_group_segment_fixed_size 0
		.amdhsa_private_segment_fixed_size 0
		.amdhsa_kernarg_size 72
		.amdhsa_user_sgpr_count 6
		.amdhsa_user_sgpr_private_segment_buffer 1
		.amdhsa_user_sgpr_dispatch_ptr 0
		.amdhsa_user_sgpr_queue_ptr 0
		.amdhsa_user_sgpr_kernarg_segment_ptr 1
		.amdhsa_user_sgpr_dispatch_id 0
		.amdhsa_user_sgpr_flat_scratch_init 0
		.amdhsa_user_sgpr_kernarg_preload_length 0
		.amdhsa_user_sgpr_kernarg_preload_offset 0
		.amdhsa_user_sgpr_private_segment_size 0
		.amdhsa_uses_dynamic_stack 0
		.amdhsa_system_sgpr_private_segment_wavefront_offset 0
		.amdhsa_system_sgpr_workgroup_id_x 1
		.amdhsa_system_sgpr_workgroup_id_y 0
		.amdhsa_system_sgpr_workgroup_id_z 0
		.amdhsa_system_sgpr_workgroup_info 0
		.amdhsa_system_vgpr_workitem_id 0
		.amdhsa_next_free_vgpr 1
		.amdhsa_next_free_sgpr 0
		.amdhsa_accum_offset 4
		.amdhsa_reserve_vcc 0
		.amdhsa_reserve_flat_scratch 0
		.amdhsa_float_round_mode_32 0
		.amdhsa_float_round_mode_16_64 0
		.amdhsa_float_denorm_mode_32 3
		.amdhsa_float_denorm_mode_16_64 3
		.amdhsa_dx10_clamp 1
		.amdhsa_ieee_mode 1
		.amdhsa_fp16_overflow 0
		.amdhsa_tg_split 0
		.amdhsa_exception_fp_ieee_invalid_op 0
		.amdhsa_exception_fp_denorm_src 0
		.amdhsa_exception_fp_ieee_div_zero 0
		.amdhsa_exception_fp_ieee_overflow 0
		.amdhsa_exception_fp_ieee_underflow 0
		.amdhsa_exception_fp_ieee_inexact 0
		.amdhsa_exception_int_div_zero 0
	.end_amdhsa_kernel
	.section	.text._ZN7rocprim17ROCPRIM_400000_NS6detail17trampoline_kernelINS0_14default_configENS1_22reduce_config_selectorIiEEZNS1_11reduce_implILb1ES3_N6thrust23THRUST_200600_302600_NS11hip_rocprim26transform_input_iterator_tIiNS8_12zip_iteratorINS8_5tupleIPjPiNS8_9null_typeESF_SF_SF_SF_SF_SF_SF_EEEEN6dUtils22getValueFilteredByMaskIjiEEEESE_iNS8_7maximumIjEEEE10hipError_tPvRmT1_T2_T3_mT4_P12ihipStream_tbEUlT_E0_NS1_11comp_targetILNS1_3genE2ELNS1_11target_archE906ELNS1_3gpuE6ELNS1_3repE0EEENS1_30default_config_static_selectorELNS0_4arch9wavefront6targetE1EEEvSR_,"axG",@progbits,_ZN7rocprim17ROCPRIM_400000_NS6detail17trampoline_kernelINS0_14default_configENS1_22reduce_config_selectorIiEEZNS1_11reduce_implILb1ES3_N6thrust23THRUST_200600_302600_NS11hip_rocprim26transform_input_iterator_tIiNS8_12zip_iteratorINS8_5tupleIPjPiNS8_9null_typeESF_SF_SF_SF_SF_SF_SF_EEEEN6dUtils22getValueFilteredByMaskIjiEEEESE_iNS8_7maximumIjEEEE10hipError_tPvRmT1_T2_T3_mT4_P12ihipStream_tbEUlT_E0_NS1_11comp_targetILNS1_3genE2ELNS1_11target_archE906ELNS1_3gpuE6ELNS1_3repE0EEENS1_30default_config_static_selectorELNS0_4arch9wavefront6targetE1EEEvSR_,comdat
.Lfunc_end427:
	.size	_ZN7rocprim17ROCPRIM_400000_NS6detail17trampoline_kernelINS0_14default_configENS1_22reduce_config_selectorIiEEZNS1_11reduce_implILb1ES3_N6thrust23THRUST_200600_302600_NS11hip_rocprim26transform_input_iterator_tIiNS8_12zip_iteratorINS8_5tupleIPjPiNS8_9null_typeESF_SF_SF_SF_SF_SF_SF_EEEEN6dUtils22getValueFilteredByMaskIjiEEEESE_iNS8_7maximumIjEEEE10hipError_tPvRmT1_T2_T3_mT4_P12ihipStream_tbEUlT_E0_NS1_11comp_targetILNS1_3genE2ELNS1_11target_archE906ELNS1_3gpuE6ELNS1_3repE0EEENS1_30default_config_static_selectorELNS0_4arch9wavefront6targetE1EEEvSR_, .Lfunc_end427-_ZN7rocprim17ROCPRIM_400000_NS6detail17trampoline_kernelINS0_14default_configENS1_22reduce_config_selectorIiEEZNS1_11reduce_implILb1ES3_N6thrust23THRUST_200600_302600_NS11hip_rocprim26transform_input_iterator_tIiNS8_12zip_iteratorINS8_5tupleIPjPiNS8_9null_typeESF_SF_SF_SF_SF_SF_SF_EEEEN6dUtils22getValueFilteredByMaskIjiEEEESE_iNS8_7maximumIjEEEE10hipError_tPvRmT1_T2_T3_mT4_P12ihipStream_tbEUlT_E0_NS1_11comp_targetILNS1_3genE2ELNS1_11target_archE906ELNS1_3gpuE6ELNS1_3repE0EEENS1_30default_config_static_selectorELNS0_4arch9wavefront6targetE1EEEvSR_
                                        ; -- End function
	.section	.AMDGPU.csdata,"",@progbits
; Kernel info:
; codeLenInByte = 0
; NumSgprs: 4
; NumVgprs: 0
; NumAgprs: 0
; TotalNumVgprs: 0
; ScratchSize: 0
; MemoryBound: 0
; FloatMode: 240
; IeeeMode: 1
; LDSByteSize: 0 bytes/workgroup (compile time only)
; SGPRBlocks: 0
; VGPRBlocks: 0
; NumSGPRsForWavesPerEU: 4
; NumVGPRsForWavesPerEU: 1
; AccumOffset: 4
; Occupancy: 8
; WaveLimiterHint : 0
; COMPUTE_PGM_RSRC2:SCRATCH_EN: 0
; COMPUTE_PGM_RSRC2:USER_SGPR: 6
; COMPUTE_PGM_RSRC2:TRAP_HANDLER: 0
; COMPUTE_PGM_RSRC2:TGID_X_EN: 1
; COMPUTE_PGM_RSRC2:TGID_Y_EN: 0
; COMPUTE_PGM_RSRC2:TGID_Z_EN: 0
; COMPUTE_PGM_RSRC2:TIDIG_COMP_CNT: 0
; COMPUTE_PGM_RSRC3_GFX90A:ACCUM_OFFSET: 0
; COMPUTE_PGM_RSRC3_GFX90A:TG_SPLIT: 0
	.section	.text._ZN7rocprim17ROCPRIM_400000_NS6detail17trampoline_kernelINS0_14default_configENS1_22reduce_config_selectorIiEEZNS1_11reduce_implILb1ES3_N6thrust23THRUST_200600_302600_NS11hip_rocprim26transform_input_iterator_tIiNS8_12zip_iteratorINS8_5tupleIPjPiNS8_9null_typeESF_SF_SF_SF_SF_SF_SF_EEEEN6dUtils22getValueFilteredByMaskIjiEEEESE_iNS8_7maximumIjEEEE10hipError_tPvRmT1_T2_T3_mT4_P12ihipStream_tbEUlT_E0_NS1_11comp_targetILNS1_3genE10ELNS1_11target_archE1201ELNS1_3gpuE5ELNS1_3repE0EEENS1_30default_config_static_selectorELNS0_4arch9wavefront6targetE1EEEvSR_,"axG",@progbits,_ZN7rocprim17ROCPRIM_400000_NS6detail17trampoline_kernelINS0_14default_configENS1_22reduce_config_selectorIiEEZNS1_11reduce_implILb1ES3_N6thrust23THRUST_200600_302600_NS11hip_rocprim26transform_input_iterator_tIiNS8_12zip_iteratorINS8_5tupleIPjPiNS8_9null_typeESF_SF_SF_SF_SF_SF_SF_EEEEN6dUtils22getValueFilteredByMaskIjiEEEESE_iNS8_7maximumIjEEEE10hipError_tPvRmT1_T2_T3_mT4_P12ihipStream_tbEUlT_E0_NS1_11comp_targetILNS1_3genE10ELNS1_11target_archE1201ELNS1_3gpuE5ELNS1_3repE0EEENS1_30default_config_static_selectorELNS0_4arch9wavefront6targetE1EEEvSR_,comdat
	.protected	_ZN7rocprim17ROCPRIM_400000_NS6detail17trampoline_kernelINS0_14default_configENS1_22reduce_config_selectorIiEEZNS1_11reduce_implILb1ES3_N6thrust23THRUST_200600_302600_NS11hip_rocprim26transform_input_iterator_tIiNS8_12zip_iteratorINS8_5tupleIPjPiNS8_9null_typeESF_SF_SF_SF_SF_SF_SF_EEEEN6dUtils22getValueFilteredByMaskIjiEEEESE_iNS8_7maximumIjEEEE10hipError_tPvRmT1_T2_T3_mT4_P12ihipStream_tbEUlT_E0_NS1_11comp_targetILNS1_3genE10ELNS1_11target_archE1201ELNS1_3gpuE5ELNS1_3repE0EEENS1_30default_config_static_selectorELNS0_4arch9wavefront6targetE1EEEvSR_ ; -- Begin function _ZN7rocprim17ROCPRIM_400000_NS6detail17trampoline_kernelINS0_14default_configENS1_22reduce_config_selectorIiEEZNS1_11reduce_implILb1ES3_N6thrust23THRUST_200600_302600_NS11hip_rocprim26transform_input_iterator_tIiNS8_12zip_iteratorINS8_5tupleIPjPiNS8_9null_typeESF_SF_SF_SF_SF_SF_SF_EEEEN6dUtils22getValueFilteredByMaskIjiEEEESE_iNS8_7maximumIjEEEE10hipError_tPvRmT1_T2_T3_mT4_P12ihipStream_tbEUlT_E0_NS1_11comp_targetILNS1_3genE10ELNS1_11target_archE1201ELNS1_3gpuE5ELNS1_3repE0EEENS1_30default_config_static_selectorELNS0_4arch9wavefront6targetE1EEEvSR_
	.globl	_ZN7rocprim17ROCPRIM_400000_NS6detail17trampoline_kernelINS0_14default_configENS1_22reduce_config_selectorIiEEZNS1_11reduce_implILb1ES3_N6thrust23THRUST_200600_302600_NS11hip_rocprim26transform_input_iterator_tIiNS8_12zip_iteratorINS8_5tupleIPjPiNS8_9null_typeESF_SF_SF_SF_SF_SF_SF_EEEEN6dUtils22getValueFilteredByMaskIjiEEEESE_iNS8_7maximumIjEEEE10hipError_tPvRmT1_T2_T3_mT4_P12ihipStream_tbEUlT_E0_NS1_11comp_targetILNS1_3genE10ELNS1_11target_archE1201ELNS1_3gpuE5ELNS1_3repE0EEENS1_30default_config_static_selectorELNS0_4arch9wavefront6targetE1EEEvSR_
	.p2align	8
	.type	_ZN7rocprim17ROCPRIM_400000_NS6detail17trampoline_kernelINS0_14default_configENS1_22reduce_config_selectorIiEEZNS1_11reduce_implILb1ES3_N6thrust23THRUST_200600_302600_NS11hip_rocprim26transform_input_iterator_tIiNS8_12zip_iteratorINS8_5tupleIPjPiNS8_9null_typeESF_SF_SF_SF_SF_SF_SF_EEEEN6dUtils22getValueFilteredByMaskIjiEEEESE_iNS8_7maximumIjEEEE10hipError_tPvRmT1_T2_T3_mT4_P12ihipStream_tbEUlT_E0_NS1_11comp_targetILNS1_3genE10ELNS1_11target_archE1201ELNS1_3gpuE5ELNS1_3repE0EEENS1_30default_config_static_selectorELNS0_4arch9wavefront6targetE1EEEvSR_,@function
_ZN7rocprim17ROCPRIM_400000_NS6detail17trampoline_kernelINS0_14default_configENS1_22reduce_config_selectorIiEEZNS1_11reduce_implILb1ES3_N6thrust23THRUST_200600_302600_NS11hip_rocprim26transform_input_iterator_tIiNS8_12zip_iteratorINS8_5tupleIPjPiNS8_9null_typeESF_SF_SF_SF_SF_SF_SF_EEEEN6dUtils22getValueFilteredByMaskIjiEEEESE_iNS8_7maximumIjEEEE10hipError_tPvRmT1_T2_T3_mT4_P12ihipStream_tbEUlT_E0_NS1_11comp_targetILNS1_3genE10ELNS1_11target_archE1201ELNS1_3gpuE5ELNS1_3repE0EEENS1_30default_config_static_selectorELNS0_4arch9wavefront6targetE1EEEvSR_: ; @_ZN7rocprim17ROCPRIM_400000_NS6detail17trampoline_kernelINS0_14default_configENS1_22reduce_config_selectorIiEEZNS1_11reduce_implILb1ES3_N6thrust23THRUST_200600_302600_NS11hip_rocprim26transform_input_iterator_tIiNS8_12zip_iteratorINS8_5tupleIPjPiNS8_9null_typeESF_SF_SF_SF_SF_SF_SF_EEEEN6dUtils22getValueFilteredByMaskIjiEEEESE_iNS8_7maximumIjEEEE10hipError_tPvRmT1_T2_T3_mT4_P12ihipStream_tbEUlT_E0_NS1_11comp_targetILNS1_3genE10ELNS1_11target_archE1201ELNS1_3gpuE5ELNS1_3repE0EEENS1_30default_config_static_selectorELNS0_4arch9wavefront6targetE1EEEvSR_
; %bb.0:
	.section	.rodata,"a",@progbits
	.p2align	6, 0x0
	.amdhsa_kernel _ZN7rocprim17ROCPRIM_400000_NS6detail17trampoline_kernelINS0_14default_configENS1_22reduce_config_selectorIiEEZNS1_11reduce_implILb1ES3_N6thrust23THRUST_200600_302600_NS11hip_rocprim26transform_input_iterator_tIiNS8_12zip_iteratorINS8_5tupleIPjPiNS8_9null_typeESF_SF_SF_SF_SF_SF_SF_EEEEN6dUtils22getValueFilteredByMaskIjiEEEESE_iNS8_7maximumIjEEEE10hipError_tPvRmT1_T2_T3_mT4_P12ihipStream_tbEUlT_E0_NS1_11comp_targetILNS1_3genE10ELNS1_11target_archE1201ELNS1_3gpuE5ELNS1_3repE0EEENS1_30default_config_static_selectorELNS0_4arch9wavefront6targetE1EEEvSR_
		.amdhsa_group_segment_fixed_size 0
		.amdhsa_private_segment_fixed_size 0
		.amdhsa_kernarg_size 72
		.amdhsa_user_sgpr_count 6
		.amdhsa_user_sgpr_private_segment_buffer 1
		.amdhsa_user_sgpr_dispatch_ptr 0
		.amdhsa_user_sgpr_queue_ptr 0
		.amdhsa_user_sgpr_kernarg_segment_ptr 1
		.amdhsa_user_sgpr_dispatch_id 0
		.amdhsa_user_sgpr_flat_scratch_init 0
		.amdhsa_user_sgpr_kernarg_preload_length 0
		.amdhsa_user_sgpr_kernarg_preload_offset 0
		.amdhsa_user_sgpr_private_segment_size 0
		.amdhsa_uses_dynamic_stack 0
		.amdhsa_system_sgpr_private_segment_wavefront_offset 0
		.amdhsa_system_sgpr_workgroup_id_x 1
		.amdhsa_system_sgpr_workgroup_id_y 0
		.amdhsa_system_sgpr_workgroup_id_z 0
		.amdhsa_system_sgpr_workgroup_info 0
		.amdhsa_system_vgpr_workitem_id 0
		.amdhsa_next_free_vgpr 1
		.amdhsa_next_free_sgpr 0
		.amdhsa_accum_offset 4
		.amdhsa_reserve_vcc 0
		.amdhsa_reserve_flat_scratch 0
		.amdhsa_float_round_mode_32 0
		.amdhsa_float_round_mode_16_64 0
		.amdhsa_float_denorm_mode_32 3
		.amdhsa_float_denorm_mode_16_64 3
		.amdhsa_dx10_clamp 1
		.amdhsa_ieee_mode 1
		.amdhsa_fp16_overflow 0
		.amdhsa_tg_split 0
		.amdhsa_exception_fp_ieee_invalid_op 0
		.amdhsa_exception_fp_denorm_src 0
		.amdhsa_exception_fp_ieee_div_zero 0
		.amdhsa_exception_fp_ieee_overflow 0
		.amdhsa_exception_fp_ieee_underflow 0
		.amdhsa_exception_fp_ieee_inexact 0
		.amdhsa_exception_int_div_zero 0
	.end_amdhsa_kernel
	.section	.text._ZN7rocprim17ROCPRIM_400000_NS6detail17trampoline_kernelINS0_14default_configENS1_22reduce_config_selectorIiEEZNS1_11reduce_implILb1ES3_N6thrust23THRUST_200600_302600_NS11hip_rocprim26transform_input_iterator_tIiNS8_12zip_iteratorINS8_5tupleIPjPiNS8_9null_typeESF_SF_SF_SF_SF_SF_SF_EEEEN6dUtils22getValueFilteredByMaskIjiEEEESE_iNS8_7maximumIjEEEE10hipError_tPvRmT1_T2_T3_mT4_P12ihipStream_tbEUlT_E0_NS1_11comp_targetILNS1_3genE10ELNS1_11target_archE1201ELNS1_3gpuE5ELNS1_3repE0EEENS1_30default_config_static_selectorELNS0_4arch9wavefront6targetE1EEEvSR_,"axG",@progbits,_ZN7rocprim17ROCPRIM_400000_NS6detail17trampoline_kernelINS0_14default_configENS1_22reduce_config_selectorIiEEZNS1_11reduce_implILb1ES3_N6thrust23THRUST_200600_302600_NS11hip_rocprim26transform_input_iterator_tIiNS8_12zip_iteratorINS8_5tupleIPjPiNS8_9null_typeESF_SF_SF_SF_SF_SF_SF_EEEEN6dUtils22getValueFilteredByMaskIjiEEEESE_iNS8_7maximumIjEEEE10hipError_tPvRmT1_T2_T3_mT4_P12ihipStream_tbEUlT_E0_NS1_11comp_targetILNS1_3genE10ELNS1_11target_archE1201ELNS1_3gpuE5ELNS1_3repE0EEENS1_30default_config_static_selectorELNS0_4arch9wavefront6targetE1EEEvSR_,comdat
.Lfunc_end428:
	.size	_ZN7rocprim17ROCPRIM_400000_NS6detail17trampoline_kernelINS0_14default_configENS1_22reduce_config_selectorIiEEZNS1_11reduce_implILb1ES3_N6thrust23THRUST_200600_302600_NS11hip_rocprim26transform_input_iterator_tIiNS8_12zip_iteratorINS8_5tupleIPjPiNS8_9null_typeESF_SF_SF_SF_SF_SF_SF_EEEEN6dUtils22getValueFilteredByMaskIjiEEEESE_iNS8_7maximumIjEEEE10hipError_tPvRmT1_T2_T3_mT4_P12ihipStream_tbEUlT_E0_NS1_11comp_targetILNS1_3genE10ELNS1_11target_archE1201ELNS1_3gpuE5ELNS1_3repE0EEENS1_30default_config_static_selectorELNS0_4arch9wavefront6targetE1EEEvSR_, .Lfunc_end428-_ZN7rocprim17ROCPRIM_400000_NS6detail17trampoline_kernelINS0_14default_configENS1_22reduce_config_selectorIiEEZNS1_11reduce_implILb1ES3_N6thrust23THRUST_200600_302600_NS11hip_rocprim26transform_input_iterator_tIiNS8_12zip_iteratorINS8_5tupleIPjPiNS8_9null_typeESF_SF_SF_SF_SF_SF_SF_EEEEN6dUtils22getValueFilteredByMaskIjiEEEESE_iNS8_7maximumIjEEEE10hipError_tPvRmT1_T2_T3_mT4_P12ihipStream_tbEUlT_E0_NS1_11comp_targetILNS1_3genE10ELNS1_11target_archE1201ELNS1_3gpuE5ELNS1_3repE0EEENS1_30default_config_static_selectorELNS0_4arch9wavefront6targetE1EEEvSR_
                                        ; -- End function
	.section	.AMDGPU.csdata,"",@progbits
; Kernel info:
; codeLenInByte = 0
; NumSgprs: 4
; NumVgprs: 0
; NumAgprs: 0
; TotalNumVgprs: 0
; ScratchSize: 0
; MemoryBound: 0
; FloatMode: 240
; IeeeMode: 1
; LDSByteSize: 0 bytes/workgroup (compile time only)
; SGPRBlocks: 0
; VGPRBlocks: 0
; NumSGPRsForWavesPerEU: 4
; NumVGPRsForWavesPerEU: 1
; AccumOffset: 4
; Occupancy: 8
; WaveLimiterHint : 0
; COMPUTE_PGM_RSRC2:SCRATCH_EN: 0
; COMPUTE_PGM_RSRC2:USER_SGPR: 6
; COMPUTE_PGM_RSRC2:TRAP_HANDLER: 0
; COMPUTE_PGM_RSRC2:TGID_X_EN: 1
; COMPUTE_PGM_RSRC2:TGID_Y_EN: 0
; COMPUTE_PGM_RSRC2:TGID_Z_EN: 0
; COMPUTE_PGM_RSRC2:TIDIG_COMP_CNT: 0
; COMPUTE_PGM_RSRC3_GFX90A:ACCUM_OFFSET: 0
; COMPUTE_PGM_RSRC3_GFX90A:TG_SPLIT: 0
	.section	.text._ZN7rocprim17ROCPRIM_400000_NS6detail17trampoline_kernelINS0_14default_configENS1_22reduce_config_selectorIiEEZNS1_11reduce_implILb1ES3_N6thrust23THRUST_200600_302600_NS11hip_rocprim26transform_input_iterator_tIiNS8_12zip_iteratorINS8_5tupleIPjPiNS8_9null_typeESF_SF_SF_SF_SF_SF_SF_EEEEN6dUtils22getValueFilteredByMaskIjiEEEESE_iNS8_7maximumIjEEEE10hipError_tPvRmT1_T2_T3_mT4_P12ihipStream_tbEUlT_E0_NS1_11comp_targetILNS1_3genE10ELNS1_11target_archE1200ELNS1_3gpuE4ELNS1_3repE0EEENS1_30default_config_static_selectorELNS0_4arch9wavefront6targetE1EEEvSR_,"axG",@progbits,_ZN7rocprim17ROCPRIM_400000_NS6detail17trampoline_kernelINS0_14default_configENS1_22reduce_config_selectorIiEEZNS1_11reduce_implILb1ES3_N6thrust23THRUST_200600_302600_NS11hip_rocprim26transform_input_iterator_tIiNS8_12zip_iteratorINS8_5tupleIPjPiNS8_9null_typeESF_SF_SF_SF_SF_SF_SF_EEEEN6dUtils22getValueFilteredByMaskIjiEEEESE_iNS8_7maximumIjEEEE10hipError_tPvRmT1_T2_T3_mT4_P12ihipStream_tbEUlT_E0_NS1_11comp_targetILNS1_3genE10ELNS1_11target_archE1200ELNS1_3gpuE4ELNS1_3repE0EEENS1_30default_config_static_selectorELNS0_4arch9wavefront6targetE1EEEvSR_,comdat
	.protected	_ZN7rocprim17ROCPRIM_400000_NS6detail17trampoline_kernelINS0_14default_configENS1_22reduce_config_selectorIiEEZNS1_11reduce_implILb1ES3_N6thrust23THRUST_200600_302600_NS11hip_rocprim26transform_input_iterator_tIiNS8_12zip_iteratorINS8_5tupleIPjPiNS8_9null_typeESF_SF_SF_SF_SF_SF_SF_EEEEN6dUtils22getValueFilteredByMaskIjiEEEESE_iNS8_7maximumIjEEEE10hipError_tPvRmT1_T2_T3_mT4_P12ihipStream_tbEUlT_E0_NS1_11comp_targetILNS1_3genE10ELNS1_11target_archE1200ELNS1_3gpuE4ELNS1_3repE0EEENS1_30default_config_static_selectorELNS0_4arch9wavefront6targetE1EEEvSR_ ; -- Begin function _ZN7rocprim17ROCPRIM_400000_NS6detail17trampoline_kernelINS0_14default_configENS1_22reduce_config_selectorIiEEZNS1_11reduce_implILb1ES3_N6thrust23THRUST_200600_302600_NS11hip_rocprim26transform_input_iterator_tIiNS8_12zip_iteratorINS8_5tupleIPjPiNS8_9null_typeESF_SF_SF_SF_SF_SF_SF_EEEEN6dUtils22getValueFilteredByMaskIjiEEEESE_iNS8_7maximumIjEEEE10hipError_tPvRmT1_T2_T3_mT4_P12ihipStream_tbEUlT_E0_NS1_11comp_targetILNS1_3genE10ELNS1_11target_archE1200ELNS1_3gpuE4ELNS1_3repE0EEENS1_30default_config_static_selectorELNS0_4arch9wavefront6targetE1EEEvSR_
	.globl	_ZN7rocprim17ROCPRIM_400000_NS6detail17trampoline_kernelINS0_14default_configENS1_22reduce_config_selectorIiEEZNS1_11reduce_implILb1ES3_N6thrust23THRUST_200600_302600_NS11hip_rocprim26transform_input_iterator_tIiNS8_12zip_iteratorINS8_5tupleIPjPiNS8_9null_typeESF_SF_SF_SF_SF_SF_SF_EEEEN6dUtils22getValueFilteredByMaskIjiEEEESE_iNS8_7maximumIjEEEE10hipError_tPvRmT1_T2_T3_mT4_P12ihipStream_tbEUlT_E0_NS1_11comp_targetILNS1_3genE10ELNS1_11target_archE1200ELNS1_3gpuE4ELNS1_3repE0EEENS1_30default_config_static_selectorELNS0_4arch9wavefront6targetE1EEEvSR_
	.p2align	8
	.type	_ZN7rocprim17ROCPRIM_400000_NS6detail17trampoline_kernelINS0_14default_configENS1_22reduce_config_selectorIiEEZNS1_11reduce_implILb1ES3_N6thrust23THRUST_200600_302600_NS11hip_rocprim26transform_input_iterator_tIiNS8_12zip_iteratorINS8_5tupleIPjPiNS8_9null_typeESF_SF_SF_SF_SF_SF_SF_EEEEN6dUtils22getValueFilteredByMaskIjiEEEESE_iNS8_7maximumIjEEEE10hipError_tPvRmT1_T2_T3_mT4_P12ihipStream_tbEUlT_E0_NS1_11comp_targetILNS1_3genE10ELNS1_11target_archE1200ELNS1_3gpuE4ELNS1_3repE0EEENS1_30default_config_static_selectorELNS0_4arch9wavefront6targetE1EEEvSR_,@function
_ZN7rocprim17ROCPRIM_400000_NS6detail17trampoline_kernelINS0_14default_configENS1_22reduce_config_selectorIiEEZNS1_11reduce_implILb1ES3_N6thrust23THRUST_200600_302600_NS11hip_rocprim26transform_input_iterator_tIiNS8_12zip_iteratorINS8_5tupleIPjPiNS8_9null_typeESF_SF_SF_SF_SF_SF_SF_EEEEN6dUtils22getValueFilteredByMaskIjiEEEESE_iNS8_7maximumIjEEEE10hipError_tPvRmT1_T2_T3_mT4_P12ihipStream_tbEUlT_E0_NS1_11comp_targetILNS1_3genE10ELNS1_11target_archE1200ELNS1_3gpuE4ELNS1_3repE0EEENS1_30default_config_static_selectorELNS0_4arch9wavefront6targetE1EEEvSR_: ; @_ZN7rocprim17ROCPRIM_400000_NS6detail17trampoline_kernelINS0_14default_configENS1_22reduce_config_selectorIiEEZNS1_11reduce_implILb1ES3_N6thrust23THRUST_200600_302600_NS11hip_rocprim26transform_input_iterator_tIiNS8_12zip_iteratorINS8_5tupleIPjPiNS8_9null_typeESF_SF_SF_SF_SF_SF_SF_EEEEN6dUtils22getValueFilteredByMaskIjiEEEESE_iNS8_7maximumIjEEEE10hipError_tPvRmT1_T2_T3_mT4_P12ihipStream_tbEUlT_E0_NS1_11comp_targetILNS1_3genE10ELNS1_11target_archE1200ELNS1_3gpuE4ELNS1_3repE0EEENS1_30default_config_static_selectorELNS0_4arch9wavefront6targetE1EEEvSR_
; %bb.0:
	.section	.rodata,"a",@progbits
	.p2align	6, 0x0
	.amdhsa_kernel _ZN7rocprim17ROCPRIM_400000_NS6detail17trampoline_kernelINS0_14default_configENS1_22reduce_config_selectorIiEEZNS1_11reduce_implILb1ES3_N6thrust23THRUST_200600_302600_NS11hip_rocprim26transform_input_iterator_tIiNS8_12zip_iteratorINS8_5tupleIPjPiNS8_9null_typeESF_SF_SF_SF_SF_SF_SF_EEEEN6dUtils22getValueFilteredByMaskIjiEEEESE_iNS8_7maximumIjEEEE10hipError_tPvRmT1_T2_T3_mT4_P12ihipStream_tbEUlT_E0_NS1_11comp_targetILNS1_3genE10ELNS1_11target_archE1200ELNS1_3gpuE4ELNS1_3repE0EEENS1_30default_config_static_selectorELNS0_4arch9wavefront6targetE1EEEvSR_
		.amdhsa_group_segment_fixed_size 0
		.amdhsa_private_segment_fixed_size 0
		.amdhsa_kernarg_size 72
		.amdhsa_user_sgpr_count 6
		.amdhsa_user_sgpr_private_segment_buffer 1
		.amdhsa_user_sgpr_dispatch_ptr 0
		.amdhsa_user_sgpr_queue_ptr 0
		.amdhsa_user_sgpr_kernarg_segment_ptr 1
		.amdhsa_user_sgpr_dispatch_id 0
		.amdhsa_user_sgpr_flat_scratch_init 0
		.amdhsa_user_sgpr_kernarg_preload_length 0
		.amdhsa_user_sgpr_kernarg_preload_offset 0
		.amdhsa_user_sgpr_private_segment_size 0
		.amdhsa_uses_dynamic_stack 0
		.amdhsa_system_sgpr_private_segment_wavefront_offset 0
		.amdhsa_system_sgpr_workgroup_id_x 1
		.amdhsa_system_sgpr_workgroup_id_y 0
		.amdhsa_system_sgpr_workgroup_id_z 0
		.amdhsa_system_sgpr_workgroup_info 0
		.amdhsa_system_vgpr_workitem_id 0
		.amdhsa_next_free_vgpr 1
		.amdhsa_next_free_sgpr 0
		.amdhsa_accum_offset 4
		.amdhsa_reserve_vcc 0
		.amdhsa_reserve_flat_scratch 0
		.amdhsa_float_round_mode_32 0
		.amdhsa_float_round_mode_16_64 0
		.amdhsa_float_denorm_mode_32 3
		.amdhsa_float_denorm_mode_16_64 3
		.amdhsa_dx10_clamp 1
		.amdhsa_ieee_mode 1
		.amdhsa_fp16_overflow 0
		.amdhsa_tg_split 0
		.amdhsa_exception_fp_ieee_invalid_op 0
		.amdhsa_exception_fp_denorm_src 0
		.amdhsa_exception_fp_ieee_div_zero 0
		.amdhsa_exception_fp_ieee_overflow 0
		.amdhsa_exception_fp_ieee_underflow 0
		.amdhsa_exception_fp_ieee_inexact 0
		.amdhsa_exception_int_div_zero 0
	.end_amdhsa_kernel
	.section	.text._ZN7rocprim17ROCPRIM_400000_NS6detail17trampoline_kernelINS0_14default_configENS1_22reduce_config_selectorIiEEZNS1_11reduce_implILb1ES3_N6thrust23THRUST_200600_302600_NS11hip_rocprim26transform_input_iterator_tIiNS8_12zip_iteratorINS8_5tupleIPjPiNS8_9null_typeESF_SF_SF_SF_SF_SF_SF_EEEEN6dUtils22getValueFilteredByMaskIjiEEEESE_iNS8_7maximumIjEEEE10hipError_tPvRmT1_T2_T3_mT4_P12ihipStream_tbEUlT_E0_NS1_11comp_targetILNS1_3genE10ELNS1_11target_archE1200ELNS1_3gpuE4ELNS1_3repE0EEENS1_30default_config_static_selectorELNS0_4arch9wavefront6targetE1EEEvSR_,"axG",@progbits,_ZN7rocprim17ROCPRIM_400000_NS6detail17trampoline_kernelINS0_14default_configENS1_22reduce_config_selectorIiEEZNS1_11reduce_implILb1ES3_N6thrust23THRUST_200600_302600_NS11hip_rocprim26transform_input_iterator_tIiNS8_12zip_iteratorINS8_5tupleIPjPiNS8_9null_typeESF_SF_SF_SF_SF_SF_SF_EEEEN6dUtils22getValueFilteredByMaskIjiEEEESE_iNS8_7maximumIjEEEE10hipError_tPvRmT1_T2_T3_mT4_P12ihipStream_tbEUlT_E0_NS1_11comp_targetILNS1_3genE10ELNS1_11target_archE1200ELNS1_3gpuE4ELNS1_3repE0EEENS1_30default_config_static_selectorELNS0_4arch9wavefront6targetE1EEEvSR_,comdat
.Lfunc_end429:
	.size	_ZN7rocprim17ROCPRIM_400000_NS6detail17trampoline_kernelINS0_14default_configENS1_22reduce_config_selectorIiEEZNS1_11reduce_implILb1ES3_N6thrust23THRUST_200600_302600_NS11hip_rocprim26transform_input_iterator_tIiNS8_12zip_iteratorINS8_5tupleIPjPiNS8_9null_typeESF_SF_SF_SF_SF_SF_SF_EEEEN6dUtils22getValueFilteredByMaskIjiEEEESE_iNS8_7maximumIjEEEE10hipError_tPvRmT1_T2_T3_mT4_P12ihipStream_tbEUlT_E0_NS1_11comp_targetILNS1_3genE10ELNS1_11target_archE1200ELNS1_3gpuE4ELNS1_3repE0EEENS1_30default_config_static_selectorELNS0_4arch9wavefront6targetE1EEEvSR_, .Lfunc_end429-_ZN7rocprim17ROCPRIM_400000_NS6detail17trampoline_kernelINS0_14default_configENS1_22reduce_config_selectorIiEEZNS1_11reduce_implILb1ES3_N6thrust23THRUST_200600_302600_NS11hip_rocprim26transform_input_iterator_tIiNS8_12zip_iteratorINS8_5tupleIPjPiNS8_9null_typeESF_SF_SF_SF_SF_SF_SF_EEEEN6dUtils22getValueFilteredByMaskIjiEEEESE_iNS8_7maximumIjEEEE10hipError_tPvRmT1_T2_T3_mT4_P12ihipStream_tbEUlT_E0_NS1_11comp_targetILNS1_3genE10ELNS1_11target_archE1200ELNS1_3gpuE4ELNS1_3repE0EEENS1_30default_config_static_selectorELNS0_4arch9wavefront6targetE1EEEvSR_
                                        ; -- End function
	.section	.AMDGPU.csdata,"",@progbits
; Kernel info:
; codeLenInByte = 0
; NumSgprs: 4
; NumVgprs: 0
; NumAgprs: 0
; TotalNumVgprs: 0
; ScratchSize: 0
; MemoryBound: 0
; FloatMode: 240
; IeeeMode: 1
; LDSByteSize: 0 bytes/workgroup (compile time only)
; SGPRBlocks: 0
; VGPRBlocks: 0
; NumSGPRsForWavesPerEU: 4
; NumVGPRsForWavesPerEU: 1
; AccumOffset: 4
; Occupancy: 8
; WaveLimiterHint : 0
; COMPUTE_PGM_RSRC2:SCRATCH_EN: 0
; COMPUTE_PGM_RSRC2:USER_SGPR: 6
; COMPUTE_PGM_RSRC2:TRAP_HANDLER: 0
; COMPUTE_PGM_RSRC2:TGID_X_EN: 1
; COMPUTE_PGM_RSRC2:TGID_Y_EN: 0
; COMPUTE_PGM_RSRC2:TGID_Z_EN: 0
; COMPUTE_PGM_RSRC2:TIDIG_COMP_CNT: 0
; COMPUTE_PGM_RSRC3_GFX90A:ACCUM_OFFSET: 0
; COMPUTE_PGM_RSRC3_GFX90A:TG_SPLIT: 0
	.section	.text._ZN7rocprim17ROCPRIM_400000_NS6detail17trampoline_kernelINS0_14default_configENS1_22reduce_config_selectorIiEEZNS1_11reduce_implILb1ES3_N6thrust23THRUST_200600_302600_NS11hip_rocprim26transform_input_iterator_tIiNS8_12zip_iteratorINS8_5tupleIPjPiNS8_9null_typeESF_SF_SF_SF_SF_SF_SF_EEEEN6dUtils22getValueFilteredByMaskIjiEEEESE_iNS8_7maximumIjEEEE10hipError_tPvRmT1_T2_T3_mT4_P12ihipStream_tbEUlT_E0_NS1_11comp_targetILNS1_3genE9ELNS1_11target_archE1100ELNS1_3gpuE3ELNS1_3repE0EEENS1_30default_config_static_selectorELNS0_4arch9wavefront6targetE1EEEvSR_,"axG",@progbits,_ZN7rocprim17ROCPRIM_400000_NS6detail17trampoline_kernelINS0_14default_configENS1_22reduce_config_selectorIiEEZNS1_11reduce_implILb1ES3_N6thrust23THRUST_200600_302600_NS11hip_rocprim26transform_input_iterator_tIiNS8_12zip_iteratorINS8_5tupleIPjPiNS8_9null_typeESF_SF_SF_SF_SF_SF_SF_EEEEN6dUtils22getValueFilteredByMaskIjiEEEESE_iNS8_7maximumIjEEEE10hipError_tPvRmT1_T2_T3_mT4_P12ihipStream_tbEUlT_E0_NS1_11comp_targetILNS1_3genE9ELNS1_11target_archE1100ELNS1_3gpuE3ELNS1_3repE0EEENS1_30default_config_static_selectorELNS0_4arch9wavefront6targetE1EEEvSR_,comdat
	.protected	_ZN7rocprim17ROCPRIM_400000_NS6detail17trampoline_kernelINS0_14default_configENS1_22reduce_config_selectorIiEEZNS1_11reduce_implILb1ES3_N6thrust23THRUST_200600_302600_NS11hip_rocprim26transform_input_iterator_tIiNS8_12zip_iteratorINS8_5tupleIPjPiNS8_9null_typeESF_SF_SF_SF_SF_SF_SF_EEEEN6dUtils22getValueFilteredByMaskIjiEEEESE_iNS8_7maximumIjEEEE10hipError_tPvRmT1_T2_T3_mT4_P12ihipStream_tbEUlT_E0_NS1_11comp_targetILNS1_3genE9ELNS1_11target_archE1100ELNS1_3gpuE3ELNS1_3repE0EEENS1_30default_config_static_selectorELNS0_4arch9wavefront6targetE1EEEvSR_ ; -- Begin function _ZN7rocprim17ROCPRIM_400000_NS6detail17trampoline_kernelINS0_14default_configENS1_22reduce_config_selectorIiEEZNS1_11reduce_implILb1ES3_N6thrust23THRUST_200600_302600_NS11hip_rocprim26transform_input_iterator_tIiNS8_12zip_iteratorINS8_5tupleIPjPiNS8_9null_typeESF_SF_SF_SF_SF_SF_SF_EEEEN6dUtils22getValueFilteredByMaskIjiEEEESE_iNS8_7maximumIjEEEE10hipError_tPvRmT1_T2_T3_mT4_P12ihipStream_tbEUlT_E0_NS1_11comp_targetILNS1_3genE9ELNS1_11target_archE1100ELNS1_3gpuE3ELNS1_3repE0EEENS1_30default_config_static_selectorELNS0_4arch9wavefront6targetE1EEEvSR_
	.globl	_ZN7rocprim17ROCPRIM_400000_NS6detail17trampoline_kernelINS0_14default_configENS1_22reduce_config_selectorIiEEZNS1_11reduce_implILb1ES3_N6thrust23THRUST_200600_302600_NS11hip_rocprim26transform_input_iterator_tIiNS8_12zip_iteratorINS8_5tupleIPjPiNS8_9null_typeESF_SF_SF_SF_SF_SF_SF_EEEEN6dUtils22getValueFilteredByMaskIjiEEEESE_iNS8_7maximumIjEEEE10hipError_tPvRmT1_T2_T3_mT4_P12ihipStream_tbEUlT_E0_NS1_11comp_targetILNS1_3genE9ELNS1_11target_archE1100ELNS1_3gpuE3ELNS1_3repE0EEENS1_30default_config_static_selectorELNS0_4arch9wavefront6targetE1EEEvSR_
	.p2align	8
	.type	_ZN7rocprim17ROCPRIM_400000_NS6detail17trampoline_kernelINS0_14default_configENS1_22reduce_config_selectorIiEEZNS1_11reduce_implILb1ES3_N6thrust23THRUST_200600_302600_NS11hip_rocprim26transform_input_iterator_tIiNS8_12zip_iteratorINS8_5tupleIPjPiNS8_9null_typeESF_SF_SF_SF_SF_SF_SF_EEEEN6dUtils22getValueFilteredByMaskIjiEEEESE_iNS8_7maximumIjEEEE10hipError_tPvRmT1_T2_T3_mT4_P12ihipStream_tbEUlT_E0_NS1_11comp_targetILNS1_3genE9ELNS1_11target_archE1100ELNS1_3gpuE3ELNS1_3repE0EEENS1_30default_config_static_selectorELNS0_4arch9wavefront6targetE1EEEvSR_,@function
_ZN7rocprim17ROCPRIM_400000_NS6detail17trampoline_kernelINS0_14default_configENS1_22reduce_config_selectorIiEEZNS1_11reduce_implILb1ES3_N6thrust23THRUST_200600_302600_NS11hip_rocprim26transform_input_iterator_tIiNS8_12zip_iteratorINS8_5tupleIPjPiNS8_9null_typeESF_SF_SF_SF_SF_SF_SF_EEEEN6dUtils22getValueFilteredByMaskIjiEEEESE_iNS8_7maximumIjEEEE10hipError_tPvRmT1_T2_T3_mT4_P12ihipStream_tbEUlT_E0_NS1_11comp_targetILNS1_3genE9ELNS1_11target_archE1100ELNS1_3gpuE3ELNS1_3repE0EEENS1_30default_config_static_selectorELNS0_4arch9wavefront6targetE1EEEvSR_: ; @_ZN7rocprim17ROCPRIM_400000_NS6detail17trampoline_kernelINS0_14default_configENS1_22reduce_config_selectorIiEEZNS1_11reduce_implILb1ES3_N6thrust23THRUST_200600_302600_NS11hip_rocprim26transform_input_iterator_tIiNS8_12zip_iteratorINS8_5tupleIPjPiNS8_9null_typeESF_SF_SF_SF_SF_SF_SF_EEEEN6dUtils22getValueFilteredByMaskIjiEEEESE_iNS8_7maximumIjEEEE10hipError_tPvRmT1_T2_T3_mT4_P12ihipStream_tbEUlT_E0_NS1_11comp_targetILNS1_3genE9ELNS1_11target_archE1100ELNS1_3gpuE3ELNS1_3repE0EEENS1_30default_config_static_selectorELNS0_4arch9wavefront6targetE1EEEvSR_
; %bb.0:
	.section	.rodata,"a",@progbits
	.p2align	6, 0x0
	.amdhsa_kernel _ZN7rocprim17ROCPRIM_400000_NS6detail17trampoline_kernelINS0_14default_configENS1_22reduce_config_selectorIiEEZNS1_11reduce_implILb1ES3_N6thrust23THRUST_200600_302600_NS11hip_rocprim26transform_input_iterator_tIiNS8_12zip_iteratorINS8_5tupleIPjPiNS8_9null_typeESF_SF_SF_SF_SF_SF_SF_EEEEN6dUtils22getValueFilteredByMaskIjiEEEESE_iNS8_7maximumIjEEEE10hipError_tPvRmT1_T2_T3_mT4_P12ihipStream_tbEUlT_E0_NS1_11comp_targetILNS1_3genE9ELNS1_11target_archE1100ELNS1_3gpuE3ELNS1_3repE0EEENS1_30default_config_static_selectorELNS0_4arch9wavefront6targetE1EEEvSR_
		.amdhsa_group_segment_fixed_size 0
		.amdhsa_private_segment_fixed_size 0
		.amdhsa_kernarg_size 72
		.amdhsa_user_sgpr_count 6
		.amdhsa_user_sgpr_private_segment_buffer 1
		.amdhsa_user_sgpr_dispatch_ptr 0
		.amdhsa_user_sgpr_queue_ptr 0
		.amdhsa_user_sgpr_kernarg_segment_ptr 1
		.amdhsa_user_sgpr_dispatch_id 0
		.amdhsa_user_sgpr_flat_scratch_init 0
		.amdhsa_user_sgpr_kernarg_preload_length 0
		.amdhsa_user_sgpr_kernarg_preload_offset 0
		.amdhsa_user_sgpr_private_segment_size 0
		.amdhsa_uses_dynamic_stack 0
		.amdhsa_system_sgpr_private_segment_wavefront_offset 0
		.amdhsa_system_sgpr_workgroup_id_x 1
		.amdhsa_system_sgpr_workgroup_id_y 0
		.amdhsa_system_sgpr_workgroup_id_z 0
		.amdhsa_system_sgpr_workgroup_info 0
		.amdhsa_system_vgpr_workitem_id 0
		.amdhsa_next_free_vgpr 1
		.amdhsa_next_free_sgpr 0
		.amdhsa_accum_offset 4
		.amdhsa_reserve_vcc 0
		.amdhsa_reserve_flat_scratch 0
		.amdhsa_float_round_mode_32 0
		.amdhsa_float_round_mode_16_64 0
		.amdhsa_float_denorm_mode_32 3
		.amdhsa_float_denorm_mode_16_64 3
		.amdhsa_dx10_clamp 1
		.amdhsa_ieee_mode 1
		.amdhsa_fp16_overflow 0
		.amdhsa_tg_split 0
		.amdhsa_exception_fp_ieee_invalid_op 0
		.amdhsa_exception_fp_denorm_src 0
		.amdhsa_exception_fp_ieee_div_zero 0
		.amdhsa_exception_fp_ieee_overflow 0
		.amdhsa_exception_fp_ieee_underflow 0
		.amdhsa_exception_fp_ieee_inexact 0
		.amdhsa_exception_int_div_zero 0
	.end_amdhsa_kernel
	.section	.text._ZN7rocprim17ROCPRIM_400000_NS6detail17trampoline_kernelINS0_14default_configENS1_22reduce_config_selectorIiEEZNS1_11reduce_implILb1ES3_N6thrust23THRUST_200600_302600_NS11hip_rocprim26transform_input_iterator_tIiNS8_12zip_iteratorINS8_5tupleIPjPiNS8_9null_typeESF_SF_SF_SF_SF_SF_SF_EEEEN6dUtils22getValueFilteredByMaskIjiEEEESE_iNS8_7maximumIjEEEE10hipError_tPvRmT1_T2_T3_mT4_P12ihipStream_tbEUlT_E0_NS1_11comp_targetILNS1_3genE9ELNS1_11target_archE1100ELNS1_3gpuE3ELNS1_3repE0EEENS1_30default_config_static_selectorELNS0_4arch9wavefront6targetE1EEEvSR_,"axG",@progbits,_ZN7rocprim17ROCPRIM_400000_NS6detail17trampoline_kernelINS0_14default_configENS1_22reduce_config_selectorIiEEZNS1_11reduce_implILb1ES3_N6thrust23THRUST_200600_302600_NS11hip_rocprim26transform_input_iterator_tIiNS8_12zip_iteratorINS8_5tupleIPjPiNS8_9null_typeESF_SF_SF_SF_SF_SF_SF_EEEEN6dUtils22getValueFilteredByMaskIjiEEEESE_iNS8_7maximumIjEEEE10hipError_tPvRmT1_T2_T3_mT4_P12ihipStream_tbEUlT_E0_NS1_11comp_targetILNS1_3genE9ELNS1_11target_archE1100ELNS1_3gpuE3ELNS1_3repE0EEENS1_30default_config_static_selectorELNS0_4arch9wavefront6targetE1EEEvSR_,comdat
.Lfunc_end430:
	.size	_ZN7rocprim17ROCPRIM_400000_NS6detail17trampoline_kernelINS0_14default_configENS1_22reduce_config_selectorIiEEZNS1_11reduce_implILb1ES3_N6thrust23THRUST_200600_302600_NS11hip_rocprim26transform_input_iterator_tIiNS8_12zip_iteratorINS8_5tupleIPjPiNS8_9null_typeESF_SF_SF_SF_SF_SF_SF_EEEEN6dUtils22getValueFilteredByMaskIjiEEEESE_iNS8_7maximumIjEEEE10hipError_tPvRmT1_T2_T3_mT4_P12ihipStream_tbEUlT_E0_NS1_11comp_targetILNS1_3genE9ELNS1_11target_archE1100ELNS1_3gpuE3ELNS1_3repE0EEENS1_30default_config_static_selectorELNS0_4arch9wavefront6targetE1EEEvSR_, .Lfunc_end430-_ZN7rocprim17ROCPRIM_400000_NS6detail17trampoline_kernelINS0_14default_configENS1_22reduce_config_selectorIiEEZNS1_11reduce_implILb1ES3_N6thrust23THRUST_200600_302600_NS11hip_rocprim26transform_input_iterator_tIiNS8_12zip_iteratorINS8_5tupleIPjPiNS8_9null_typeESF_SF_SF_SF_SF_SF_SF_EEEEN6dUtils22getValueFilteredByMaskIjiEEEESE_iNS8_7maximumIjEEEE10hipError_tPvRmT1_T2_T3_mT4_P12ihipStream_tbEUlT_E0_NS1_11comp_targetILNS1_3genE9ELNS1_11target_archE1100ELNS1_3gpuE3ELNS1_3repE0EEENS1_30default_config_static_selectorELNS0_4arch9wavefront6targetE1EEEvSR_
                                        ; -- End function
	.section	.AMDGPU.csdata,"",@progbits
; Kernel info:
; codeLenInByte = 0
; NumSgprs: 4
; NumVgprs: 0
; NumAgprs: 0
; TotalNumVgprs: 0
; ScratchSize: 0
; MemoryBound: 0
; FloatMode: 240
; IeeeMode: 1
; LDSByteSize: 0 bytes/workgroup (compile time only)
; SGPRBlocks: 0
; VGPRBlocks: 0
; NumSGPRsForWavesPerEU: 4
; NumVGPRsForWavesPerEU: 1
; AccumOffset: 4
; Occupancy: 8
; WaveLimiterHint : 0
; COMPUTE_PGM_RSRC2:SCRATCH_EN: 0
; COMPUTE_PGM_RSRC2:USER_SGPR: 6
; COMPUTE_PGM_RSRC2:TRAP_HANDLER: 0
; COMPUTE_PGM_RSRC2:TGID_X_EN: 1
; COMPUTE_PGM_RSRC2:TGID_Y_EN: 0
; COMPUTE_PGM_RSRC2:TGID_Z_EN: 0
; COMPUTE_PGM_RSRC2:TIDIG_COMP_CNT: 0
; COMPUTE_PGM_RSRC3_GFX90A:ACCUM_OFFSET: 0
; COMPUTE_PGM_RSRC3_GFX90A:TG_SPLIT: 0
	.section	.text._ZN7rocprim17ROCPRIM_400000_NS6detail17trampoline_kernelINS0_14default_configENS1_22reduce_config_selectorIiEEZNS1_11reduce_implILb1ES3_N6thrust23THRUST_200600_302600_NS11hip_rocprim26transform_input_iterator_tIiNS8_12zip_iteratorINS8_5tupleIPjPiNS8_9null_typeESF_SF_SF_SF_SF_SF_SF_EEEEN6dUtils22getValueFilteredByMaskIjiEEEESE_iNS8_7maximumIjEEEE10hipError_tPvRmT1_T2_T3_mT4_P12ihipStream_tbEUlT_E0_NS1_11comp_targetILNS1_3genE8ELNS1_11target_archE1030ELNS1_3gpuE2ELNS1_3repE0EEENS1_30default_config_static_selectorELNS0_4arch9wavefront6targetE1EEEvSR_,"axG",@progbits,_ZN7rocprim17ROCPRIM_400000_NS6detail17trampoline_kernelINS0_14default_configENS1_22reduce_config_selectorIiEEZNS1_11reduce_implILb1ES3_N6thrust23THRUST_200600_302600_NS11hip_rocprim26transform_input_iterator_tIiNS8_12zip_iteratorINS8_5tupleIPjPiNS8_9null_typeESF_SF_SF_SF_SF_SF_SF_EEEEN6dUtils22getValueFilteredByMaskIjiEEEESE_iNS8_7maximumIjEEEE10hipError_tPvRmT1_T2_T3_mT4_P12ihipStream_tbEUlT_E0_NS1_11comp_targetILNS1_3genE8ELNS1_11target_archE1030ELNS1_3gpuE2ELNS1_3repE0EEENS1_30default_config_static_selectorELNS0_4arch9wavefront6targetE1EEEvSR_,comdat
	.protected	_ZN7rocprim17ROCPRIM_400000_NS6detail17trampoline_kernelINS0_14default_configENS1_22reduce_config_selectorIiEEZNS1_11reduce_implILb1ES3_N6thrust23THRUST_200600_302600_NS11hip_rocprim26transform_input_iterator_tIiNS8_12zip_iteratorINS8_5tupleIPjPiNS8_9null_typeESF_SF_SF_SF_SF_SF_SF_EEEEN6dUtils22getValueFilteredByMaskIjiEEEESE_iNS8_7maximumIjEEEE10hipError_tPvRmT1_T2_T3_mT4_P12ihipStream_tbEUlT_E0_NS1_11comp_targetILNS1_3genE8ELNS1_11target_archE1030ELNS1_3gpuE2ELNS1_3repE0EEENS1_30default_config_static_selectorELNS0_4arch9wavefront6targetE1EEEvSR_ ; -- Begin function _ZN7rocprim17ROCPRIM_400000_NS6detail17trampoline_kernelINS0_14default_configENS1_22reduce_config_selectorIiEEZNS1_11reduce_implILb1ES3_N6thrust23THRUST_200600_302600_NS11hip_rocprim26transform_input_iterator_tIiNS8_12zip_iteratorINS8_5tupleIPjPiNS8_9null_typeESF_SF_SF_SF_SF_SF_SF_EEEEN6dUtils22getValueFilteredByMaskIjiEEEESE_iNS8_7maximumIjEEEE10hipError_tPvRmT1_T2_T3_mT4_P12ihipStream_tbEUlT_E0_NS1_11comp_targetILNS1_3genE8ELNS1_11target_archE1030ELNS1_3gpuE2ELNS1_3repE0EEENS1_30default_config_static_selectorELNS0_4arch9wavefront6targetE1EEEvSR_
	.globl	_ZN7rocprim17ROCPRIM_400000_NS6detail17trampoline_kernelINS0_14default_configENS1_22reduce_config_selectorIiEEZNS1_11reduce_implILb1ES3_N6thrust23THRUST_200600_302600_NS11hip_rocprim26transform_input_iterator_tIiNS8_12zip_iteratorINS8_5tupleIPjPiNS8_9null_typeESF_SF_SF_SF_SF_SF_SF_EEEEN6dUtils22getValueFilteredByMaskIjiEEEESE_iNS8_7maximumIjEEEE10hipError_tPvRmT1_T2_T3_mT4_P12ihipStream_tbEUlT_E0_NS1_11comp_targetILNS1_3genE8ELNS1_11target_archE1030ELNS1_3gpuE2ELNS1_3repE0EEENS1_30default_config_static_selectorELNS0_4arch9wavefront6targetE1EEEvSR_
	.p2align	8
	.type	_ZN7rocprim17ROCPRIM_400000_NS6detail17trampoline_kernelINS0_14default_configENS1_22reduce_config_selectorIiEEZNS1_11reduce_implILb1ES3_N6thrust23THRUST_200600_302600_NS11hip_rocprim26transform_input_iterator_tIiNS8_12zip_iteratorINS8_5tupleIPjPiNS8_9null_typeESF_SF_SF_SF_SF_SF_SF_EEEEN6dUtils22getValueFilteredByMaskIjiEEEESE_iNS8_7maximumIjEEEE10hipError_tPvRmT1_T2_T3_mT4_P12ihipStream_tbEUlT_E0_NS1_11comp_targetILNS1_3genE8ELNS1_11target_archE1030ELNS1_3gpuE2ELNS1_3repE0EEENS1_30default_config_static_selectorELNS0_4arch9wavefront6targetE1EEEvSR_,@function
_ZN7rocprim17ROCPRIM_400000_NS6detail17trampoline_kernelINS0_14default_configENS1_22reduce_config_selectorIiEEZNS1_11reduce_implILb1ES3_N6thrust23THRUST_200600_302600_NS11hip_rocprim26transform_input_iterator_tIiNS8_12zip_iteratorINS8_5tupleIPjPiNS8_9null_typeESF_SF_SF_SF_SF_SF_SF_EEEEN6dUtils22getValueFilteredByMaskIjiEEEESE_iNS8_7maximumIjEEEE10hipError_tPvRmT1_T2_T3_mT4_P12ihipStream_tbEUlT_E0_NS1_11comp_targetILNS1_3genE8ELNS1_11target_archE1030ELNS1_3gpuE2ELNS1_3repE0EEENS1_30default_config_static_selectorELNS0_4arch9wavefront6targetE1EEEvSR_: ; @_ZN7rocprim17ROCPRIM_400000_NS6detail17trampoline_kernelINS0_14default_configENS1_22reduce_config_selectorIiEEZNS1_11reduce_implILb1ES3_N6thrust23THRUST_200600_302600_NS11hip_rocprim26transform_input_iterator_tIiNS8_12zip_iteratorINS8_5tupleIPjPiNS8_9null_typeESF_SF_SF_SF_SF_SF_SF_EEEEN6dUtils22getValueFilteredByMaskIjiEEEESE_iNS8_7maximumIjEEEE10hipError_tPvRmT1_T2_T3_mT4_P12ihipStream_tbEUlT_E0_NS1_11comp_targetILNS1_3genE8ELNS1_11target_archE1030ELNS1_3gpuE2ELNS1_3repE0EEENS1_30default_config_static_selectorELNS0_4arch9wavefront6targetE1EEEvSR_
; %bb.0:
	.section	.rodata,"a",@progbits
	.p2align	6, 0x0
	.amdhsa_kernel _ZN7rocprim17ROCPRIM_400000_NS6detail17trampoline_kernelINS0_14default_configENS1_22reduce_config_selectorIiEEZNS1_11reduce_implILb1ES3_N6thrust23THRUST_200600_302600_NS11hip_rocprim26transform_input_iterator_tIiNS8_12zip_iteratorINS8_5tupleIPjPiNS8_9null_typeESF_SF_SF_SF_SF_SF_SF_EEEEN6dUtils22getValueFilteredByMaskIjiEEEESE_iNS8_7maximumIjEEEE10hipError_tPvRmT1_T2_T3_mT4_P12ihipStream_tbEUlT_E0_NS1_11comp_targetILNS1_3genE8ELNS1_11target_archE1030ELNS1_3gpuE2ELNS1_3repE0EEENS1_30default_config_static_selectorELNS0_4arch9wavefront6targetE1EEEvSR_
		.amdhsa_group_segment_fixed_size 0
		.amdhsa_private_segment_fixed_size 0
		.amdhsa_kernarg_size 72
		.amdhsa_user_sgpr_count 6
		.amdhsa_user_sgpr_private_segment_buffer 1
		.amdhsa_user_sgpr_dispatch_ptr 0
		.amdhsa_user_sgpr_queue_ptr 0
		.amdhsa_user_sgpr_kernarg_segment_ptr 1
		.amdhsa_user_sgpr_dispatch_id 0
		.amdhsa_user_sgpr_flat_scratch_init 0
		.amdhsa_user_sgpr_kernarg_preload_length 0
		.amdhsa_user_sgpr_kernarg_preload_offset 0
		.amdhsa_user_sgpr_private_segment_size 0
		.amdhsa_uses_dynamic_stack 0
		.amdhsa_system_sgpr_private_segment_wavefront_offset 0
		.amdhsa_system_sgpr_workgroup_id_x 1
		.amdhsa_system_sgpr_workgroup_id_y 0
		.amdhsa_system_sgpr_workgroup_id_z 0
		.amdhsa_system_sgpr_workgroup_info 0
		.amdhsa_system_vgpr_workitem_id 0
		.amdhsa_next_free_vgpr 1
		.amdhsa_next_free_sgpr 0
		.amdhsa_accum_offset 4
		.amdhsa_reserve_vcc 0
		.amdhsa_reserve_flat_scratch 0
		.amdhsa_float_round_mode_32 0
		.amdhsa_float_round_mode_16_64 0
		.amdhsa_float_denorm_mode_32 3
		.amdhsa_float_denorm_mode_16_64 3
		.amdhsa_dx10_clamp 1
		.amdhsa_ieee_mode 1
		.amdhsa_fp16_overflow 0
		.amdhsa_tg_split 0
		.amdhsa_exception_fp_ieee_invalid_op 0
		.amdhsa_exception_fp_denorm_src 0
		.amdhsa_exception_fp_ieee_div_zero 0
		.amdhsa_exception_fp_ieee_overflow 0
		.amdhsa_exception_fp_ieee_underflow 0
		.amdhsa_exception_fp_ieee_inexact 0
		.amdhsa_exception_int_div_zero 0
	.end_amdhsa_kernel
	.section	.text._ZN7rocprim17ROCPRIM_400000_NS6detail17trampoline_kernelINS0_14default_configENS1_22reduce_config_selectorIiEEZNS1_11reduce_implILb1ES3_N6thrust23THRUST_200600_302600_NS11hip_rocprim26transform_input_iterator_tIiNS8_12zip_iteratorINS8_5tupleIPjPiNS8_9null_typeESF_SF_SF_SF_SF_SF_SF_EEEEN6dUtils22getValueFilteredByMaskIjiEEEESE_iNS8_7maximumIjEEEE10hipError_tPvRmT1_T2_T3_mT4_P12ihipStream_tbEUlT_E0_NS1_11comp_targetILNS1_3genE8ELNS1_11target_archE1030ELNS1_3gpuE2ELNS1_3repE0EEENS1_30default_config_static_selectorELNS0_4arch9wavefront6targetE1EEEvSR_,"axG",@progbits,_ZN7rocprim17ROCPRIM_400000_NS6detail17trampoline_kernelINS0_14default_configENS1_22reduce_config_selectorIiEEZNS1_11reduce_implILb1ES3_N6thrust23THRUST_200600_302600_NS11hip_rocprim26transform_input_iterator_tIiNS8_12zip_iteratorINS8_5tupleIPjPiNS8_9null_typeESF_SF_SF_SF_SF_SF_SF_EEEEN6dUtils22getValueFilteredByMaskIjiEEEESE_iNS8_7maximumIjEEEE10hipError_tPvRmT1_T2_T3_mT4_P12ihipStream_tbEUlT_E0_NS1_11comp_targetILNS1_3genE8ELNS1_11target_archE1030ELNS1_3gpuE2ELNS1_3repE0EEENS1_30default_config_static_selectorELNS0_4arch9wavefront6targetE1EEEvSR_,comdat
.Lfunc_end431:
	.size	_ZN7rocprim17ROCPRIM_400000_NS6detail17trampoline_kernelINS0_14default_configENS1_22reduce_config_selectorIiEEZNS1_11reduce_implILb1ES3_N6thrust23THRUST_200600_302600_NS11hip_rocprim26transform_input_iterator_tIiNS8_12zip_iteratorINS8_5tupleIPjPiNS8_9null_typeESF_SF_SF_SF_SF_SF_SF_EEEEN6dUtils22getValueFilteredByMaskIjiEEEESE_iNS8_7maximumIjEEEE10hipError_tPvRmT1_T2_T3_mT4_P12ihipStream_tbEUlT_E0_NS1_11comp_targetILNS1_3genE8ELNS1_11target_archE1030ELNS1_3gpuE2ELNS1_3repE0EEENS1_30default_config_static_selectorELNS0_4arch9wavefront6targetE1EEEvSR_, .Lfunc_end431-_ZN7rocprim17ROCPRIM_400000_NS6detail17trampoline_kernelINS0_14default_configENS1_22reduce_config_selectorIiEEZNS1_11reduce_implILb1ES3_N6thrust23THRUST_200600_302600_NS11hip_rocprim26transform_input_iterator_tIiNS8_12zip_iteratorINS8_5tupleIPjPiNS8_9null_typeESF_SF_SF_SF_SF_SF_SF_EEEEN6dUtils22getValueFilteredByMaskIjiEEEESE_iNS8_7maximumIjEEEE10hipError_tPvRmT1_T2_T3_mT4_P12ihipStream_tbEUlT_E0_NS1_11comp_targetILNS1_3genE8ELNS1_11target_archE1030ELNS1_3gpuE2ELNS1_3repE0EEENS1_30default_config_static_selectorELNS0_4arch9wavefront6targetE1EEEvSR_
                                        ; -- End function
	.section	.AMDGPU.csdata,"",@progbits
; Kernel info:
; codeLenInByte = 0
; NumSgprs: 4
; NumVgprs: 0
; NumAgprs: 0
; TotalNumVgprs: 0
; ScratchSize: 0
; MemoryBound: 0
; FloatMode: 240
; IeeeMode: 1
; LDSByteSize: 0 bytes/workgroup (compile time only)
; SGPRBlocks: 0
; VGPRBlocks: 0
; NumSGPRsForWavesPerEU: 4
; NumVGPRsForWavesPerEU: 1
; AccumOffset: 4
; Occupancy: 8
; WaveLimiterHint : 0
; COMPUTE_PGM_RSRC2:SCRATCH_EN: 0
; COMPUTE_PGM_RSRC2:USER_SGPR: 6
; COMPUTE_PGM_RSRC2:TRAP_HANDLER: 0
; COMPUTE_PGM_RSRC2:TGID_X_EN: 1
; COMPUTE_PGM_RSRC2:TGID_Y_EN: 0
; COMPUTE_PGM_RSRC2:TGID_Z_EN: 0
; COMPUTE_PGM_RSRC2:TIDIG_COMP_CNT: 0
; COMPUTE_PGM_RSRC3_GFX90A:ACCUM_OFFSET: 0
; COMPUTE_PGM_RSRC3_GFX90A:TG_SPLIT: 0
	.section	.text._ZN7rocprim17ROCPRIM_400000_NS6detail17trampoline_kernelINS0_14default_configENS1_22reduce_config_selectorIiEEZNS1_11reduce_implILb1ES3_N6thrust23THRUST_200600_302600_NS11hip_rocprim26transform_input_iterator_tIiNS8_12zip_iteratorINS8_5tupleIPjPiNS8_9null_typeESF_SF_SF_SF_SF_SF_SF_EEEEN6dUtils22getValueFilteredByMaskIjiEEEESE_iNS8_7maximumIjEEEE10hipError_tPvRmT1_T2_T3_mT4_P12ihipStream_tbEUlT_E1_NS1_11comp_targetILNS1_3genE0ELNS1_11target_archE4294967295ELNS1_3gpuE0ELNS1_3repE0EEENS1_30default_config_static_selectorELNS0_4arch9wavefront6targetE1EEEvSR_,"axG",@progbits,_ZN7rocprim17ROCPRIM_400000_NS6detail17trampoline_kernelINS0_14default_configENS1_22reduce_config_selectorIiEEZNS1_11reduce_implILb1ES3_N6thrust23THRUST_200600_302600_NS11hip_rocprim26transform_input_iterator_tIiNS8_12zip_iteratorINS8_5tupleIPjPiNS8_9null_typeESF_SF_SF_SF_SF_SF_SF_EEEEN6dUtils22getValueFilteredByMaskIjiEEEESE_iNS8_7maximumIjEEEE10hipError_tPvRmT1_T2_T3_mT4_P12ihipStream_tbEUlT_E1_NS1_11comp_targetILNS1_3genE0ELNS1_11target_archE4294967295ELNS1_3gpuE0ELNS1_3repE0EEENS1_30default_config_static_selectorELNS0_4arch9wavefront6targetE1EEEvSR_,comdat
	.protected	_ZN7rocprim17ROCPRIM_400000_NS6detail17trampoline_kernelINS0_14default_configENS1_22reduce_config_selectorIiEEZNS1_11reduce_implILb1ES3_N6thrust23THRUST_200600_302600_NS11hip_rocprim26transform_input_iterator_tIiNS8_12zip_iteratorINS8_5tupleIPjPiNS8_9null_typeESF_SF_SF_SF_SF_SF_SF_EEEEN6dUtils22getValueFilteredByMaskIjiEEEESE_iNS8_7maximumIjEEEE10hipError_tPvRmT1_T2_T3_mT4_P12ihipStream_tbEUlT_E1_NS1_11comp_targetILNS1_3genE0ELNS1_11target_archE4294967295ELNS1_3gpuE0ELNS1_3repE0EEENS1_30default_config_static_selectorELNS0_4arch9wavefront6targetE1EEEvSR_ ; -- Begin function _ZN7rocprim17ROCPRIM_400000_NS6detail17trampoline_kernelINS0_14default_configENS1_22reduce_config_selectorIiEEZNS1_11reduce_implILb1ES3_N6thrust23THRUST_200600_302600_NS11hip_rocprim26transform_input_iterator_tIiNS8_12zip_iteratorINS8_5tupleIPjPiNS8_9null_typeESF_SF_SF_SF_SF_SF_SF_EEEEN6dUtils22getValueFilteredByMaskIjiEEEESE_iNS8_7maximumIjEEEE10hipError_tPvRmT1_T2_T3_mT4_P12ihipStream_tbEUlT_E1_NS1_11comp_targetILNS1_3genE0ELNS1_11target_archE4294967295ELNS1_3gpuE0ELNS1_3repE0EEENS1_30default_config_static_selectorELNS0_4arch9wavefront6targetE1EEEvSR_
	.globl	_ZN7rocprim17ROCPRIM_400000_NS6detail17trampoline_kernelINS0_14default_configENS1_22reduce_config_selectorIiEEZNS1_11reduce_implILb1ES3_N6thrust23THRUST_200600_302600_NS11hip_rocprim26transform_input_iterator_tIiNS8_12zip_iteratorINS8_5tupleIPjPiNS8_9null_typeESF_SF_SF_SF_SF_SF_SF_EEEEN6dUtils22getValueFilteredByMaskIjiEEEESE_iNS8_7maximumIjEEEE10hipError_tPvRmT1_T2_T3_mT4_P12ihipStream_tbEUlT_E1_NS1_11comp_targetILNS1_3genE0ELNS1_11target_archE4294967295ELNS1_3gpuE0ELNS1_3repE0EEENS1_30default_config_static_selectorELNS0_4arch9wavefront6targetE1EEEvSR_
	.p2align	8
	.type	_ZN7rocprim17ROCPRIM_400000_NS6detail17trampoline_kernelINS0_14default_configENS1_22reduce_config_selectorIiEEZNS1_11reduce_implILb1ES3_N6thrust23THRUST_200600_302600_NS11hip_rocprim26transform_input_iterator_tIiNS8_12zip_iteratorINS8_5tupleIPjPiNS8_9null_typeESF_SF_SF_SF_SF_SF_SF_EEEEN6dUtils22getValueFilteredByMaskIjiEEEESE_iNS8_7maximumIjEEEE10hipError_tPvRmT1_T2_T3_mT4_P12ihipStream_tbEUlT_E1_NS1_11comp_targetILNS1_3genE0ELNS1_11target_archE4294967295ELNS1_3gpuE0ELNS1_3repE0EEENS1_30default_config_static_selectorELNS0_4arch9wavefront6targetE1EEEvSR_,@function
_ZN7rocprim17ROCPRIM_400000_NS6detail17trampoline_kernelINS0_14default_configENS1_22reduce_config_selectorIiEEZNS1_11reduce_implILb1ES3_N6thrust23THRUST_200600_302600_NS11hip_rocprim26transform_input_iterator_tIiNS8_12zip_iteratorINS8_5tupleIPjPiNS8_9null_typeESF_SF_SF_SF_SF_SF_SF_EEEEN6dUtils22getValueFilteredByMaskIjiEEEESE_iNS8_7maximumIjEEEE10hipError_tPvRmT1_T2_T3_mT4_P12ihipStream_tbEUlT_E1_NS1_11comp_targetILNS1_3genE0ELNS1_11target_archE4294967295ELNS1_3gpuE0ELNS1_3repE0EEENS1_30default_config_static_selectorELNS0_4arch9wavefront6targetE1EEEvSR_: ; @_ZN7rocprim17ROCPRIM_400000_NS6detail17trampoline_kernelINS0_14default_configENS1_22reduce_config_selectorIiEEZNS1_11reduce_implILb1ES3_N6thrust23THRUST_200600_302600_NS11hip_rocprim26transform_input_iterator_tIiNS8_12zip_iteratorINS8_5tupleIPjPiNS8_9null_typeESF_SF_SF_SF_SF_SF_SF_EEEEN6dUtils22getValueFilteredByMaskIjiEEEESE_iNS8_7maximumIjEEEE10hipError_tPvRmT1_T2_T3_mT4_P12ihipStream_tbEUlT_E1_NS1_11comp_targetILNS1_3genE0ELNS1_11target_archE4294967295ELNS1_3gpuE0ELNS1_3repE0EEENS1_30default_config_static_selectorELNS0_4arch9wavefront6targetE1EEEvSR_
; %bb.0:
	.section	.rodata,"a",@progbits
	.p2align	6, 0x0
	.amdhsa_kernel _ZN7rocprim17ROCPRIM_400000_NS6detail17trampoline_kernelINS0_14default_configENS1_22reduce_config_selectorIiEEZNS1_11reduce_implILb1ES3_N6thrust23THRUST_200600_302600_NS11hip_rocprim26transform_input_iterator_tIiNS8_12zip_iteratorINS8_5tupleIPjPiNS8_9null_typeESF_SF_SF_SF_SF_SF_SF_EEEEN6dUtils22getValueFilteredByMaskIjiEEEESE_iNS8_7maximumIjEEEE10hipError_tPvRmT1_T2_T3_mT4_P12ihipStream_tbEUlT_E1_NS1_11comp_targetILNS1_3genE0ELNS1_11target_archE4294967295ELNS1_3gpuE0ELNS1_3repE0EEENS1_30default_config_static_selectorELNS0_4arch9wavefront6targetE1EEEvSR_
		.amdhsa_group_segment_fixed_size 0
		.amdhsa_private_segment_fixed_size 0
		.amdhsa_kernarg_size 56
		.amdhsa_user_sgpr_count 6
		.amdhsa_user_sgpr_private_segment_buffer 1
		.amdhsa_user_sgpr_dispatch_ptr 0
		.amdhsa_user_sgpr_queue_ptr 0
		.amdhsa_user_sgpr_kernarg_segment_ptr 1
		.amdhsa_user_sgpr_dispatch_id 0
		.amdhsa_user_sgpr_flat_scratch_init 0
		.amdhsa_user_sgpr_kernarg_preload_length 0
		.amdhsa_user_sgpr_kernarg_preload_offset 0
		.amdhsa_user_sgpr_private_segment_size 0
		.amdhsa_uses_dynamic_stack 0
		.amdhsa_system_sgpr_private_segment_wavefront_offset 0
		.amdhsa_system_sgpr_workgroup_id_x 1
		.amdhsa_system_sgpr_workgroup_id_y 0
		.amdhsa_system_sgpr_workgroup_id_z 0
		.amdhsa_system_sgpr_workgroup_info 0
		.amdhsa_system_vgpr_workitem_id 0
		.amdhsa_next_free_vgpr 1
		.amdhsa_next_free_sgpr 0
		.amdhsa_accum_offset 4
		.amdhsa_reserve_vcc 0
		.amdhsa_reserve_flat_scratch 0
		.amdhsa_float_round_mode_32 0
		.amdhsa_float_round_mode_16_64 0
		.amdhsa_float_denorm_mode_32 3
		.amdhsa_float_denorm_mode_16_64 3
		.amdhsa_dx10_clamp 1
		.amdhsa_ieee_mode 1
		.amdhsa_fp16_overflow 0
		.amdhsa_tg_split 0
		.amdhsa_exception_fp_ieee_invalid_op 0
		.amdhsa_exception_fp_denorm_src 0
		.amdhsa_exception_fp_ieee_div_zero 0
		.amdhsa_exception_fp_ieee_overflow 0
		.amdhsa_exception_fp_ieee_underflow 0
		.amdhsa_exception_fp_ieee_inexact 0
		.amdhsa_exception_int_div_zero 0
	.end_amdhsa_kernel
	.section	.text._ZN7rocprim17ROCPRIM_400000_NS6detail17trampoline_kernelINS0_14default_configENS1_22reduce_config_selectorIiEEZNS1_11reduce_implILb1ES3_N6thrust23THRUST_200600_302600_NS11hip_rocprim26transform_input_iterator_tIiNS8_12zip_iteratorINS8_5tupleIPjPiNS8_9null_typeESF_SF_SF_SF_SF_SF_SF_EEEEN6dUtils22getValueFilteredByMaskIjiEEEESE_iNS8_7maximumIjEEEE10hipError_tPvRmT1_T2_T3_mT4_P12ihipStream_tbEUlT_E1_NS1_11comp_targetILNS1_3genE0ELNS1_11target_archE4294967295ELNS1_3gpuE0ELNS1_3repE0EEENS1_30default_config_static_selectorELNS0_4arch9wavefront6targetE1EEEvSR_,"axG",@progbits,_ZN7rocprim17ROCPRIM_400000_NS6detail17trampoline_kernelINS0_14default_configENS1_22reduce_config_selectorIiEEZNS1_11reduce_implILb1ES3_N6thrust23THRUST_200600_302600_NS11hip_rocprim26transform_input_iterator_tIiNS8_12zip_iteratorINS8_5tupleIPjPiNS8_9null_typeESF_SF_SF_SF_SF_SF_SF_EEEEN6dUtils22getValueFilteredByMaskIjiEEEESE_iNS8_7maximumIjEEEE10hipError_tPvRmT1_T2_T3_mT4_P12ihipStream_tbEUlT_E1_NS1_11comp_targetILNS1_3genE0ELNS1_11target_archE4294967295ELNS1_3gpuE0ELNS1_3repE0EEENS1_30default_config_static_selectorELNS0_4arch9wavefront6targetE1EEEvSR_,comdat
.Lfunc_end432:
	.size	_ZN7rocprim17ROCPRIM_400000_NS6detail17trampoline_kernelINS0_14default_configENS1_22reduce_config_selectorIiEEZNS1_11reduce_implILb1ES3_N6thrust23THRUST_200600_302600_NS11hip_rocprim26transform_input_iterator_tIiNS8_12zip_iteratorINS8_5tupleIPjPiNS8_9null_typeESF_SF_SF_SF_SF_SF_SF_EEEEN6dUtils22getValueFilteredByMaskIjiEEEESE_iNS8_7maximumIjEEEE10hipError_tPvRmT1_T2_T3_mT4_P12ihipStream_tbEUlT_E1_NS1_11comp_targetILNS1_3genE0ELNS1_11target_archE4294967295ELNS1_3gpuE0ELNS1_3repE0EEENS1_30default_config_static_selectorELNS0_4arch9wavefront6targetE1EEEvSR_, .Lfunc_end432-_ZN7rocprim17ROCPRIM_400000_NS6detail17trampoline_kernelINS0_14default_configENS1_22reduce_config_selectorIiEEZNS1_11reduce_implILb1ES3_N6thrust23THRUST_200600_302600_NS11hip_rocprim26transform_input_iterator_tIiNS8_12zip_iteratorINS8_5tupleIPjPiNS8_9null_typeESF_SF_SF_SF_SF_SF_SF_EEEEN6dUtils22getValueFilteredByMaskIjiEEEESE_iNS8_7maximumIjEEEE10hipError_tPvRmT1_T2_T3_mT4_P12ihipStream_tbEUlT_E1_NS1_11comp_targetILNS1_3genE0ELNS1_11target_archE4294967295ELNS1_3gpuE0ELNS1_3repE0EEENS1_30default_config_static_selectorELNS0_4arch9wavefront6targetE1EEEvSR_
                                        ; -- End function
	.section	.AMDGPU.csdata,"",@progbits
; Kernel info:
; codeLenInByte = 0
; NumSgprs: 4
; NumVgprs: 0
; NumAgprs: 0
; TotalNumVgprs: 0
; ScratchSize: 0
; MemoryBound: 0
; FloatMode: 240
; IeeeMode: 1
; LDSByteSize: 0 bytes/workgroup (compile time only)
; SGPRBlocks: 0
; VGPRBlocks: 0
; NumSGPRsForWavesPerEU: 4
; NumVGPRsForWavesPerEU: 1
; AccumOffset: 4
; Occupancy: 8
; WaveLimiterHint : 0
; COMPUTE_PGM_RSRC2:SCRATCH_EN: 0
; COMPUTE_PGM_RSRC2:USER_SGPR: 6
; COMPUTE_PGM_RSRC2:TRAP_HANDLER: 0
; COMPUTE_PGM_RSRC2:TGID_X_EN: 1
; COMPUTE_PGM_RSRC2:TGID_Y_EN: 0
; COMPUTE_PGM_RSRC2:TGID_Z_EN: 0
; COMPUTE_PGM_RSRC2:TIDIG_COMP_CNT: 0
; COMPUTE_PGM_RSRC3_GFX90A:ACCUM_OFFSET: 0
; COMPUTE_PGM_RSRC3_GFX90A:TG_SPLIT: 0
	.section	.text._ZN7rocprim17ROCPRIM_400000_NS6detail17trampoline_kernelINS0_14default_configENS1_22reduce_config_selectorIiEEZNS1_11reduce_implILb1ES3_N6thrust23THRUST_200600_302600_NS11hip_rocprim26transform_input_iterator_tIiNS8_12zip_iteratorINS8_5tupleIPjPiNS8_9null_typeESF_SF_SF_SF_SF_SF_SF_EEEEN6dUtils22getValueFilteredByMaskIjiEEEESE_iNS8_7maximumIjEEEE10hipError_tPvRmT1_T2_T3_mT4_P12ihipStream_tbEUlT_E1_NS1_11comp_targetILNS1_3genE5ELNS1_11target_archE942ELNS1_3gpuE9ELNS1_3repE0EEENS1_30default_config_static_selectorELNS0_4arch9wavefront6targetE1EEEvSR_,"axG",@progbits,_ZN7rocprim17ROCPRIM_400000_NS6detail17trampoline_kernelINS0_14default_configENS1_22reduce_config_selectorIiEEZNS1_11reduce_implILb1ES3_N6thrust23THRUST_200600_302600_NS11hip_rocprim26transform_input_iterator_tIiNS8_12zip_iteratorINS8_5tupleIPjPiNS8_9null_typeESF_SF_SF_SF_SF_SF_SF_EEEEN6dUtils22getValueFilteredByMaskIjiEEEESE_iNS8_7maximumIjEEEE10hipError_tPvRmT1_T2_T3_mT4_P12ihipStream_tbEUlT_E1_NS1_11comp_targetILNS1_3genE5ELNS1_11target_archE942ELNS1_3gpuE9ELNS1_3repE0EEENS1_30default_config_static_selectorELNS0_4arch9wavefront6targetE1EEEvSR_,comdat
	.protected	_ZN7rocprim17ROCPRIM_400000_NS6detail17trampoline_kernelINS0_14default_configENS1_22reduce_config_selectorIiEEZNS1_11reduce_implILb1ES3_N6thrust23THRUST_200600_302600_NS11hip_rocprim26transform_input_iterator_tIiNS8_12zip_iteratorINS8_5tupleIPjPiNS8_9null_typeESF_SF_SF_SF_SF_SF_SF_EEEEN6dUtils22getValueFilteredByMaskIjiEEEESE_iNS8_7maximumIjEEEE10hipError_tPvRmT1_T2_T3_mT4_P12ihipStream_tbEUlT_E1_NS1_11comp_targetILNS1_3genE5ELNS1_11target_archE942ELNS1_3gpuE9ELNS1_3repE0EEENS1_30default_config_static_selectorELNS0_4arch9wavefront6targetE1EEEvSR_ ; -- Begin function _ZN7rocprim17ROCPRIM_400000_NS6detail17trampoline_kernelINS0_14default_configENS1_22reduce_config_selectorIiEEZNS1_11reduce_implILb1ES3_N6thrust23THRUST_200600_302600_NS11hip_rocprim26transform_input_iterator_tIiNS8_12zip_iteratorINS8_5tupleIPjPiNS8_9null_typeESF_SF_SF_SF_SF_SF_SF_EEEEN6dUtils22getValueFilteredByMaskIjiEEEESE_iNS8_7maximumIjEEEE10hipError_tPvRmT1_T2_T3_mT4_P12ihipStream_tbEUlT_E1_NS1_11comp_targetILNS1_3genE5ELNS1_11target_archE942ELNS1_3gpuE9ELNS1_3repE0EEENS1_30default_config_static_selectorELNS0_4arch9wavefront6targetE1EEEvSR_
	.globl	_ZN7rocprim17ROCPRIM_400000_NS6detail17trampoline_kernelINS0_14default_configENS1_22reduce_config_selectorIiEEZNS1_11reduce_implILb1ES3_N6thrust23THRUST_200600_302600_NS11hip_rocprim26transform_input_iterator_tIiNS8_12zip_iteratorINS8_5tupleIPjPiNS8_9null_typeESF_SF_SF_SF_SF_SF_SF_EEEEN6dUtils22getValueFilteredByMaskIjiEEEESE_iNS8_7maximumIjEEEE10hipError_tPvRmT1_T2_T3_mT4_P12ihipStream_tbEUlT_E1_NS1_11comp_targetILNS1_3genE5ELNS1_11target_archE942ELNS1_3gpuE9ELNS1_3repE0EEENS1_30default_config_static_selectorELNS0_4arch9wavefront6targetE1EEEvSR_
	.p2align	8
	.type	_ZN7rocprim17ROCPRIM_400000_NS6detail17trampoline_kernelINS0_14default_configENS1_22reduce_config_selectorIiEEZNS1_11reduce_implILb1ES3_N6thrust23THRUST_200600_302600_NS11hip_rocprim26transform_input_iterator_tIiNS8_12zip_iteratorINS8_5tupleIPjPiNS8_9null_typeESF_SF_SF_SF_SF_SF_SF_EEEEN6dUtils22getValueFilteredByMaskIjiEEEESE_iNS8_7maximumIjEEEE10hipError_tPvRmT1_T2_T3_mT4_P12ihipStream_tbEUlT_E1_NS1_11comp_targetILNS1_3genE5ELNS1_11target_archE942ELNS1_3gpuE9ELNS1_3repE0EEENS1_30default_config_static_selectorELNS0_4arch9wavefront6targetE1EEEvSR_,@function
_ZN7rocprim17ROCPRIM_400000_NS6detail17trampoline_kernelINS0_14default_configENS1_22reduce_config_selectorIiEEZNS1_11reduce_implILb1ES3_N6thrust23THRUST_200600_302600_NS11hip_rocprim26transform_input_iterator_tIiNS8_12zip_iteratorINS8_5tupleIPjPiNS8_9null_typeESF_SF_SF_SF_SF_SF_SF_EEEEN6dUtils22getValueFilteredByMaskIjiEEEESE_iNS8_7maximumIjEEEE10hipError_tPvRmT1_T2_T3_mT4_P12ihipStream_tbEUlT_E1_NS1_11comp_targetILNS1_3genE5ELNS1_11target_archE942ELNS1_3gpuE9ELNS1_3repE0EEENS1_30default_config_static_selectorELNS0_4arch9wavefront6targetE1EEEvSR_: ; @_ZN7rocprim17ROCPRIM_400000_NS6detail17trampoline_kernelINS0_14default_configENS1_22reduce_config_selectorIiEEZNS1_11reduce_implILb1ES3_N6thrust23THRUST_200600_302600_NS11hip_rocprim26transform_input_iterator_tIiNS8_12zip_iteratorINS8_5tupleIPjPiNS8_9null_typeESF_SF_SF_SF_SF_SF_SF_EEEEN6dUtils22getValueFilteredByMaskIjiEEEESE_iNS8_7maximumIjEEEE10hipError_tPvRmT1_T2_T3_mT4_P12ihipStream_tbEUlT_E1_NS1_11comp_targetILNS1_3genE5ELNS1_11target_archE942ELNS1_3gpuE9ELNS1_3repE0EEENS1_30default_config_static_selectorELNS0_4arch9wavefront6targetE1EEEvSR_
; %bb.0:
	.section	.rodata,"a",@progbits
	.p2align	6, 0x0
	.amdhsa_kernel _ZN7rocprim17ROCPRIM_400000_NS6detail17trampoline_kernelINS0_14default_configENS1_22reduce_config_selectorIiEEZNS1_11reduce_implILb1ES3_N6thrust23THRUST_200600_302600_NS11hip_rocprim26transform_input_iterator_tIiNS8_12zip_iteratorINS8_5tupleIPjPiNS8_9null_typeESF_SF_SF_SF_SF_SF_SF_EEEEN6dUtils22getValueFilteredByMaskIjiEEEESE_iNS8_7maximumIjEEEE10hipError_tPvRmT1_T2_T3_mT4_P12ihipStream_tbEUlT_E1_NS1_11comp_targetILNS1_3genE5ELNS1_11target_archE942ELNS1_3gpuE9ELNS1_3repE0EEENS1_30default_config_static_selectorELNS0_4arch9wavefront6targetE1EEEvSR_
		.amdhsa_group_segment_fixed_size 0
		.amdhsa_private_segment_fixed_size 0
		.amdhsa_kernarg_size 56
		.amdhsa_user_sgpr_count 6
		.amdhsa_user_sgpr_private_segment_buffer 1
		.amdhsa_user_sgpr_dispatch_ptr 0
		.amdhsa_user_sgpr_queue_ptr 0
		.amdhsa_user_sgpr_kernarg_segment_ptr 1
		.amdhsa_user_sgpr_dispatch_id 0
		.amdhsa_user_sgpr_flat_scratch_init 0
		.amdhsa_user_sgpr_kernarg_preload_length 0
		.amdhsa_user_sgpr_kernarg_preload_offset 0
		.amdhsa_user_sgpr_private_segment_size 0
		.amdhsa_uses_dynamic_stack 0
		.amdhsa_system_sgpr_private_segment_wavefront_offset 0
		.amdhsa_system_sgpr_workgroup_id_x 1
		.amdhsa_system_sgpr_workgroup_id_y 0
		.amdhsa_system_sgpr_workgroup_id_z 0
		.amdhsa_system_sgpr_workgroup_info 0
		.amdhsa_system_vgpr_workitem_id 0
		.amdhsa_next_free_vgpr 1
		.amdhsa_next_free_sgpr 0
		.amdhsa_accum_offset 4
		.amdhsa_reserve_vcc 0
		.amdhsa_reserve_flat_scratch 0
		.amdhsa_float_round_mode_32 0
		.amdhsa_float_round_mode_16_64 0
		.amdhsa_float_denorm_mode_32 3
		.amdhsa_float_denorm_mode_16_64 3
		.amdhsa_dx10_clamp 1
		.amdhsa_ieee_mode 1
		.amdhsa_fp16_overflow 0
		.amdhsa_tg_split 0
		.amdhsa_exception_fp_ieee_invalid_op 0
		.amdhsa_exception_fp_denorm_src 0
		.amdhsa_exception_fp_ieee_div_zero 0
		.amdhsa_exception_fp_ieee_overflow 0
		.amdhsa_exception_fp_ieee_underflow 0
		.amdhsa_exception_fp_ieee_inexact 0
		.amdhsa_exception_int_div_zero 0
	.end_amdhsa_kernel
	.section	.text._ZN7rocprim17ROCPRIM_400000_NS6detail17trampoline_kernelINS0_14default_configENS1_22reduce_config_selectorIiEEZNS1_11reduce_implILb1ES3_N6thrust23THRUST_200600_302600_NS11hip_rocprim26transform_input_iterator_tIiNS8_12zip_iteratorINS8_5tupleIPjPiNS8_9null_typeESF_SF_SF_SF_SF_SF_SF_EEEEN6dUtils22getValueFilteredByMaskIjiEEEESE_iNS8_7maximumIjEEEE10hipError_tPvRmT1_T2_T3_mT4_P12ihipStream_tbEUlT_E1_NS1_11comp_targetILNS1_3genE5ELNS1_11target_archE942ELNS1_3gpuE9ELNS1_3repE0EEENS1_30default_config_static_selectorELNS0_4arch9wavefront6targetE1EEEvSR_,"axG",@progbits,_ZN7rocprim17ROCPRIM_400000_NS6detail17trampoline_kernelINS0_14default_configENS1_22reduce_config_selectorIiEEZNS1_11reduce_implILb1ES3_N6thrust23THRUST_200600_302600_NS11hip_rocprim26transform_input_iterator_tIiNS8_12zip_iteratorINS8_5tupleIPjPiNS8_9null_typeESF_SF_SF_SF_SF_SF_SF_EEEEN6dUtils22getValueFilteredByMaskIjiEEEESE_iNS8_7maximumIjEEEE10hipError_tPvRmT1_T2_T3_mT4_P12ihipStream_tbEUlT_E1_NS1_11comp_targetILNS1_3genE5ELNS1_11target_archE942ELNS1_3gpuE9ELNS1_3repE0EEENS1_30default_config_static_selectorELNS0_4arch9wavefront6targetE1EEEvSR_,comdat
.Lfunc_end433:
	.size	_ZN7rocprim17ROCPRIM_400000_NS6detail17trampoline_kernelINS0_14default_configENS1_22reduce_config_selectorIiEEZNS1_11reduce_implILb1ES3_N6thrust23THRUST_200600_302600_NS11hip_rocprim26transform_input_iterator_tIiNS8_12zip_iteratorINS8_5tupleIPjPiNS8_9null_typeESF_SF_SF_SF_SF_SF_SF_EEEEN6dUtils22getValueFilteredByMaskIjiEEEESE_iNS8_7maximumIjEEEE10hipError_tPvRmT1_T2_T3_mT4_P12ihipStream_tbEUlT_E1_NS1_11comp_targetILNS1_3genE5ELNS1_11target_archE942ELNS1_3gpuE9ELNS1_3repE0EEENS1_30default_config_static_selectorELNS0_4arch9wavefront6targetE1EEEvSR_, .Lfunc_end433-_ZN7rocprim17ROCPRIM_400000_NS6detail17trampoline_kernelINS0_14default_configENS1_22reduce_config_selectorIiEEZNS1_11reduce_implILb1ES3_N6thrust23THRUST_200600_302600_NS11hip_rocprim26transform_input_iterator_tIiNS8_12zip_iteratorINS8_5tupleIPjPiNS8_9null_typeESF_SF_SF_SF_SF_SF_SF_EEEEN6dUtils22getValueFilteredByMaskIjiEEEESE_iNS8_7maximumIjEEEE10hipError_tPvRmT1_T2_T3_mT4_P12ihipStream_tbEUlT_E1_NS1_11comp_targetILNS1_3genE5ELNS1_11target_archE942ELNS1_3gpuE9ELNS1_3repE0EEENS1_30default_config_static_selectorELNS0_4arch9wavefront6targetE1EEEvSR_
                                        ; -- End function
	.section	.AMDGPU.csdata,"",@progbits
; Kernel info:
; codeLenInByte = 0
; NumSgprs: 4
; NumVgprs: 0
; NumAgprs: 0
; TotalNumVgprs: 0
; ScratchSize: 0
; MemoryBound: 0
; FloatMode: 240
; IeeeMode: 1
; LDSByteSize: 0 bytes/workgroup (compile time only)
; SGPRBlocks: 0
; VGPRBlocks: 0
; NumSGPRsForWavesPerEU: 4
; NumVGPRsForWavesPerEU: 1
; AccumOffset: 4
; Occupancy: 8
; WaveLimiterHint : 0
; COMPUTE_PGM_RSRC2:SCRATCH_EN: 0
; COMPUTE_PGM_RSRC2:USER_SGPR: 6
; COMPUTE_PGM_RSRC2:TRAP_HANDLER: 0
; COMPUTE_PGM_RSRC2:TGID_X_EN: 1
; COMPUTE_PGM_RSRC2:TGID_Y_EN: 0
; COMPUTE_PGM_RSRC2:TGID_Z_EN: 0
; COMPUTE_PGM_RSRC2:TIDIG_COMP_CNT: 0
; COMPUTE_PGM_RSRC3_GFX90A:ACCUM_OFFSET: 0
; COMPUTE_PGM_RSRC3_GFX90A:TG_SPLIT: 0
	.section	.text._ZN7rocprim17ROCPRIM_400000_NS6detail17trampoline_kernelINS0_14default_configENS1_22reduce_config_selectorIiEEZNS1_11reduce_implILb1ES3_N6thrust23THRUST_200600_302600_NS11hip_rocprim26transform_input_iterator_tIiNS8_12zip_iteratorINS8_5tupleIPjPiNS8_9null_typeESF_SF_SF_SF_SF_SF_SF_EEEEN6dUtils22getValueFilteredByMaskIjiEEEESE_iNS8_7maximumIjEEEE10hipError_tPvRmT1_T2_T3_mT4_P12ihipStream_tbEUlT_E1_NS1_11comp_targetILNS1_3genE4ELNS1_11target_archE910ELNS1_3gpuE8ELNS1_3repE0EEENS1_30default_config_static_selectorELNS0_4arch9wavefront6targetE1EEEvSR_,"axG",@progbits,_ZN7rocprim17ROCPRIM_400000_NS6detail17trampoline_kernelINS0_14default_configENS1_22reduce_config_selectorIiEEZNS1_11reduce_implILb1ES3_N6thrust23THRUST_200600_302600_NS11hip_rocprim26transform_input_iterator_tIiNS8_12zip_iteratorINS8_5tupleIPjPiNS8_9null_typeESF_SF_SF_SF_SF_SF_SF_EEEEN6dUtils22getValueFilteredByMaskIjiEEEESE_iNS8_7maximumIjEEEE10hipError_tPvRmT1_T2_T3_mT4_P12ihipStream_tbEUlT_E1_NS1_11comp_targetILNS1_3genE4ELNS1_11target_archE910ELNS1_3gpuE8ELNS1_3repE0EEENS1_30default_config_static_selectorELNS0_4arch9wavefront6targetE1EEEvSR_,comdat
	.protected	_ZN7rocprim17ROCPRIM_400000_NS6detail17trampoline_kernelINS0_14default_configENS1_22reduce_config_selectorIiEEZNS1_11reduce_implILb1ES3_N6thrust23THRUST_200600_302600_NS11hip_rocprim26transform_input_iterator_tIiNS8_12zip_iteratorINS8_5tupleIPjPiNS8_9null_typeESF_SF_SF_SF_SF_SF_SF_EEEEN6dUtils22getValueFilteredByMaskIjiEEEESE_iNS8_7maximumIjEEEE10hipError_tPvRmT1_T2_T3_mT4_P12ihipStream_tbEUlT_E1_NS1_11comp_targetILNS1_3genE4ELNS1_11target_archE910ELNS1_3gpuE8ELNS1_3repE0EEENS1_30default_config_static_selectorELNS0_4arch9wavefront6targetE1EEEvSR_ ; -- Begin function _ZN7rocprim17ROCPRIM_400000_NS6detail17trampoline_kernelINS0_14default_configENS1_22reduce_config_selectorIiEEZNS1_11reduce_implILb1ES3_N6thrust23THRUST_200600_302600_NS11hip_rocprim26transform_input_iterator_tIiNS8_12zip_iteratorINS8_5tupleIPjPiNS8_9null_typeESF_SF_SF_SF_SF_SF_SF_EEEEN6dUtils22getValueFilteredByMaskIjiEEEESE_iNS8_7maximumIjEEEE10hipError_tPvRmT1_T2_T3_mT4_P12ihipStream_tbEUlT_E1_NS1_11comp_targetILNS1_3genE4ELNS1_11target_archE910ELNS1_3gpuE8ELNS1_3repE0EEENS1_30default_config_static_selectorELNS0_4arch9wavefront6targetE1EEEvSR_
	.globl	_ZN7rocprim17ROCPRIM_400000_NS6detail17trampoline_kernelINS0_14default_configENS1_22reduce_config_selectorIiEEZNS1_11reduce_implILb1ES3_N6thrust23THRUST_200600_302600_NS11hip_rocprim26transform_input_iterator_tIiNS8_12zip_iteratorINS8_5tupleIPjPiNS8_9null_typeESF_SF_SF_SF_SF_SF_SF_EEEEN6dUtils22getValueFilteredByMaskIjiEEEESE_iNS8_7maximumIjEEEE10hipError_tPvRmT1_T2_T3_mT4_P12ihipStream_tbEUlT_E1_NS1_11comp_targetILNS1_3genE4ELNS1_11target_archE910ELNS1_3gpuE8ELNS1_3repE0EEENS1_30default_config_static_selectorELNS0_4arch9wavefront6targetE1EEEvSR_
	.p2align	8
	.type	_ZN7rocprim17ROCPRIM_400000_NS6detail17trampoline_kernelINS0_14default_configENS1_22reduce_config_selectorIiEEZNS1_11reduce_implILb1ES3_N6thrust23THRUST_200600_302600_NS11hip_rocprim26transform_input_iterator_tIiNS8_12zip_iteratorINS8_5tupleIPjPiNS8_9null_typeESF_SF_SF_SF_SF_SF_SF_EEEEN6dUtils22getValueFilteredByMaskIjiEEEESE_iNS8_7maximumIjEEEE10hipError_tPvRmT1_T2_T3_mT4_P12ihipStream_tbEUlT_E1_NS1_11comp_targetILNS1_3genE4ELNS1_11target_archE910ELNS1_3gpuE8ELNS1_3repE0EEENS1_30default_config_static_selectorELNS0_4arch9wavefront6targetE1EEEvSR_,@function
_ZN7rocprim17ROCPRIM_400000_NS6detail17trampoline_kernelINS0_14default_configENS1_22reduce_config_selectorIiEEZNS1_11reduce_implILb1ES3_N6thrust23THRUST_200600_302600_NS11hip_rocprim26transform_input_iterator_tIiNS8_12zip_iteratorINS8_5tupleIPjPiNS8_9null_typeESF_SF_SF_SF_SF_SF_SF_EEEEN6dUtils22getValueFilteredByMaskIjiEEEESE_iNS8_7maximumIjEEEE10hipError_tPvRmT1_T2_T3_mT4_P12ihipStream_tbEUlT_E1_NS1_11comp_targetILNS1_3genE4ELNS1_11target_archE910ELNS1_3gpuE8ELNS1_3repE0EEENS1_30default_config_static_selectorELNS0_4arch9wavefront6targetE1EEEvSR_: ; @_ZN7rocprim17ROCPRIM_400000_NS6detail17trampoline_kernelINS0_14default_configENS1_22reduce_config_selectorIiEEZNS1_11reduce_implILb1ES3_N6thrust23THRUST_200600_302600_NS11hip_rocprim26transform_input_iterator_tIiNS8_12zip_iteratorINS8_5tupleIPjPiNS8_9null_typeESF_SF_SF_SF_SF_SF_SF_EEEEN6dUtils22getValueFilteredByMaskIjiEEEESE_iNS8_7maximumIjEEEE10hipError_tPvRmT1_T2_T3_mT4_P12ihipStream_tbEUlT_E1_NS1_11comp_targetILNS1_3genE4ELNS1_11target_archE910ELNS1_3gpuE8ELNS1_3repE0EEENS1_30default_config_static_selectorELNS0_4arch9wavefront6targetE1EEEvSR_
; %bb.0:
	s_load_dword s82, s[4:5], 0x4
	s_load_dwordx4 s[72:75], s[4:5], 0x8
	s_load_dword s33, s[4:5], 0x18
	s_load_dwordx4 s[68:71], s[4:5], 0x20
	s_waitcnt lgkmcnt(0)
	s_cmp_lt_i32 s82, 8
	s_cbranch_scc1 .LBB434_11
; %bb.1:
	s_cmp_gt_i32 s82, 15
	s_cbranch_scc0 .LBB434_12
; %bb.2:
	s_cmp_gt_i32 s82, 31
	s_cbranch_scc0 .LBB434_13
; %bb.3:
	s_cmp_eq_u32 s82, 32
	s_mov_b64 s[76:77], 0
	s_cbranch_scc0 .LBB434_14
; %bb.4:
	s_mov_b32 s7, 0
	s_lshl_b32 s12, s6, 12
	s_mov_b32 s13, s7
	s_lshr_b64 s[0:1], s[68:69], 12
	s_lshl_b64 s[2:3], s[12:13], 2
	s_add_u32 s66, s72, s2
	s_addc_u32 s67, s73, s3
	s_add_u32 s78, s74, s2
	s_addc_u32 s79, s75, s3
	s_cmp_lg_u64 s[0:1], s[6:7]
	s_cbranch_scc0 .LBB434_23
; %bb.5:
	v_lshlrev_b32_e32 v1, 2, v0
	global_load_dword v10, v1, s[78:79] offset:512
	global_load_dword v11, v1, s[78:79] offset:1024
	;; [unrolled: 1-line block ×4, first 2 shown]
	v_mov_b32_e32 v2, s67
	v_add_co_u32_e32 v14, vcc, s66, v1
	v_addc_co_u32_e32 v15, vcc, 0, v2, vcc
	v_mov_b32_e32 v3, s79
	v_add_co_u32_e32 v16, vcc, s78, v1
	s_movk_i32 s0, 0x1000
	v_addc_co_u32_e32 v17, vcc, 0, v3, vcc
	v_add_co_u32_e32 v2, vcc, s0, v14
	s_movk_i32 s1, 0x2000
	v_addc_co_u32_e32 v3, vcc, 0, v15, vcc
	v_add_co_u32_e32 v4, vcc, s1, v14
	v_addc_co_u32_e32 v5, vcc, 0, v15, vcc
	v_add_co_u32_e32 v6, vcc, s0, v16
	v_addc_co_u32_e32 v7, vcc, 0, v17, vcc
	s_movk_i32 s13, 0x3000
	v_add_co_u32_e32 v8, vcc, s1, v16
	global_load_dword v18, v1, s[66:67] offset:512
	global_load_dword v19, v1, s[66:67] offset:1024
	;; [unrolled: 1-line block ×10, first 2 shown]
	v_addc_co_u32_e32 v9, vcc, 0, v17, vcc
	global_load_dword v28, v[2:3], off offset:512
	global_load_dword v29, v[2:3], off offset:1024
	;; [unrolled: 1-line block ×14, first 2 shown]
	global_load_dword v42, v[4:5], off offset:-4096
                                        ; kill: killed $vgpr6 killed $vgpr7
                                        ; kill: killed $vgpr2 killed $vgpr3
	s_nop 0
	global_load_dword v6, v[4:5], off
	global_load_dword v7, v[4:5], off offset:512
	global_load_dword v43, v[4:5], off offset:1024
	;; [unrolled: 1-line block ×6, first 2 shown]
	global_load_dword v48, v[8:9], off offset:-4096
	global_load_dword v49, v[8:9], off
	global_load_dword v50, v[8:9], off offset:512
	global_load_dword v51, v[8:9], off offset:1024
	;; [unrolled: 1-line block ×8, first 2 shown]
	v_add_co_u32_e64 v2, s[10:11], s13, v14
	v_addc_co_u32_e64 v3, s[10:11], 0, v15, s[10:11]
	v_add_co_u32_e64 v4, s[10:11], s13, v16
	v_addc_co_u32_e64 v5, s[10:11], 0, v17, s[10:11]
	s_waitcnt vmcnt(45)
	v_cmp_eq_u32_e32 vcc, s33, v10
	s_waitcnt vmcnt(44)
	v_cmp_eq_u32_e64 s[0:1], s33, v11
	s_waitcnt vmcnt(43)
	v_cmp_eq_u32_e64 s[2:3], s33, v12
	;; [unrolled: 2-line block ×3, first 2 shown]
	global_load_dword v8, v[2:3], off
	global_load_dword v9, v[2:3], off offset:512
	global_load_dword v10, v[2:3], off offset:1024
	;; [unrolled: 1-line block ×7, first 2 shown]
	global_load_dword v16, v[4:5], off
	global_load_dword v17, v[4:5], off offset:512
	global_load_dword v58, v[4:5], off offset:1024
	;; [unrolled: 1-line block ×6, first 2 shown]
                                        ; kill: killed $vgpr2 killed $vgpr3
	global_load_dword v2, v[4:5], off offset:3584
	global_load_dword v3, v1, s[78:79]
	global_load_dword v63, v1, s[66:67]
	s_waitcnt vmcnt(58)
	v_cndmask_b32_e64 v4, 0, v19, s[0:1]
	s_waitcnt vmcnt(57)
	v_cndmask_b32_e64 v5, 0, v20, s[2:3]
	s_waitcnt vmcnt(1)
	v_cmp_eq_u32_e64 s[10:11], s33, v3
	v_cndmask_b32_e32 v3, 0, v18, vcc
	v_cmp_eq_u32_e32 vcc, s33, v25
	v_cndmask_b32_e32 v19, 0, v22, vcc
	v_cmp_eq_u32_e32 vcc, s33, v26
	v_cndmask_b32_e32 v20, 0, v23, vcc
	v_cmp_eq_u32_e32 vcc, s33, v27
	v_cndmask_b32_e64 v18, 0, v21, s[8:9]
	v_cndmask_b32_e32 v21, 0, v24, vcc
	v_cmp_eq_u32_e32 vcc, s33, v48
	v_cndmask_b32_e32 v22, 0, v42, vcc
	v_cmp_eq_u32_e32 vcc, s33, v35
	;; [unrolled: 2-line block ×9, first 2 shown]
	s_waitcnt vmcnt(0)
	v_cndmask_b32_e64 v1, 0, v63, s[10:11]
	v_cndmask_b32_e32 v6, 0, v6, vcc
	v_cmp_eq_u32_e32 vcc, s33, v50
	v_cndmask_b32_e32 v7, 0, v7, vcc
	v_cmp_eq_u32_e32 vcc, s33, v51
	v_max_u32_e32 v1, v1, v3
	v_cndmask_b32_e32 v30, 0, v43, vcc
	v_cmp_eq_u32_e32 vcc, s33, v52
	v_max3_u32 v1, v1, v4, v5
	v_cndmask_b32_e32 v31, 0, v44, vcc
	v_cmp_eq_u32_e32 vcc, s33, v53
	v_max3_u32 v1, v1, v18, v19
	;; [unrolled: 3-line block ×13, first 2 shown]
	v_cndmask_b32_e32 v2, 0, v15, vcc
	v_max3_u32 v1, v1, v12, v13
	v_max3_u32 v1, v1, v14, v2
	v_mbcnt_lo_u32_b32 v2, -1, 0
	v_mbcnt_hi_u32_b32 v2, -1, v2
	v_max_u32_dpp v1, v1, v1 quad_perm:[1,0,3,2] row_mask:0xf bank_mask:0xf bound_ctrl:1
	v_lshlrev_b32_e32 v3, 2, v2
	v_or_b32_e32 v4, 0xfc, v3
	v_max_u32_dpp v1, v1, v1 quad_perm:[2,3,0,1] row_mask:0xf bank_mask:0xf bound_ctrl:1
	v_cmp_eq_u32_e32 vcc, 0, v2
	s_nop 0
	v_max_u32_dpp v1, v1, v1 row_ror:4 row_mask:0xf bank_mask:0xf bound_ctrl:1
	s_nop 1
	v_max_u32_dpp v1, v1, v1 row_ror:8 row_mask:0xf bank_mask:0xf bound_ctrl:1
	s_nop 1
	v_max_u32_dpp v1, v1, v1 row_bcast:15 row_mask:0xf bank_mask:0xf bound_ctrl:1
	s_nop 1
	v_max_u32_dpp v1, v1, v1 row_bcast:31 row_mask:0xf bank_mask:0xf bound_ctrl:1
	ds_bpermute_b32 v1, v4, v1
	s_and_saveexec_b64 s[0:1], vcc
	s_cbranch_execz .LBB434_7
; %bb.6:
	v_lshrrev_b32_e32 v4, 4, v0
	v_and_b32_e32 v4, 4, v4
	s_waitcnt lgkmcnt(0)
	ds_write_b32 v4, v1 offset:24
.LBB434_7:
	s_or_b64 exec, exec, s[0:1]
	v_cmp_gt_u32_e32 vcc, 64, v0
	s_waitcnt lgkmcnt(0)
	s_barrier
	s_and_saveexec_b64 s[0:1], vcc
	s_cbranch_execz .LBB434_9
; %bb.8:
	v_and_b32_e32 v1, 1, v2
	v_lshlrev_b32_e32 v1, 2, v1
	ds_read_b32 v1, v1 offset:24
	v_or_b32_e32 v2, 4, v3
	s_waitcnt lgkmcnt(0)
	ds_bpermute_b32 v2, v2, v1
	s_waitcnt lgkmcnt(0)
	v_max_u32_e32 v1, v1, v2
.LBB434_9:
	s_or_b64 exec, exec, s[0:1]
.LBB434_10:
	v_cmp_eq_u32_e64 s[0:1], 0, v0
	s_and_b64 vcc, exec, s[76:77]
	s_cbranch_vccnz .LBB434_15
	s_branch .LBB434_93
.LBB434_11:
	s_mov_b64 s[0:1], 0
                                        ; implicit-def: $vgpr1
	s_cbranch_execnz .LBB434_166
	s_branch .LBB434_224
.LBB434_12:
	s_mov_b64 s[0:1], 0
                                        ; implicit-def: $vgpr1
	s_cbranch_execnz .LBB434_134
	s_branch .LBB434_142
.LBB434_13:
	s_mov_b64 s[76:77], -1
.LBB434_14:
	s_mov_b64 s[0:1], 0
                                        ; implicit-def: $vgpr1
	s_and_b64 vcc, exec, s[76:77]
	s_cbranch_vccz .LBB434_93
.LBB434_15:
	s_cmp_eq_u32 s82, 16
	s_cbranch_scc0 .LBB434_22
; %bb.16:
	s_mov_b32 s7, 0
	s_lshl_b32 s0, s6, 11
	s_mov_b32 s1, s7
	s_lshr_b64 s[2:3], s[68:69], 11
	s_lshl_b64 s[8:9], s[0:1], 2
	s_add_u32 s34, s72, s8
	s_addc_u32 s35, s73, s9
	s_add_u32 s36, s74, s8
	s_addc_u32 s37, s75, s9
	s_cmp_lg_u64 s[2:3], s[6:7]
	s_cbranch_scc0 .LBB434_94
; %bb.17:
	v_lshlrev_b32_e32 v1, 2, v0
	v_mov_b32_e32 v2, s35
	v_add_co_u32_e32 v3, vcc, s34, v1
	v_addc_co_u32_e32 v4, vcc, 0, v2, vcc
	v_add_co_u32_e32 v5, vcc, s36, v1
	global_load_dword v7, v1, s[34:35]
	global_load_dword v8, v1, s[34:35] offset:512
	global_load_dword v9, v1, s[34:35] offset:1024
	;; [unrolled: 1-line block ×7, first 2 shown]
	global_load_dword v15, v1, s[36:37]
	global_load_dword v16, v1, s[36:37] offset:512
	global_load_dword v17, v1, s[36:37] offset:1024
	;; [unrolled: 1-line block ×6, first 2 shown]
	s_nop 0
	global_load_dword v1, v1, s[36:37] offset:3584
	v_mov_b32_e32 v2, s37
	v_addc_co_u32_e32 v6, vcc, 0, v2, vcc
	s_movk_i32 s1, 0x1000
	v_add_co_u32_e32 v2, vcc, s1, v3
	v_addc_co_u32_e32 v3, vcc, 0, v4, vcc
	v_add_co_u32_e32 v4, vcc, s1, v5
	v_addc_co_u32_e32 v5, vcc, 0, v6, vcc
	global_load_dword v6, v[4:5], off
	global_load_dword v22, v[2:3], off
	global_load_dword v23, v[4:5], off offset:512
	global_load_dword v24, v[2:3], off offset:512
	;; [unrolled: 1-line block ×13, first 2 shown]
                                        ; kill: killed $vgpr4 killed $vgpr5
	s_nop 0
	global_load_dword v2, v[2:3], off offset:3584
	s_waitcnt vmcnt(23)
	v_cmp_eq_u32_e32 vcc, s33, v15
	v_cndmask_b32_e32 v3, 0, v7, vcc
	s_waitcnt vmcnt(22)
	v_cmp_eq_u32_e32 vcc, s33, v16
	v_cndmask_b32_e32 v4, 0, v8, vcc
	;; [unrolled: 3-line block ×8, first 2 shown]
	s_waitcnt vmcnt(15)
	v_cmp_eq_u32_e32 vcc, s33, v6
	s_waitcnt vmcnt(14)
	v_cndmask_b32_e32 v6, 0, v22, vcc
	s_waitcnt vmcnt(13)
	v_cmp_eq_u32_e32 vcc, s33, v23
	s_waitcnt vmcnt(12)
	v_cndmask_b32_e32 v11, 0, v24, vcc
	s_waitcnt vmcnt(11)
	v_cmp_eq_u32_e32 vcc, s33, v25
	v_max_u32_e32 v3, v3, v4
	s_waitcnt vmcnt(10)
	v_cndmask_b32_e32 v12, 0, v26, vcc
	s_waitcnt vmcnt(9)
	v_cmp_eq_u32_e32 vcc, s33, v27
	v_max3_u32 v3, v3, v5, v7
	s_waitcnt vmcnt(8)
	v_cndmask_b32_e32 v13, 0, v28, vcc
	s_waitcnt vmcnt(7)
	v_cmp_eq_u32_e32 vcc, s33, v29
	v_max3_u32 v3, v3, v8, v9
	;; [unrolled: 5-line block ×5, first 2 shown]
	s_waitcnt vmcnt(0)
	v_cndmask_b32_e32 v2, 0, v2, vcc
	v_max3_u32 v1, v1, v14, v15
	v_max3_u32 v1, v1, v16, v2
	v_mbcnt_lo_u32_b32 v2, -1, 0
	v_mbcnt_hi_u32_b32 v2, -1, v2
	v_max_u32_dpp v1, v1, v1 quad_perm:[1,0,3,2] row_mask:0xf bank_mask:0xf bound_ctrl:1
	v_lshlrev_b32_e32 v3, 2, v2
	v_or_b32_e32 v4, 0xfc, v3
	v_max_u32_dpp v1, v1, v1 quad_perm:[2,3,0,1] row_mask:0xf bank_mask:0xf bound_ctrl:1
	v_cmp_eq_u32_e32 vcc, 0, v2
	s_nop 0
	v_max_u32_dpp v1, v1, v1 row_ror:4 row_mask:0xf bank_mask:0xf bound_ctrl:1
	s_nop 1
	v_max_u32_dpp v1, v1, v1 row_ror:8 row_mask:0xf bank_mask:0xf bound_ctrl:1
	s_nop 1
	v_max_u32_dpp v1, v1, v1 row_bcast:15 row_mask:0xf bank_mask:0xf bound_ctrl:1
	s_nop 1
	v_max_u32_dpp v1, v1, v1 row_bcast:31 row_mask:0xf bank_mask:0xf bound_ctrl:1
	ds_bpermute_b32 v1, v4, v1
	s_and_saveexec_b64 s[2:3], vcc
	s_cbranch_execz .LBB434_19
; %bb.18:
	v_lshrrev_b32_e32 v4, 4, v0
	v_and_b32_e32 v4, 4, v4
	s_waitcnt lgkmcnt(0)
	ds_write_b32 v4, v1
.LBB434_19:
	s_or_b64 exec, exec, s[2:3]
	v_cmp_gt_u32_e32 vcc, 64, v0
	s_waitcnt lgkmcnt(0)
	s_barrier
	s_and_saveexec_b64 s[2:3], vcc
	s_cbranch_execz .LBB434_21
; %bb.20:
	v_and_b32_e32 v1, 1, v2
	v_lshlrev_b32_e32 v1, 2, v1
	ds_read_b32 v1, v1
	v_or_b32_e32 v2, 4, v3
	s_waitcnt lgkmcnt(0)
	ds_bpermute_b32 v2, v2, v1
	s_waitcnt lgkmcnt(0)
	v_max_u32_e32 v1, v1, v2
.LBB434_21:
	s_or_b64 exec, exec, s[2:3]
	s_mov_b64 s[2:3], 0
	s_branch .LBB434_95
.LBB434_22:
                                        ; implicit-def: $vgpr1
	s_branch .LBB434_142
.LBB434_23:
                                        ; implicit-def: $vgpr1
	s_cbranch_execz .LBB434_10
; %bb.24:
	s_sub_i32 s83, s68, s12
	v_cmp_gt_u32_e32 vcc, s83, v0
                                        ; implicit-def: $vgpr1
	s_and_saveexec_b64 s[0:1], vcc
	s_cbranch_execz .LBB434_26
; %bb.25:
	v_lshlrev_b32_e32 v1, 2, v0
	global_load_dword v2, v1, s[78:79]
	global_load_dword v3, v1, s[66:67]
	s_waitcnt vmcnt(1)
	v_cmp_eq_u32_e32 vcc, s33, v2
	s_waitcnt vmcnt(0)
	v_cndmask_b32_e32 v1, 0, v3, vcc
.LBB434_26:
	s_or_b64 exec, exec, s[0:1]
	v_or_b32_e32 v2, 0x80, v0
	v_cmp_gt_u32_e32 vcc, s83, v2
                                        ; implicit-def: $vgpr2
	s_and_saveexec_b64 s[2:3], vcc
	s_cbranch_execz .LBB434_28
; %bb.27:
	v_lshlrev_b32_e32 v2, 2, v0
	global_load_dword v3, v2, s[78:79] offset:512
	global_load_dword v4, v2, s[66:67] offset:512
	s_waitcnt vmcnt(1)
	v_cmp_eq_u32_e64 s[0:1], s33, v3
	s_waitcnt vmcnt(0)
	v_cndmask_b32_e64 v2, 0, v4, s[0:1]
.LBB434_28:
	s_or_b64 exec, exec, s[2:3]
	v_or_b32_e32 v3, 0x100, v0
	v_cmp_gt_u32_e64 s[0:1], s83, v3
                                        ; implicit-def: $vgpr3
	s_and_saveexec_b64 s[8:9], s[0:1]
	s_cbranch_execz .LBB434_30
; %bb.29:
	v_lshlrev_b32_e32 v3, 2, v0
	global_load_dword v4, v3, s[78:79] offset:1024
	global_load_dword v5, v3, s[66:67] offset:1024
	s_waitcnt vmcnt(1)
	v_cmp_eq_u32_e64 s[2:3], s33, v4
	s_waitcnt vmcnt(0)
	v_cndmask_b32_e64 v3, 0, v5, s[2:3]
.LBB434_30:
	s_or_b64 exec, exec, s[8:9]
	v_or_b32_e32 v4, 0x180, v0
	v_cmp_gt_u32_e64 s[2:3], s83, v4
                                        ; implicit-def: $vgpr4
	s_and_saveexec_b64 s[10:11], s[2:3]
	s_cbranch_execz .LBB434_32
; %bb.31:
	v_lshlrev_b32_e32 v4, 2, v0
	global_load_dword v5, v4, s[78:79] offset:1536
	global_load_dword v6, v4, s[66:67] offset:1536
	s_waitcnt vmcnt(1)
	v_cmp_eq_u32_e64 s[8:9], s33, v5
	s_waitcnt vmcnt(0)
	v_cndmask_b32_e64 v4, 0, v6, s[8:9]
.LBB434_32:
	s_or_b64 exec, exec, s[10:11]
	v_or_b32_e32 v5, 0x200, v0
	v_cmp_gt_u32_e64 s[8:9], s83, v5
                                        ; implicit-def: $vgpr5
	s_and_saveexec_b64 s[12:13], s[8:9]
	s_cbranch_execz .LBB434_34
; %bb.33:
	v_lshlrev_b32_e32 v5, 2, v0
	global_load_dword v6, v5, s[78:79] offset:2048
	global_load_dword v7, v5, s[66:67] offset:2048
	s_waitcnt vmcnt(1)
	v_cmp_eq_u32_e64 s[10:11], s33, v6
	s_waitcnt vmcnt(0)
	v_cndmask_b32_e64 v5, 0, v7, s[10:11]
.LBB434_34:
	s_or_b64 exec, exec, s[12:13]
	v_or_b32_e32 v6, 0x280, v0
	v_cmp_gt_u32_e64 s[10:11], s83, v6
                                        ; implicit-def: $vgpr6
	s_and_saveexec_b64 s[14:15], s[10:11]
	s_cbranch_execz .LBB434_36
; %bb.35:
	v_lshlrev_b32_e32 v6, 2, v0
	global_load_dword v7, v6, s[78:79] offset:2560
	global_load_dword v8, v6, s[66:67] offset:2560
	s_waitcnt vmcnt(1)
	v_cmp_eq_u32_e64 s[12:13], s33, v7
	s_waitcnt vmcnt(0)
	v_cndmask_b32_e64 v6, 0, v8, s[12:13]
.LBB434_36:
	s_or_b64 exec, exec, s[14:15]
	v_or_b32_e32 v7, 0x300, v0
	v_cmp_gt_u32_e64 s[12:13], s83, v7
                                        ; implicit-def: $vgpr7
	s_and_saveexec_b64 s[16:17], s[12:13]
	s_cbranch_execz .LBB434_38
; %bb.37:
	v_lshlrev_b32_e32 v7, 2, v0
	global_load_dword v8, v7, s[78:79] offset:3072
	global_load_dword v9, v7, s[66:67] offset:3072
	s_waitcnt vmcnt(1)
	v_cmp_eq_u32_e64 s[14:15], s33, v8
	s_waitcnt vmcnt(0)
	v_cndmask_b32_e64 v7, 0, v9, s[14:15]
.LBB434_38:
	s_or_b64 exec, exec, s[16:17]
	v_or_b32_e32 v8, 0x380, v0
	v_cmp_gt_u32_e64 s[14:15], s83, v8
                                        ; implicit-def: $vgpr8
	s_and_saveexec_b64 s[18:19], s[14:15]
	s_cbranch_execz .LBB434_40
; %bb.39:
	v_lshlrev_b32_e32 v8, 2, v0
	global_load_dword v9, v8, s[78:79] offset:3584
	global_load_dword v10, v8, s[66:67] offset:3584
	s_waitcnt vmcnt(1)
	v_cmp_eq_u32_e64 s[16:17], s33, v9
	s_waitcnt vmcnt(0)
	v_cndmask_b32_e64 v8, 0, v10, s[16:17]
.LBB434_40:
	s_or_b64 exec, exec, s[18:19]
	v_or_b32_e32 v10, 0x400, v0
	v_cmp_gt_u32_e64 s[16:17], s83, v10
                                        ; implicit-def: $vgpr9
	s_and_saveexec_b64 s[20:21], s[16:17]
	s_cbranch_execz .LBB434_42
; %bb.41:
	v_lshlrev_b32_e32 v9, 2, v10
	global_load_dword v10, v9, s[78:79]
	global_load_dword v11, v9, s[66:67]
	s_waitcnt vmcnt(1)
	v_cmp_eq_u32_e64 s[18:19], s33, v10
	s_waitcnt vmcnt(0)
	v_cndmask_b32_e64 v9, 0, v11, s[18:19]
.LBB434_42:
	s_or_b64 exec, exec, s[20:21]
	v_or_b32_e32 v11, 0x480, v0
	v_cmp_gt_u32_e64 s[18:19], s83, v11
                                        ; implicit-def: $vgpr10
	s_and_saveexec_b64 s[22:23], s[18:19]
	s_cbranch_execz .LBB434_44
; %bb.43:
	v_lshlrev_b32_e32 v10, 2, v11
	global_load_dword v11, v10, s[78:79]
	global_load_dword v12, v10, s[66:67]
	s_waitcnt vmcnt(1)
	v_cmp_eq_u32_e64 s[20:21], s33, v11
	s_waitcnt vmcnt(0)
	v_cndmask_b32_e64 v10, 0, v12, s[20:21]
.LBB434_44:
	s_or_b64 exec, exec, s[22:23]
	v_or_b32_e32 v12, 0x500, v0
	v_cmp_gt_u32_e64 s[20:21], s83, v12
                                        ; implicit-def: $vgpr11
	s_and_saveexec_b64 s[24:25], s[20:21]
	s_cbranch_execz .LBB434_46
; %bb.45:
	v_lshlrev_b32_e32 v11, 2, v12
	global_load_dword v12, v11, s[78:79]
	global_load_dword v13, v11, s[66:67]
	s_waitcnt vmcnt(1)
	v_cmp_eq_u32_e64 s[22:23], s33, v12
	s_waitcnt vmcnt(0)
	v_cndmask_b32_e64 v11, 0, v13, s[22:23]
.LBB434_46:
	s_or_b64 exec, exec, s[24:25]
	v_or_b32_e32 v13, 0x580, v0
	v_cmp_gt_u32_e64 s[22:23], s83, v13
                                        ; implicit-def: $vgpr12
	s_and_saveexec_b64 s[26:27], s[22:23]
	s_cbranch_execz .LBB434_48
; %bb.47:
	v_lshlrev_b32_e32 v12, 2, v13
	global_load_dword v13, v12, s[78:79]
	global_load_dword v14, v12, s[66:67]
	s_waitcnt vmcnt(1)
	v_cmp_eq_u32_e64 s[24:25], s33, v13
	s_waitcnt vmcnt(0)
	v_cndmask_b32_e64 v12, 0, v14, s[24:25]
.LBB434_48:
	s_or_b64 exec, exec, s[26:27]
	v_or_b32_e32 v14, 0x600, v0
	v_cmp_gt_u32_e64 s[24:25], s83, v14
                                        ; implicit-def: $vgpr13
	s_and_saveexec_b64 s[28:29], s[24:25]
	s_cbranch_execz .LBB434_50
; %bb.49:
	v_lshlrev_b32_e32 v13, 2, v14
	global_load_dword v14, v13, s[78:79]
	global_load_dword v15, v13, s[66:67]
	s_waitcnt vmcnt(1)
	v_cmp_eq_u32_e64 s[26:27], s33, v14
	s_waitcnt vmcnt(0)
	v_cndmask_b32_e64 v13, 0, v15, s[26:27]
.LBB434_50:
	s_or_b64 exec, exec, s[28:29]
	v_or_b32_e32 v15, 0x680, v0
	v_cmp_gt_u32_e64 s[26:27], s83, v15
                                        ; implicit-def: $vgpr14
	s_and_saveexec_b64 s[30:31], s[26:27]
	s_cbranch_execz .LBB434_52
; %bb.51:
	v_lshlrev_b32_e32 v14, 2, v15
	global_load_dword v15, v14, s[78:79]
	s_nop 0
	global_load_dword v14, v14, s[66:67]
	s_waitcnt vmcnt(1)
	v_cmp_eq_u32_e64 s[28:29], s33, v15
	s_waitcnt vmcnt(0)
	v_cndmask_b32_e64 v14, 0, v14, s[28:29]
.LBB434_52:
	s_or_b64 exec, exec, s[30:31]
	v_or_b32_e32 v16, 0x700, v0
	v_cmp_gt_u32_e64 s[28:29], s83, v16
                                        ; implicit-def: $vgpr15
	s_and_saveexec_b64 s[34:35], s[28:29]
	s_cbranch_execz .LBB434_54
; %bb.53:
	v_lshlrev_b32_e32 v15, 2, v16
	global_load_dword v16, v15, s[78:79]
	s_nop 0
	global_load_dword v15, v15, s[66:67]
	s_waitcnt vmcnt(1)
	v_cmp_eq_u32_e64 s[30:31], s33, v16
	s_waitcnt vmcnt(0)
	v_cndmask_b32_e64 v15, 0, v15, s[30:31]
.LBB434_54:
	s_or_b64 exec, exec, s[34:35]
	v_or_b32_e32 v17, 0x780, v0
	v_cmp_gt_u32_e64 s[30:31], s83, v17
                                        ; implicit-def: $vgpr16
	s_and_saveexec_b64 s[36:37], s[30:31]
	s_cbranch_execz .LBB434_56
; %bb.55:
	v_lshlrev_b32_e32 v16, 2, v17
	global_load_dword v17, v16, s[78:79]
	s_nop 0
	global_load_dword v16, v16, s[66:67]
	s_waitcnt vmcnt(1)
	v_cmp_eq_u32_e64 s[34:35], s33, v17
	s_waitcnt vmcnt(0)
	v_cndmask_b32_e64 v16, 0, v16, s[34:35]
.LBB434_56:
	s_or_b64 exec, exec, s[36:37]
	v_or_b32_e32 v18, 0x800, v0
	v_cmp_gt_u32_e64 s[34:35], s83, v18
                                        ; implicit-def: $vgpr17
	s_and_saveexec_b64 s[38:39], s[34:35]
	s_cbranch_execz .LBB434_58
; %bb.57:
	v_lshlrev_b32_e32 v17, 2, v18
	global_load_dword v18, v17, s[78:79]
	s_nop 0
	global_load_dword v17, v17, s[66:67]
	s_waitcnt vmcnt(1)
	v_cmp_eq_u32_e64 s[36:37], s33, v18
	s_waitcnt vmcnt(0)
	v_cndmask_b32_e64 v17, 0, v17, s[36:37]
.LBB434_58:
	s_or_b64 exec, exec, s[38:39]
	v_or_b32_e32 v19, 0x880, v0
	v_cmp_gt_u32_e64 s[36:37], s83, v19
                                        ; implicit-def: $vgpr18
	s_and_saveexec_b64 s[40:41], s[36:37]
	s_cbranch_execz .LBB434_60
; %bb.59:
	v_lshlrev_b32_e32 v18, 2, v19
	global_load_dword v19, v18, s[78:79]
	s_nop 0
	global_load_dword v18, v18, s[66:67]
	s_waitcnt vmcnt(1)
	v_cmp_eq_u32_e64 s[38:39], s33, v19
	s_waitcnt vmcnt(0)
	v_cndmask_b32_e64 v18, 0, v18, s[38:39]
.LBB434_60:
	s_or_b64 exec, exec, s[40:41]
	v_or_b32_e32 v20, 0x900, v0
	v_cmp_gt_u32_e64 s[38:39], s83, v20
                                        ; implicit-def: $vgpr19
	s_and_saveexec_b64 s[42:43], s[38:39]
	s_cbranch_execz .LBB434_62
; %bb.61:
	v_lshlrev_b32_e32 v19, 2, v20
	global_load_dword v20, v19, s[78:79]
	s_nop 0
	global_load_dword v19, v19, s[66:67]
	s_waitcnt vmcnt(1)
	v_cmp_eq_u32_e64 s[40:41], s33, v20
	s_waitcnt vmcnt(0)
	v_cndmask_b32_e64 v19, 0, v19, s[40:41]
.LBB434_62:
	s_or_b64 exec, exec, s[42:43]
	v_or_b32_e32 v21, 0x980, v0
	v_cmp_gt_u32_e64 s[40:41], s83, v21
                                        ; implicit-def: $vgpr20
	s_and_saveexec_b64 s[44:45], s[40:41]
	s_cbranch_execz .LBB434_64
; %bb.63:
	v_lshlrev_b32_e32 v20, 2, v21
	global_load_dword v21, v20, s[78:79]
	s_nop 0
	global_load_dword v20, v20, s[66:67]
	s_waitcnt vmcnt(1)
	v_cmp_eq_u32_e64 s[42:43], s33, v21
	s_waitcnt vmcnt(0)
	v_cndmask_b32_e64 v20, 0, v20, s[42:43]
.LBB434_64:
	s_or_b64 exec, exec, s[44:45]
	v_or_b32_e32 v22, 0xa00, v0
	v_cmp_gt_u32_e64 s[42:43], s83, v22
                                        ; implicit-def: $vgpr21
	s_and_saveexec_b64 s[46:47], s[42:43]
	s_cbranch_execz .LBB434_66
; %bb.65:
	v_lshlrev_b32_e32 v21, 2, v22
	global_load_dword v22, v21, s[78:79]
	s_nop 0
	global_load_dword v21, v21, s[66:67]
	s_waitcnt vmcnt(1)
	v_cmp_eq_u32_e64 s[44:45], s33, v22
	s_waitcnt vmcnt(0)
	v_cndmask_b32_e64 v21, 0, v21, s[44:45]
.LBB434_66:
	s_or_b64 exec, exec, s[46:47]
	v_or_b32_e32 v23, 0xa80, v0
	v_cmp_gt_u32_e64 s[44:45], s83, v23
                                        ; implicit-def: $vgpr22
	s_and_saveexec_b64 s[48:49], s[44:45]
	s_cbranch_execz .LBB434_68
; %bb.67:
	v_lshlrev_b32_e32 v22, 2, v23
	global_load_dword v23, v22, s[78:79]
	s_nop 0
	global_load_dword v22, v22, s[66:67]
	s_waitcnt vmcnt(1)
	v_cmp_eq_u32_e64 s[46:47], s33, v23
	s_waitcnt vmcnt(0)
	v_cndmask_b32_e64 v22, 0, v22, s[46:47]
.LBB434_68:
	s_or_b64 exec, exec, s[48:49]
	v_or_b32_e32 v24, 0xb00, v0
	v_cmp_gt_u32_e64 s[46:47], s83, v24
                                        ; implicit-def: $vgpr23
	s_and_saveexec_b64 s[50:51], s[46:47]
	s_cbranch_execz .LBB434_70
; %bb.69:
	v_lshlrev_b32_e32 v23, 2, v24
	global_load_dword v24, v23, s[78:79]
	s_nop 0
	global_load_dword v23, v23, s[66:67]
	s_waitcnt vmcnt(1)
	v_cmp_eq_u32_e64 s[48:49], s33, v24
	s_waitcnt vmcnt(0)
	v_cndmask_b32_e64 v23, 0, v23, s[48:49]
.LBB434_70:
	s_or_b64 exec, exec, s[50:51]
	v_or_b32_e32 v25, 0xb80, v0
	v_cmp_gt_u32_e64 s[48:49], s83, v25
                                        ; implicit-def: $vgpr24
	s_and_saveexec_b64 s[52:53], s[48:49]
	s_cbranch_execz .LBB434_72
; %bb.71:
	v_lshlrev_b32_e32 v24, 2, v25
	global_load_dword v25, v24, s[78:79]
	s_nop 0
	global_load_dword v24, v24, s[66:67]
	s_waitcnt vmcnt(1)
	v_cmp_eq_u32_e64 s[50:51], s33, v25
	s_waitcnt vmcnt(0)
	v_cndmask_b32_e64 v24, 0, v24, s[50:51]
.LBB434_72:
	s_or_b64 exec, exec, s[52:53]
	v_or_b32_e32 v26, 0xc00, v0
	v_cmp_gt_u32_e64 s[50:51], s83, v26
                                        ; implicit-def: $vgpr25
	s_and_saveexec_b64 s[54:55], s[50:51]
	s_cbranch_execz .LBB434_74
; %bb.73:
	v_lshlrev_b32_e32 v25, 2, v26
	global_load_dword v26, v25, s[78:79]
	s_nop 0
	global_load_dword v25, v25, s[66:67]
	s_waitcnt vmcnt(1)
	v_cmp_eq_u32_e64 s[52:53], s33, v26
	s_waitcnt vmcnt(0)
	v_cndmask_b32_e64 v25, 0, v25, s[52:53]
.LBB434_74:
	s_or_b64 exec, exec, s[54:55]
	v_or_b32_e32 v27, 0xc80, v0
	v_cmp_gt_u32_e64 s[52:53], s83, v27
                                        ; implicit-def: $vgpr26
	s_and_saveexec_b64 s[56:57], s[52:53]
	s_cbranch_execz .LBB434_76
; %bb.75:
	v_lshlrev_b32_e32 v26, 2, v27
	global_load_dword v27, v26, s[78:79]
	s_nop 0
	global_load_dword v26, v26, s[66:67]
	s_waitcnt vmcnt(1)
	v_cmp_eq_u32_e64 s[54:55], s33, v27
	s_waitcnt vmcnt(0)
	v_cndmask_b32_e64 v26, 0, v26, s[54:55]
.LBB434_76:
	s_or_b64 exec, exec, s[56:57]
	v_or_b32_e32 v28, 0xd00, v0
	v_cmp_gt_u32_e64 s[54:55], s83, v28
                                        ; implicit-def: $vgpr27
	s_and_saveexec_b64 s[58:59], s[54:55]
	s_cbranch_execz .LBB434_78
; %bb.77:
	v_lshlrev_b32_e32 v27, 2, v28
	global_load_dword v28, v27, s[78:79]
	s_nop 0
	global_load_dword v27, v27, s[66:67]
	s_waitcnt vmcnt(1)
	v_cmp_eq_u32_e64 s[56:57], s33, v28
	s_waitcnt vmcnt(0)
	v_cndmask_b32_e64 v27, 0, v27, s[56:57]
.LBB434_78:
	s_or_b64 exec, exec, s[58:59]
	v_or_b32_e32 v29, 0xd80, v0
	v_cmp_gt_u32_e64 s[56:57], s83, v29
                                        ; implicit-def: $vgpr28
	s_and_saveexec_b64 s[60:61], s[56:57]
	s_cbranch_execz .LBB434_80
; %bb.79:
	v_lshlrev_b32_e32 v28, 2, v29
	global_load_dword v29, v28, s[78:79]
	s_nop 0
	global_load_dword v28, v28, s[66:67]
	s_waitcnt vmcnt(1)
	v_cmp_eq_u32_e64 s[58:59], s33, v29
	s_waitcnt vmcnt(0)
	v_cndmask_b32_e64 v28, 0, v28, s[58:59]
.LBB434_80:
	s_or_b64 exec, exec, s[60:61]
	v_or_b32_e32 v30, 0xe00, v0
	v_cmp_gt_u32_e64 s[58:59], s83, v30
                                        ; implicit-def: $vgpr29
	s_and_saveexec_b64 s[62:63], s[58:59]
	s_cbranch_execz .LBB434_82
; %bb.81:
	v_lshlrev_b32_e32 v29, 2, v30
	global_load_dword v30, v29, s[78:79]
	s_nop 0
	global_load_dword v29, v29, s[66:67]
	s_waitcnt vmcnt(1)
	v_cmp_eq_u32_e64 s[60:61], s33, v30
	s_waitcnt vmcnt(0)
	v_cndmask_b32_e64 v29, 0, v29, s[60:61]
.LBB434_82:
	s_or_b64 exec, exec, s[62:63]
	v_or_b32_e32 v31, 0xe80, v0
	v_cmp_gt_u32_e64 s[60:61], s83, v31
                                        ; implicit-def: $vgpr30
	s_and_saveexec_b64 s[64:65], s[60:61]
	s_cbranch_execz .LBB434_84
; %bb.83:
	v_lshlrev_b32_e32 v30, 2, v31
	global_load_dword v31, v30, s[78:79]
	s_nop 0
	global_load_dword v30, v30, s[66:67]
	s_waitcnt vmcnt(1)
	v_cmp_eq_u32_e64 s[62:63], s33, v31
	s_waitcnt vmcnt(0)
	v_cndmask_b32_e64 v30, 0, v30, s[62:63]
.LBB434_84:
	s_or_b64 exec, exec, s[64:65]
	v_or_b32_e32 v32, 0xf00, v0
	v_cmp_gt_u32_e64 s[62:63], s83, v32
                                        ; implicit-def: $vgpr31
	s_and_saveexec_b64 s[80:81], s[62:63]
	s_cbranch_execz .LBB434_86
; %bb.85:
	v_lshlrev_b32_e32 v31, 2, v32
	global_load_dword v32, v31, s[78:79]
	s_nop 0
	global_load_dword v31, v31, s[66:67]
	s_waitcnt vmcnt(1)
	v_cmp_eq_u32_e64 s[64:65], s33, v32
	s_waitcnt vmcnt(0)
	v_cndmask_b32_e64 v31, 0, v31, s[64:65]
.LBB434_86:
	s_or_b64 exec, exec, s[80:81]
	v_or_b32_e32 v33, 0xf80, v0
	v_cmp_gt_u32_e64 s[64:65], s83, v33
                                        ; implicit-def: $vgpr32
	s_and_saveexec_b64 s[80:81], s[64:65]
	s_cbranch_execz .LBB434_88
; %bb.87:
	v_lshlrev_b32_e32 v32, 2, v33
	global_load_dword v33, v32, s[78:79]
	s_nop 0
	global_load_dword v32, v32, s[66:67]
	s_waitcnt vmcnt(1)
	v_cmp_eq_u32_e64 s[66:67], s33, v33
	s_waitcnt vmcnt(0)
	v_cndmask_b32_e64 v32, 0, v32, s[66:67]
.LBB434_88:
	s_or_b64 exec, exec, s[80:81]
	v_max_u32_e32 v2, v1, v2
	v_cndmask_b32_e32 v1, v1, v2, vcc
	v_max_u32_e32 v2, v1, v3
	v_cndmask_b32_e64 v1, v1, v2, s[0:1]
	v_max_u32_e32 v2, v1, v4
	v_cndmask_b32_e64 v1, v1, v2, s[2:3]
	;; [unrolled: 2-line block ×30, first 2 shown]
	v_mbcnt_lo_u32_b32 v2, -1, 0
	v_mbcnt_hi_u32_b32 v2, -1, v2
	v_and_b32_e32 v3, 63, v2
	v_cmp_ne_u32_e32 vcc, 63, v3
	v_addc_co_u32_e32 v4, vcc, 0, v2, vcc
	v_lshlrev_b32_e32 v4, 2, v4
	ds_bpermute_b32 v4, v4, v1
	s_min_u32 s2, s83, 0x80
	v_and_b32_e32 v5, 64, v0
	v_sub_u32_e64 v5, s2, v5 clamp
	v_add_u32_e32 v6, 1, v3
	s_waitcnt lgkmcnt(0)
	v_max_u32_e32 v4, v1, v4
	v_cmp_lt_u32_e32 vcc, v6, v5
	v_cndmask_b32_e32 v1, v1, v4, vcc
	v_cmp_gt_u32_e32 vcc, 62, v3
	v_cndmask_b32_e64 v4, 0, 1, vcc
	v_lshlrev_b32_e32 v4, 1, v4
	v_add_lshl_u32 v4, v4, v2, 2
	ds_bpermute_b32 v4, v4, v1
	v_add_u32_e32 v6, 2, v3
	v_cmp_lt_u32_e32 vcc, v6, v5
	v_add_u32_e32 v6, 4, v3
	s_waitcnt lgkmcnt(0)
	v_max_u32_e32 v4, v1, v4
	v_cndmask_b32_e32 v1, v1, v4, vcc
	v_cmp_gt_u32_e32 vcc, 60, v3
	v_cndmask_b32_e64 v4, 0, 1, vcc
	v_lshlrev_b32_e32 v4, 2, v4
	v_add_lshl_u32 v4, v4, v2, 2
	ds_bpermute_b32 v4, v4, v1
	v_cmp_lt_u32_e32 vcc, v6, v5
	v_add_u32_e32 v6, 8, v3
	s_waitcnt lgkmcnt(0)
	v_max_u32_e32 v4, v1, v4
	v_cndmask_b32_e32 v1, v1, v4, vcc
	v_cmp_gt_u32_e32 vcc, 56, v3
	v_cndmask_b32_e64 v4, 0, 1, vcc
	v_lshlrev_b32_e32 v4, 3, v4
	v_add_lshl_u32 v4, v4, v2, 2
	ds_bpermute_b32 v4, v4, v1
	v_cmp_lt_u32_e32 vcc, v6, v5
	v_add_u32_e32 v6, 16, v3
	s_waitcnt lgkmcnt(0)
	v_max_u32_e32 v4, v1, v4
	v_cndmask_b32_e32 v1, v1, v4, vcc
	v_cmp_gt_u32_e32 vcc, 48, v3
	v_cndmask_b32_e64 v4, 0, 1, vcc
	v_lshlrev_b32_e32 v4, 4, v4
	v_add_lshl_u32 v4, v4, v2, 2
	ds_bpermute_b32 v4, v4, v1
	v_cmp_lt_u32_e32 vcc, v6, v5
	s_waitcnt lgkmcnt(0)
	v_max_u32_e32 v4, v1, v4
	v_cndmask_b32_e32 v1, v1, v4, vcc
	v_cmp_gt_u32_e32 vcc, 32, v3
	v_cndmask_b32_e64 v4, 0, 1, vcc
	v_lshlrev_b32_e32 v4, 5, v4
	v_add_lshl_u32 v4, v4, v2, 2
	ds_bpermute_b32 v4, v4, v1
	v_add_u32_e32 v3, 32, v3
	v_cmp_lt_u32_e32 vcc, v3, v5
	s_waitcnt lgkmcnt(0)
	v_max_u32_e32 v4, v1, v4
	v_cndmask_b32_e32 v1, v1, v4, vcc
	v_cmp_eq_u32_e32 vcc, 0, v2
	s_and_saveexec_b64 s[0:1], vcc
	s_cbranch_execz .LBB434_90
; %bb.89:
	v_lshrrev_b32_e32 v3, 4, v0
	v_and_b32_e32 v3, 4, v3
	ds_write_b32 v3, v1 offset:48
.LBB434_90:
	s_or_b64 exec, exec, s[0:1]
	v_cmp_gt_u32_e32 vcc, 2, v0
	s_waitcnt lgkmcnt(0)
	s_barrier
	s_and_saveexec_b64 s[0:1], vcc
	s_cbranch_execz .LBB434_92
; %bb.91:
	v_lshlrev_b32_e32 v1, 2, v2
	ds_read_b32 v3, v1 offset:48
	v_or_b32_e32 v1, 4, v1
	s_add_i32 s2, s2, 63
	v_and_b32_e32 v2, 1, v2
	s_lshr_b32 s2, s2, 6
	s_waitcnt lgkmcnt(0)
	ds_bpermute_b32 v1, v1, v3
	v_add_u32_e32 v2, 1, v2
	v_cmp_gt_u32_e32 vcc, s2, v2
	s_waitcnt lgkmcnt(0)
	v_max_u32_e32 v1, v3, v1
	v_cndmask_b32_e32 v1, v3, v1, vcc
.LBB434_92:
	s_or_b64 exec, exec, s[0:1]
	v_cmp_eq_u32_e64 s[0:1], 0, v0
	s_and_b64 vcc, exec, s[76:77]
	s_cbranch_vccnz .LBB434_15
.LBB434_93:
	s_branch .LBB434_142
.LBB434_94:
	s_mov_b64 s[2:3], -1
                                        ; implicit-def: $vgpr1
.LBB434_95:
	s_and_b64 vcc, exec, s[2:3]
	s_cbranch_vccz .LBB434_133
; %bb.96:
	s_sub_i32 s40, s68, s0
	v_cmp_gt_u32_e32 vcc, s40, v0
                                        ; implicit-def: $vgpr2_vgpr3_vgpr4_vgpr5_vgpr6_vgpr7_vgpr8_vgpr9_vgpr10_vgpr11_vgpr12_vgpr13_vgpr14_vgpr15_vgpr16_vgpr17
	s_and_saveexec_b64 s[0:1], vcc
	s_cbranch_execz .LBB434_98
; %bb.97:
	v_lshlrev_b32_e32 v1, 2, v0
	global_load_dword v2, v1, s[36:37]
	global_load_dword v3, v1, s[34:35]
	s_waitcnt vmcnt(1)
	v_cmp_eq_u32_e32 vcc, s33, v2
	s_waitcnt vmcnt(0)
	v_cndmask_b32_e32 v2, 0, v3, vcc
.LBB434_98:
	s_or_b64 exec, exec, s[0:1]
	v_or_b32_e32 v1, 0x80, v0
	v_cmp_gt_u32_e32 vcc, s40, v1
	s_and_saveexec_b64 s[2:3], vcc
	s_cbranch_execz .LBB434_100
; %bb.99:
	v_lshlrev_b32_e32 v1, 2, v0
	global_load_dword v3, v1, s[36:37] offset:512
	global_load_dword v18, v1, s[34:35] offset:512
	s_waitcnt vmcnt(1)
	v_cmp_eq_u32_e64 s[0:1], s33, v3
	s_waitcnt vmcnt(0)
	v_cndmask_b32_e64 v3, 0, v18, s[0:1]
.LBB434_100:
	s_or_b64 exec, exec, s[2:3]
	v_or_b32_e32 v1, 0x100, v0
	v_cmp_gt_u32_e64 s[0:1], s40, v1
	s_and_saveexec_b64 s[8:9], s[0:1]
	s_cbranch_execz .LBB434_102
; %bb.101:
	v_lshlrev_b32_e32 v1, 2, v0
	global_load_dword v4, v1, s[36:37] offset:1024
	global_load_dword v18, v1, s[34:35] offset:1024
	s_waitcnt vmcnt(1)
	v_cmp_eq_u32_e64 s[2:3], s33, v4
	s_waitcnt vmcnt(0)
	v_cndmask_b32_e64 v4, 0, v18, s[2:3]
.LBB434_102:
	s_or_b64 exec, exec, s[8:9]
	v_or_b32_e32 v1, 0x180, v0
	v_cmp_gt_u32_e64 s[2:3], s40, v1
	s_and_saveexec_b64 s[10:11], s[2:3]
	s_cbranch_execz .LBB434_104
; %bb.103:
	v_lshlrev_b32_e32 v1, 2, v0
	global_load_dword v5, v1, s[36:37] offset:1536
	global_load_dword v18, v1, s[34:35] offset:1536
	s_waitcnt vmcnt(1)
	v_cmp_eq_u32_e64 s[8:9], s33, v5
	s_waitcnt vmcnt(0)
	v_cndmask_b32_e64 v5, 0, v18, s[8:9]
.LBB434_104:
	s_or_b64 exec, exec, s[10:11]
	v_or_b32_e32 v1, 0x200, v0
	v_cmp_gt_u32_e64 s[8:9], s40, v1
	s_and_saveexec_b64 s[12:13], s[8:9]
	s_cbranch_execz .LBB434_106
; %bb.105:
	v_lshlrev_b32_e32 v1, 2, v0
	global_load_dword v6, v1, s[36:37] offset:2048
	global_load_dword v18, v1, s[34:35] offset:2048
	s_waitcnt vmcnt(1)
	v_cmp_eq_u32_e64 s[10:11], s33, v6
	s_waitcnt vmcnt(0)
	v_cndmask_b32_e64 v6, 0, v18, s[10:11]
.LBB434_106:
	s_or_b64 exec, exec, s[12:13]
	v_or_b32_e32 v1, 0x280, v0
	v_cmp_gt_u32_e64 s[10:11], s40, v1
	s_and_saveexec_b64 s[14:15], s[10:11]
	s_cbranch_execz .LBB434_108
; %bb.107:
	v_lshlrev_b32_e32 v1, 2, v0
	global_load_dword v7, v1, s[36:37] offset:2560
	global_load_dword v18, v1, s[34:35] offset:2560
	s_waitcnt vmcnt(1)
	v_cmp_eq_u32_e64 s[12:13], s33, v7
	s_waitcnt vmcnt(0)
	v_cndmask_b32_e64 v7, 0, v18, s[12:13]
.LBB434_108:
	s_or_b64 exec, exec, s[14:15]
	v_or_b32_e32 v1, 0x300, v0
	v_cmp_gt_u32_e64 s[12:13], s40, v1
	s_and_saveexec_b64 s[16:17], s[12:13]
	s_cbranch_execz .LBB434_110
; %bb.109:
	v_lshlrev_b32_e32 v1, 2, v0
	global_load_dword v8, v1, s[36:37] offset:3072
	global_load_dword v18, v1, s[34:35] offset:3072
	s_waitcnt vmcnt(1)
	v_cmp_eq_u32_e64 s[14:15], s33, v8
	s_waitcnt vmcnt(0)
	v_cndmask_b32_e64 v8, 0, v18, s[14:15]
.LBB434_110:
	s_or_b64 exec, exec, s[16:17]
	v_or_b32_e32 v1, 0x380, v0
	v_cmp_gt_u32_e64 s[14:15], s40, v1
	s_and_saveexec_b64 s[18:19], s[14:15]
	s_cbranch_execz .LBB434_112
; %bb.111:
	v_lshlrev_b32_e32 v1, 2, v0
	global_load_dword v9, v1, s[36:37] offset:3584
	global_load_dword v18, v1, s[34:35] offset:3584
	s_waitcnt vmcnt(1)
	v_cmp_eq_u32_e64 s[16:17], s33, v9
	s_waitcnt vmcnt(0)
	v_cndmask_b32_e64 v9, 0, v18, s[16:17]
.LBB434_112:
	s_or_b64 exec, exec, s[18:19]
	v_or_b32_e32 v1, 0x400, v0
	v_cmp_gt_u32_e64 s[16:17], s40, v1
	s_and_saveexec_b64 s[20:21], s[16:17]
	s_cbranch_execz .LBB434_114
; %bb.113:
	v_lshlrev_b32_e32 v1, 2, v1
	global_load_dword v10, v1, s[36:37]
	global_load_dword v18, v1, s[34:35]
	s_waitcnt vmcnt(1)
	v_cmp_eq_u32_e64 s[18:19], s33, v10
	s_waitcnt vmcnt(0)
	v_cndmask_b32_e64 v10, 0, v18, s[18:19]
.LBB434_114:
	s_or_b64 exec, exec, s[20:21]
	v_or_b32_e32 v1, 0x480, v0
	v_cmp_gt_u32_e64 s[18:19], s40, v1
	s_and_saveexec_b64 s[22:23], s[18:19]
	s_cbranch_execz .LBB434_116
; %bb.115:
	v_lshlrev_b32_e32 v1, 2, v1
	global_load_dword v11, v1, s[36:37]
	global_load_dword v18, v1, s[34:35]
	s_waitcnt vmcnt(1)
	v_cmp_eq_u32_e64 s[20:21], s33, v11
	s_waitcnt vmcnt(0)
	v_cndmask_b32_e64 v11, 0, v18, s[20:21]
.LBB434_116:
	s_or_b64 exec, exec, s[22:23]
	v_or_b32_e32 v1, 0x500, v0
	v_cmp_gt_u32_e64 s[20:21], s40, v1
	s_and_saveexec_b64 s[24:25], s[20:21]
	;; [unrolled: 14-line block ×6, first 2 shown]
	s_cbranch_execz .LBB434_126
; %bb.125:
	v_lshlrev_b32_e32 v1, 2, v1
	global_load_dword v16, v1, s[36:37]
	s_nop 0
	global_load_dword v1, v1, s[34:35]
	s_waitcnt vmcnt(1)
	v_cmp_eq_u32_e64 s[30:31], s33, v16
	s_waitcnt vmcnt(0)
	v_cndmask_b32_e64 v16, 0, v1, s[30:31]
.LBB434_126:
	s_or_b64 exec, exec, s[38:39]
	v_or_b32_e32 v1, 0x780, v0
	v_cmp_gt_u32_e64 s[30:31], s40, v1
	s_and_saveexec_b64 s[38:39], s[30:31]
	s_cbranch_execz .LBB434_128
; %bb.127:
	v_lshlrev_b32_e32 v1, 2, v1
	global_load_dword v17, v1, s[36:37]
	s_nop 0
	global_load_dword v1, v1, s[34:35]
	s_waitcnt vmcnt(1)
	v_cmp_eq_u32_e64 s[34:35], s33, v17
	s_waitcnt vmcnt(0)
	v_cndmask_b32_e64 v17, 0, v1, s[34:35]
.LBB434_128:
	s_or_b64 exec, exec, s[38:39]
	v_max_u32_e32 v1, v2, v3
	v_cndmask_b32_e32 v1, v2, v1, vcc
	v_max_u32_e32 v2, v1, v4
	v_cndmask_b32_e64 v1, v1, v2, s[0:1]
	v_max_u32_e32 v2, v1, v5
	v_cndmask_b32_e64 v1, v1, v2, s[2:3]
	v_max_u32_e32 v2, v1, v6
	v_cndmask_b32_e64 v1, v1, v2, s[8:9]
	v_max_u32_e32 v2, v1, v7
	v_cndmask_b32_e64 v1, v1, v2, s[10:11]
	v_max_u32_e32 v2, v1, v8
	v_cndmask_b32_e64 v1, v1, v2, s[12:13]
	v_max_u32_e32 v2, v1, v9
	v_cndmask_b32_e64 v1, v1, v2, s[14:15]
	v_max_u32_e32 v2, v1, v10
	v_cndmask_b32_e64 v1, v1, v2, s[16:17]
	v_max_u32_e32 v2, v1, v11
	v_cndmask_b32_e64 v1, v1, v2, s[18:19]
	v_max_u32_e32 v2, v1, v12
	v_cndmask_b32_e64 v1, v1, v2, s[20:21]
	v_max_u32_e32 v2, v1, v13
	v_cndmask_b32_e64 v1, v1, v2, s[22:23]
	v_max_u32_e32 v2, v1, v14
	v_cndmask_b32_e64 v1, v1, v2, s[24:25]
	v_max_u32_e32 v2, v1, v15
	v_cndmask_b32_e64 v1, v1, v2, s[26:27]
	v_max_u32_e32 v2, v1, v16
	v_cndmask_b32_e64 v1, v1, v2, s[28:29]
	v_max_u32_e32 v2, v1, v17
	v_cndmask_b32_e64 v1, v1, v2, s[30:31]
	v_mbcnt_lo_u32_b32 v2, -1, 0
	v_mbcnt_hi_u32_b32 v2, -1, v2
	v_and_b32_e32 v3, 63, v2
	v_cmp_ne_u32_e32 vcc, 63, v3
	v_addc_co_u32_e32 v4, vcc, 0, v2, vcc
	v_lshlrev_b32_e32 v4, 2, v4
	ds_bpermute_b32 v4, v4, v1
	s_min_u32 s2, s40, 0x80
	v_and_b32_e32 v5, 64, v0
	v_sub_u32_e64 v5, s2, v5 clamp
	v_add_u32_e32 v6, 1, v3
	s_waitcnt lgkmcnt(0)
	v_max_u32_e32 v4, v1, v4
	v_cmp_lt_u32_e32 vcc, v6, v5
	v_cndmask_b32_e32 v1, v1, v4, vcc
	v_cmp_gt_u32_e32 vcc, 62, v3
	v_cndmask_b32_e64 v4, 0, 1, vcc
	v_lshlrev_b32_e32 v4, 1, v4
	v_add_lshl_u32 v4, v4, v2, 2
	ds_bpermute_b32 v4, v4, v1
	v_add_u32_e32 v6, 2, v3
	v_cmp_lt_u32_e32 vcc, v6, v5
	v_add_u32_e32 v6, 4, v3
	s_waitcnt lgkmcnt(0)
	v_max_u32_e32 v4, v1, v4
	v_cndmask_b32_e32 v1, v1, v4, vcc
	v_cmp_gt_u32_e32 vcc, 60, v3
	v_cndmask_b32_e64 v4, 0, 1, vcc
	v_lshlrev_b32_e32 v4, 2, v4
	v_add_lshl_u32 v4, v4, v2, 2
	ds_bpermute_b32 v4, v4, v1
	v_cmp_lt_u32_e32 vcc, v6, v5
	v_add_u32_e32 v6, 8, v3
	s_waitcnt lgkmcnt(0)
	v_max_u32_e32 v4, v1, v4
	v_cndmask_b32_e32 v1, v1, v4, vcc
	v_cmp_gt_u32_e32 vcc, 56, v3
	v_cndmask_b32_e64 v4, 0, 1, vcc
	v_lshlrev_b32_e32 v4, 3, v4
	v_add_lshl_u32 v4, v4, v2, 2
	ds_bpermute_b32 v4, v4, v1
	;; [unrolled: 10-line block ×3, first 2 shown]
	v_cmp_lt_u32_e32 vcc, v6, v5
	s_waitcnt lgkmcnt(0)
	v_max_u32_e32 v4, v1, v4
	v_cndmask_b32_e32 v1, v1, v4, vcc
	v_cmp_gt_u32_e32 vcc, 32, v3
	v_cndmask_b32_e64 v4, 0, 1, vcc
	v_lshlrev_b32_e32 v4, 5, v4
	v_add_lshl_u32 v4, v4, v2, 2
	ds_bpermute_b32 v4, v4, v1
	v_add_u32_e32 v3, 32, v3
	v_cmp_lt_u32_e32 vcc, v3, v5
	s_waitcnt lgkmcnt(0)
	v_max_u32_e32 v4, v1, v4
	v_cndmask_b32_e32 v1, v1, v4, vcc
	v_cmp_eq_u32_e32 vcc, 0, v2
	s_and_saveexec_b64 s[0:1], vcc
	s_cbranch_execz .LBB434_130
; %bb.129:
	v_lshrrev_b32_e32 v3, 4, v0
	v_and_b32_e32 v3, 4, v3
	ds_write_b32 v3, v1 offset:48
.LBB434_130:
	s_or_b64 exec, exec, s[0:1]
	v_cmp_gt_u32_e32 vcc, 2, v0
	s_waitcnt lgkmcnt(0)
	s_barrier
	s_and_saveexec_b64 s[0:1], vcc
	s_cbranch_execz .LBB434_132
; %bb.131:
	v_lshlrev_b32_e32 v1, 2, v2
	ds_read_b32 v3, v1 offset:48
	v_or_b32_e32 v1, 4, v1
	s_add_i32 s2, s2, 63
	v_and_b32_e32 v2, 1, v2
	s_lshr_b32 s2, s2, 6
	s_waitcnt lgkmcnt(0)
	ds_bpermute_b32 v1, v1, v3
	v_add_u32_e32 v2, 1, v2
	v_cmp_gt_u32_e32 vcc, s2, v2
	s_waitcnt lgkmcnt(0)
	v_max_u32_e32 v1, v3, v1
	v_cndmask_b32_e32 v1, v3, v1, vcc
.LBB434_132:
	s_or_b64 exec, exec, s[0:1]
.LBB434_133:
	v_cmp_eq_u32_e64 s[0:1], 0, v0
	s_branch .LBB434_142
.LBB434_134:
	s_cmp_eq_u32 s82, 8
	s_cbranch_scc0 .LBB434_141
; %bb.135:
	s_mov_b32 s7, 0
	s_lshl_b32 s0, s6, 10
	s_mov_b32 s1, s7
	s_lshr_b64 s[2:3], s[68:69], 10
	s_lshl_b64 s[8:9], s[0:1], 2
	s_add_u32 s16, s72, s8
	s_addc_u32 s17, s73, s9
	s_add_u32 s18, s74, s8
	s_addc_u32 s19, s75, s9
	s_cmp_lg_u64 s[2:3], s[6:7]
	s_cbranch_scc0 .LBB434_143
; %bb.136:
	v_lshlrev_b32_e32 v1, 2, v0
	global_load_dword v4, v1, s[18:19]
	global_load_dword v5, v1, s[16:17]
	global_load_dword v6, v1, s[18:19] offset:512
	global_load_dword v7, v1, s[16:17] offset:512
	;; [unrolled: 1-line block ×13, first 2 shown]
	s_nop 0
	global_load_dword v1, v1, s[16:17] offset:3584
	v_mbcnt_lo_u32_b32 v2, -1, 0
	v_mbcnt_hi_u32_b32 v2, -1, v2
	v_lshlrev_b32_e32 v3, 2, v2
	s_waitcnt vmcnt(15)
	v_cmp_eq_u32_e32 vcc, s33, v4
	s_waitcnt vmcnt(14)
	v_cndmask_b32_e32 v4, 0, v5, vcc
	s_waitcnt vmcnt(13)
	v_cmp_eq_u32_e32 vcc, s33, v6
	s_waitcnt vmcnt(12)
	v_cndmask_b32_e32 v5, 0, v7, vcc
	;; [unrolled: 4-line block ×6, first 2 shown]
	s_waitcnt vmcnt(3)
	v_cmp_eq_u32_e32 vcc, s33, v16
	v_max_u32_e32 v4, v4, v5
	s_waitcnt vmcnt(2)
	v_cndmask_b32_e32 v10, 0, v17, vcc
	s_waitcnt vmcnt(1)
	v_cmp_eq_u32_e32 vcc, s33, v18
	v_max3_u32 v4, v4, v6, v7
	s_waitcnt vmcnt(0)
	v_cndmask_b32_e32 v1, 0, v1, vcc
	v_max3_u32 v4, v4, v8, v9
	v_max3_u32 v1, v4, v10, v1
	v_or_b32_e32 v4, 0xfc, v3
	v_cmp_eq_u32_e32 vcc, 0, v2
	v_max_u32_dpp v1, v1, v1 quad_perm:[1,0,3,2] row_mask:0xf bank_mask:0xf bound_ctrl:1
	s_nop 1
	v_max_u32_dpp v1, v1, v1 quad_perm:[2,3,0,1] row_mask:0xf bank_mask:0xf bound_ctrl:1
	s_nop 1
	v_max_u32_dpp v1, v1, v1 row_ror:4 row_mask:0xf bank_mask:0xf bound_ctrl:1
	s_nop 1
	v_max_u32_dpp v1, v1, v1 row_ror:8 row_mask:0xf bank_mask:0xf bound_ctrl:1
	s_nop 1
	v_max_u32_dpp v1, v1, v1 row_bcast:15 row_mask:0xf bank_mask:0xf bound_ctrl:1
	s_nop 1
	v_max_u32_dpp v1, v1, v1 row_bcast:31 row_mask:0xf bank_mask:0xf bound_ctrl:1
	ds_bpermute_b32 v1, v4, v1
	s_and_saveexec_b64 s[2:3], vcc
	s_cbranch_execz .LBB434_138
; %bb.137:
	v_lshrrev_b32_e32 v4, 4, v0
	v_and_b32_e32 v4, 4, v4
	s_waitcnt lgkmcnt(0)
	ds_write_b32 v4, v1 offset:40
.LBB434_138:
	s_or_b64 exec, exec, s[2:3]
	v_cmp_gt_u32_e32 vcc, 64, v0
	s_waitcnt lgkmcnt(0)
	s_barrier
	s_and_saveexec_b64 s[2:3], vcc
	s_cbranch_execz .LBB434_140
; %bb.139:
	v_and_b32_e32 v1, 1, v2
	v_lshlrev_b32_e32 v1, 2, v1
	ds_read_b32 v1, v1 offset:40
	v_or_b32_e32 v2, 4, v3
	s_waitcnt lgkmcnt(0)
	ds_bpermute_b32 v2, v2, v1
	s_waitcnt lgkmcnt(0)
	v_max_u32_e32 v1, v1, v2
.LBB434_140:
	s_or_b64 exec, exec, s[2:3]
	s_branch .LBB434_165
.LBB434_141:
                                        ; implicit-def: $vgpr1
.LBB434_142:
	s_branch .LBB434_224
.LBB434_143:
                                        ; implicit-def: $vgpr1
	s_cbranch_execz .LBB434_165
; %bb.144:
	s_sub_i32 s22, s68, s0
	v_cmp_gt_u32_e32 vcc, s22, v0
                                        ; implicit-def: $vgpr2_vgpr3_vgpr4_vgpr5_vgpr6_vgpr7_vgpr8_vgpr9
	s_and_saveexec_b64 s[0:1], vcc
	s_cbranch_execz .LBB434_146
; %bb.145:
	v_lshlrev_b32_e32 v1, 2, v0
	global_load_dword v2, v1, s[18:19]
	global_load_dword v3, v1, s[16:17]
	s_waitcnt vmcnt(1)
	v_cmp_eq_u32_e32 vcc, s33, v2
	s_waitcnt vmcnt(0)
	v_cndmask_b32_e32 v2, 0, v3, vcc
.LBB434_146:
	s_or_b64 exec, exec, s[0:1]
	v_or_b32_e32 v1, 0x80, v0
	v_cmp_gt_u32_e32 vcc, s22, v1
	s_and_saveexec_b64 s[2:3], vcc
	s_cbranch_execz .LBB434_148
; %bb.147:
	v_lshlrev_b32_e32 v1, 2, v0
	global_load_dword v3, v1, s[18:19] offset:512
	global_load_dword v10, v1, s[16:17] offset:512
	s_waitcnt vmcnt(1)
	v_cmp_eq_u32_e64 s[0:1], s33, v3
	s_waitcnt vmcnt(0)
	v_cndmask_b32_e64 v3, 0, v10, s[0:1]
.LBB434_148:
	s_or_b64 exec, exec, s[2:3]
	v_or_b32_e32 v1, 0x100, v0
	v_cmp_gt_u32_e64 s[0:1], s22, v1
	s_and_saveexec_b64 s[8:9], s[0:1]
	s_cbranch_execz .LBB434_150
; %bb.149:
	v_lshlrev_b32_e32 v1, 2, v0
	global_load_dword v4, v1, s[18:19] offset:1024
	global_load_dword v10, v1, s[16:17] offset:1024
	s_waitcnt vmcnt(1)
	v_cmp_eq_u32_e64 s[2:3], s33, v4
	s_waitcnt vmcnt(0)
	v_cndmask_b32_e64 v4, 0, v10, s[2:3]
.LBB434_150:
	s_or_b64 exec, exec, s[8:9]
	v_or_b32_e32 v1, 0x180, v0
	v_cmp_gt_u32_e64 s[2:3], s22, v1
	s_and_saveexec_b64 s[10:11], s[2:3]
	s_cbranch_execz .LBB434_152
; %bb.151:
	v_lshlrev_b32_e32 v1, 2, v0
	global_load_dword v5, v1, s[18:19] offset:1536
	global_load_dword v10, v1, s[16:17] offset:1536
	s_waitcnt vmcnt(1)
	v_cmp_eq_u32_e64 s[8:9], s33, v5
	s_waitcnt vmcnt(0)
	v_cndmask_b32_e64 v5, 0, v10, s[8:9]
.LBB434_152:
	s_or_b64 exec, exec, s[10:11]
	v_or_b32_e32 v1, 0x200, v0
	v_cmp_gt_u32_e64 s[8:9], s22, v1
	s_and_saveexec_b64 s[12:13], s[8:9]
	s_cbranch_execz .LBB434_154
; %bb.153:
	v_lshlrev_b32_e32 v1, 2, v0
	global_load_dword v6, v1, s[18:19] offset:2048
	global_load_dword v10, v1, s[16:17] offset:2048
	s_waitcnt vmcnt(1)
	v_cmp_eq_u32_e64 s[10:11], s33, v6
	s_waitcnt vmcnt(0)
	v_cndmask_b32_e64 v6, 0, v10, s[10:11]
.LBB434_154:
	s_or_b64 exec, exec, s[12:13]
	v_or_b32_e32 v1, 0x280, v0
	v_cmp_gt_u32_e64 s[10:11], s22, v1
	s_and_saveexec_b64 s[14:15], s[10:11]
	s_cbranch_execz .LBB434_156
; %bb.155:
	v_lshlrev_b32_e32 v1, 2, v0
	global_load_dword v7, v1, s[18:19] offset:2560
	global_load_dword v10, v1, s[16:17] offset:2560
	s_waitcnt vmcnt(1)
	v_cmp_eq_u32_e64 s[12:13], s33, v7
	s_waitcnt vmcnt(0)
	v_cndmask_b32_e64 v7, 0, v10, s[12:13]
.LBB434_156:
	s_or_b64 exec, exec, s[14:15]
	v_or_b32_e32 v1, 0x300, v0
	v_cmp_gt_u32_e64 s[12:13], s22, v1
	s_and_saveexec_b64 s[20:21], s[12:13]
	s_cbranch_execz .LBB434_158
; %bb.157:
	v_lshlrev_b32_e32 v1, 2, v0
	global_load_dword v8, v1, s[18:19] offset:3072
	global_load_dword v10, v1, s[16:17] offset:3072
	s_waitcnt vmcnt(1)
	v_cmp_eq_u32_e64 s[14:15], s33, v8
	s_waitcnt vmcnt(0)
	v_cndmask_b32_e64 v8, 0, v10, s[14:15]
.LBB434_158:
	s_or_b64 exec, exec, s[20:21]
	v_or_b32_e32 v1, 0x380, v0
	v_cmp_gt_u32_e64 s[14:15], s22, v1
	s_and_saveexec_b64 s[20:21], s[14:15]
	s_cbranch_execz .LBB434_160
; %bb.159:
	v_lshlrev_b32_e32 v1, 2, v0
	global_load_dword v9, v1, s[18:19] offset:3584
	global_load_dword v10, v1, s[16:17] offset:3584
	s_waitcnt vmcnt(1)
	v_cmp_eq_u32_e64 s[16:17], s33, v9
	s_waitcnt vmcnt(0)
	v_cndmask_b32_e64 v9, 0, v10, s[16:17]
.LBB434_160:
	s_or_b64 exec, exec, s[20:21]
	v_max_u32_e32 v1, v2, v3
	v_cndmask_b32_e32 v1, v2, v1, vcc
	v_max_u32_e32 v2, v1, v4
	v_cndmask_b32_e64 v1, v1, v2, s[0:1]
	v_max_u32_e32 v2, v1, v5
	v_cndmask_b32_e64 v1, v1, v2, s[2:3]
	;; [unrolled: 2-line block ×6, first 2 shown]
	v_mbcnt_lo_u32_b32 v2, -1, 0
	v_mbcnt_hi_u32_b32 v2, -1, v2
	v_and_b32_e32 v3, 63, v2
	v_cmp_ne_u32_e32 vcc, 63, v3
	v_addc_co_u32_e32 v4, vcc, 0, v2, vcc
	v_lshlrev_b32_e32 v4, 2, v4
	ds_bpermute_b32 v4, v4, v1
	s_min_u32 s2, s22, 0x80
	v_and_b32_e32 v5, 64, v0
	v_sub_u32_e64 v5, s2, v5 clamp
	v_add_u32_e32 v6, 1, v3
	s_waitcnt lgkmcnt(0)
	v_max_u32_e32 v4, v1, v4
	v_cmp_lt_u32_e32 vcc, v6, v5
	v_cndmask_b32_e32 v1, v1, v4, vcc
	v_cmp_gt_u32_e32 vcc, 62, v3
	v_cndmask_b32_e64 v4, 0, 1, vcc
	v_lshlrev_b32_e32 v4, 1, v4
	v_add_lshl_u32 v4, v4, v2, 2
	ds_bpermute_b32 v4, v4, v1
	v_add_u32_e32 v6, 2, v3
	v_cmp_lt_u32_e32 vcc, v6, v5
	v_add_u32_e32 v6, 4, v3
	s_waitcnt lgkmcnt(0)
	v_max_u32_e32 v4, v1, v4
	v_cndmask_b32_e32 v1, v1, v4, vcc
	v_cmp_gt_u32_e32 vcc, 60, v3
	v_cndmask_b32_e64 v4, 0, 1, vcc
	v_lshlrev_b32_e32 v4, 2, v4
	v_add_lshl_u32 v4, v4, v2, 2
	ds_bpermute_b32 v4, v4, v1
	v_cmp_lt_u32_e32 vcc, v6, v5
	v_add_u32_e32 v6, 8, v3
	s_waitcnt lgkmcnt(0)
	v_max_u32_e32 v4, v1, v4
	v_cndmask_b32_e32 v1, v1, v4, vcc
	v_cmp_gt_u32_e32 vcc, 56, v3
	v_cndmask_b32_e64 v4, 0, 1, vcc
	v_lshlrev_b32_e32 v4, 3, v4
	v_add_lshl_u32 v4, v4, v2, 2
	ds_bpermute_b32 v4, v4, v1
	;; [unrolled: 10-line block ×3, first 2 shown]
	v_cmp_lt_u32_e32 vcc, v6, v5
	s_waitcnt lgkmcnt(0)
	v_max_u32_e32 v4, v1, v4
	v_cndmask_b32_e32 v1, v1, v4, vcc
	v_cmp_gt_u32_e32 vcc, 32, v3
	v_cndmask_b32_e64 v4, 0, 1, vcc
	v_lshlrev_b32_e32 v4, 5, v4
	v_add_lshl_u32 v4, v4, v2, 2
	ds_bpermute_b32 v4, v4, v1
	v_add_u32_e32 v3, 32, v3
	v_cmp_lt_u32_e32 vcc, v3, v5
	s_waitcnt lgkmcnt(0)
	v_max_u32_e32 v4, v1, v4
	v_cndmask_b32_e32 v1, v1, v4, vcc
	v_cmp_eq_u32_e32 vcc, 0, v2
	s_and_saveexec_b64 s[0:1], vcc
	s_cbranch_execz .LBB434_162
; %bb.161:
	v_lshrrev_b32_e32 v3, 4, v0
	v_and_b32_e32 v3, 4, v3
	ds_write_b32 v3, v1 offset:48
.LBB434_162:
	s_or_b64 exec, exec, s[0:1]
	v_cmp_gt_u32_e32 vcc, 2, v0
	s_waitcnt lgkmcnt(0)
	s_barrier
	s_and_saveexec_b64 s[0:1], vcc
	s_cbranch_execz .LBB434_164
; %bb.163:
	v_lshlrev_b32_e32 v1, 2, v2
	ds_read_b32 v3, v1 offset:48
	v_or_b32_e32 v1, 4, v1
	s_add_i32 s2, s2, 63
	v_and_b32_e32 v2, 1, v2
	s_lshr_b32 s2, s2, 6
	s_waitcnt lgkmcnt(0)
	ds_bpermute_b32 v1, v1, v3
	v_add_u32_e32 v2, 1, v2
	v_cmp_gt_u32_e32 vcc, s2, v2
	s_waitcnt lgkmcnt(0)
	v_max_u32_e32 v1, v3, v1
	v_cndmask_b32_e32 v1, v3, v1, vcc
.LBB434_164:
	s_or_b64 exec, exec, s[0:1]
.LBB434_165:
	v_cmp_eq_u32_e64 s[0:1], 0, v0
	s_branch .LBB434_224
.LBB434_166:
	s_cmp_gt_i32 s82, 1
	s_cbranch_scc0 .LBB434_175
; %bb.167:
	s_cmp_gt_i32 s82, 3
	s_cbranch_scc0 .LBB434_176
; %bb.168:
	s_cmp_eq_u32 s82, 4
	s_cbranch_scc0 .LBB434_177
; %bb.169:
	s_mov_b32 s7, 0
	s_lshl_b32 s0, s6, 9
	s_mov_b32 s1, s7
	s_lshr_b64 s[2:3], s[68:69], 9
	s_lshl_b64 s[10:11], s[0:1], 2
	s_add_u32 s8, s72, s10
	s_addc_u32 s9, s73, s11
	s_add_u32 s10, s74, s10
	s_addc_u32 s11, s75, s11
	s_cmp_lg_u64 s[2:3], s[6:7]
	s_cbranch_scc0 .LBB434_179
; %bb.170:
	v_lshlrev_b32_e32 v1, 2, v0
	global_load_dword v4, v1, s[10:11]
	global_load_dword v5, v1, s[8:9]
	global_load_dword v6, v1, s[10:11] offset:512
	global_load_dword v7, v1, s[8:9] offset:512
	;; [unrolled: 1-line block ×6, first 2 shown]
	v_mbcnt_lo_u32_b32 v1, -1, 0
	v_mbcnt_hi_u32_b32 v2, -1, v1
	v_lshlrev_b32_e32 v3, 2, v2
	s_waitcnt vmcnt(7)
	v_cmp_eq_u32_e32 vcc, s33, v4
	s_waitcnt vmcnt(6)
	v_cndmask_b32_e32 v1, 0, v5, vcc
	s_waitcnt vmcnt(5)
	v_cmp_eq_u32_e32 vcc, s33, v6
	s_waitcnt vmcnt(4)
	v_cndmask_b32_e32 v4, 0, v7, vcc
	;; [unrolled: 4-line block ×4, first 2 shown]
	v_max_u32_e32 v1, v1, v4
	v_max3_u32 v1, v1, v5, v6
	v_or_b32_e32 v4, 0xfc, v3
	v_cmp_eq_u32_e32 vcc, 0, v2
	v_max_u32_dpp v1, v1, v1 quad_perm:[1,0,3,2] row_mask:0xf bank_mask:0xf bound_ctrl:1
	s_nop 1
	v_max_u32_dpp v1, v1, v1 quad_perm:[2,3,0,1] row_mask:0xf bank_mask:0xf bound_ctrl:1
	s_nop 1
	v_max_u32_dpp v1, v1, v1 row_ror:4 row_mask:0xf bank_mask:0xf bound_ctrl:1
	s_nop 1
	v_max_u32_dpp v1, v1, v1 row_ror:8 row_mask:0xf bank_mask:0xf bound_ctrl:1
	s_nop 1
	v_max_u32_dpp v1, v1, v1 row_bcast:15 row_mask:0xf bank_mask:0xf bound_ctrl:1
	s_nop 1
	v_max_u32_dpp v1, v1, v1 row_bcast:31 row_mask:0xf bank_mask:0xf bound_ctrl:1
	ds_bpermute_b32 v1, v4, v1
	s_and_saveexec_b64 s[2:3], vcc
	s_cbranch_execz .LBB434_172
; %bb.171:
	v_lshrrev_b32_e32 v4, 4, v0
	v_and_b32_e32 v4, 4, v4
	s_waitcnt lgkmcnt(0)
	ds_write_b32 v4, v1 offset:32
.LBB434_172:
	s_or_b64 exec, exec, s[2:3]
	v_cmp_gt_u32_e32 vcc, 64, v0
	s_waitcnt lgkmcnt(0)
	s_barrier
	s_and_saveexec_b64 s[2:3], vcc
	s_cbranch_execz .LBB434_174
; %bb.173:
	v_and_b32_e32 v1, 1, v2
	v_lshlrev_b32_e32 v1, 2, v1
	ds_read_b32 v1, v1 offset:32
	v_or_b32_e32 v2, 4, v3
	s_waitcnt lgkmcnt(0)
	ds_bpermute_b32 v2, v2, v1
	s_waitcnt lgkmcnt(0)
	v_max_u32_e32 v1, v1, v2
.LBB434_174:
	s_or_b64 exec, exec, s[2:3]
	s_mov_b64 s[2:3], 0
	s_branch .LBB434_180
.LBB434_175:
                                        ; implicit-def: $vgpr1
	s_cbranch_execnz .LBB434_215
	s_branch .LBB434_224
.LBB434_176:
                                        ; implicit-def: $vgpr1
	s_cbranch_execz .LBB434_178
	s_branch .LBB434_195
.LBB434_177:
                                        ; implicit-def: $vgpr1
.LBB434_178:
	s_branch .LBB434_224
.LBB434_179:
	s_mov_b64 s[2:3], -1
                                        ; implicit-def: $vgpr1
.LBB434_180:
	s_and_b64 vcc, exec, s[2:3]
	s_cbranch_vccz .LBB434_194
; %bb.181:
	s_sub_i32 s14, s68, s0
	v_cmp_gt_u32_e32 vcc, s14, v0
                                        ; implicit-def: $vgpr2_vgpr3_vgpr4_vgpr5
	s_and_saveexec_b64 s[0:1], vcc
	s_cbranch_execz .LBB434_183
; %bb.182:
	v_lshlrev_b32_e32 v1, 2, v0
	global_load_dword v2, v1, s[10:11]
	global_load_dword v3, v1, s[8:9]
	s_waitcnt vmcnt(1)
	v_cmp_eq_u32_e32 vcc, s33, v2
	s_waitcnt vmcnt(0)
	v_cndmask_b32_e32 v2, 0, v3, vcc
.LBB434_183:
	s_or_b64 exec, exec, s[0:1]
	v_or_b32_e32 v1, 0x80, v0
	v_cmp_gt_u32_e32 vcc, s14, v1
	s_and_saveexec_b64 s[2:3], vcc
	s_cbranch_execz .LBB434_185
; %bb.184:
	v_lshlrev_b32_e32 v1, 2, v0
	global_load_dword v3, v1, s[10:11] offset:512
	global_load_dword v6, v1, s[8:9] offset:512
	s_waitcnt vmcnt(1)
	v_cmp_eq_u32_e64 s[0:1], s33, v3
	s_waitcnt vmcnt(0)
	v_cndmask_b32_e64 v3, 0, v6, s[0:1]
.LBB434_185:
	s_or_b64 exec, exec, s[2:3]
	v_or_b32_e32 v1, 0x100, v0
	v_cmp_gt_u32_e64 s[0:1], s14, v1
	s_and_saveexec_b64 s[12:13], s[0:1]
	s_cbranch_execz .LBB434_187
; %bb.186:
	v_lshlrev_b32_e32 v1, 2, v0
	global_load_dword v4, v1, s[10:11] offset:1024
	global_load_dword v6, v1, s[8:9] offset:1024
	s_waitcnt vmcnt(1)
	v_cmp_eq_u32_e64 s[2:3], s33, v4
	s_waitcnt vmcnt(0)
	v_cndmask_b32_e64 v4, 0, v6, s[2:3]
.LBB434_187:
	s_or_b64 exec, exec, s[12:13]
	v_or_b32_e32 v1, 0x180, v0
	v_cmp_gt_u32_e64 s[2:3], s14, v1
	s_and_saveexec_b64 s[12:13], s[2:3]
	s_cbranch_execz .LBB434_189
; %bb.188:
	v_lshlrev_b32_e32 v1, 2, v0
	global_load_dword v5, v1, s[10:11] offset:1536
	global_load_dword v6, v1, s[8:9] offset:1536
	s_waitcnt vmcnt(1)
	v_cmp_eq_u32_e64 s[8:9], s33, v5
	s_waitcnt vmcnt(0)
	v_cndmask_b32_e64 v5, 0, v6, s[8:9]
.LBB434_189:
	s_or_b64 exec, exec, s[12:13]
	v_max_u32_e32 v1, v2, v3
	v_cndmask_b32_e32 v1, v2, v1, vcc
	v_max_u32_e32 v2, v1, v4
	v_cndmask_b32_e64 v1, v1, v2, s[0:1]
	v_max_u32_e32 v2, v1, v5
	v_cndmask_b32_e64 v1, v1, v2, s[2:3]
	v_mbcnt_lo_u32_b32 v2, -1, 0
	v_mbcnt_hi_u32_b32 v2, -1, v2
	v_and_b32_e32 v3, 63, v2
	v_cmp_ne_u32_e32 vcc, 63, v3
	v_addc_co_u32_e32 v4, vcc, 0, v2, vcc
	v_lshlrev_b32_e32 v4, 2, v4
	ds_bpermute_b32 v4, v4, v1
	s_min_u32 s2, s14, 0x80
	v_and_b32_e32 v5, 64, v0
	v_sub_u32_e64 v5, s2, v5 clamp
	v_add_u32_e32 v6, 1, v3
	s_waitcnt lgkmcnt(0)
	v_max_u32_e32 v4, v1, v4
	v_cmp_lt_u32_e32 vcc, v6, v5
	v_cndmask_b32_e32 v1, v1, v4, vcc
	v_cmp_gt_u32_e32 vcc, 62, v3
	v_cndmask_b32_e64 v4, 0, 1, vcc
	v_lshlrev_b32_e32 v4, 1, v4
	v_add_lshl_u32 v4, v4, v2, 2
	ds_bpermute_b32 v4, v4, v1
	v_add_u32_e32 v6, 2, v3
	v_cmp_lt_u32_e32 vcc, v6, v5
	v_add_u32_e32 v6, 4, v3
	s_waitcnt lgkmcnt(0)
	v_max_u32_e32 v4, v1, v4
	v_cndmask_b32_e32 v1, v1, v4, vcc
	v_cmp_gt_u32_e32 vcc, 60, v3
	v_cndmask_b32_e64 v4, 0, 1, vcc
	v_lshlrev_b32_e32 v4, 2, v4
	v_add_lshl_u32 v4, v4, v2, 2
	ds_bpermute_b32 v4, v4, v1
	v_cmp_lt_u32_e32 vcc, v6, v5
	v_add_u32_e32 v6, 8, v3
	s_waitcnt lgkmcnt(0)
	v_max_u32_e32 v4, v1, v4
	v_cndmask_b32_e32 v1, v1, v4, vcc
	v_cmp_gt_u32_e32 vcc, 56, v3
	v_cndmask_b32_e64 v4, 0, 1, vcc
	v_lshlrev_b32_e32 v4, 3, v4
	v_add_lshl_u32 v4, v4, v2, 2
	ds_bpermute_b32 v4, v4, v1
	;; [unrolled: 10-line block ×3, first 2 shown]
	v_cmp_lt_u32_e32 vcc, v6, v5
	s_waitcnt lgkmcnt(0)
	v_max_u32_e32 v4, v1, v4
	v_cndmask_b32_e32 v1, v1, v4, vcc
	v_cmp_gt_u32_e32 vcc, 32, v3
	v_cndmask_b32_e64 v4, 0, 1, vcc
	v_lshlrev_b32_e32 v4, 5, v4
	v_add_lshl_u32 v4, v4, v2, 2
	ds_bpermute_b32 v4, v4, v1
	v_add_u32_e32 v3, 32, v3
	v_cmp_lt_u32_e32 vcc, v3, v5
	s_waitcnt lgkmcnt(0)
	v_max_u32_e32 v4, v1, v4
	v_cndmask_b32_e32 v1, v1, v4, vcc
	v_cmp_eq_u32_e32 vcc, 0, v2
	s_and_saveexec_b64 s[0:1], vcc
	s_cbranch_execz .LBB434_191
; %bb.190:
	v_lshrrev_b32_e32 v3, 4, v0
	v_and_b32_e32 v3, 4, v3
	ds_write_b32 v3, v1 offset:48
.LBB434_191:
	s_or_b64 exec, exec, s[0:1]
	v_cmp_gt_u32_e32 vcc, 2, v0
	s_waitcnt lgkmcnt(0)
	s_barrier
	s_and_saveexec_b64 s[0:1], vcc
	s_cbranch_execz .LBB434_193
; %bb.192:
	v_lshlrev_b32_e32 v1, 2, v2
	ds_read_b32 v3, v1 offset:48
	v_or_b32_e32 v1, 4, v1
	s_add_i32 s2, s2, 63
	v_and_b32_e32 v2, 1, v2
	s_lshr_b32 s2, s2, 6
	s_waitcnt lgkmcnt(0)
	ds_bpermute_b32 v1, v1, v3
	v_add_u32_e32 v2, 1, v2
	v_cmp_gt_u32_e32 vcc, s2, v2
	s_waitcnt lgkmcnt(0)
	v_max_u32_e32 v1, v3, v1
	v_cndmask_b32_e32 v1, v3, v1, vcc
.LBB434_193:
	s_or_b64 exec, exec, s[0:1]
.LBB434_194:
	v_cmp_eq_u32_e64 s[0:1], 0, v0
	s_branch .LBB434_178
.LBB434_195:
	s_cmp_eq_u32 s82, 2
	s_cbranch_scc0 .LBB434_202
; %bb.196:
	s_mov_b32 s7, 0
	s_lshl_b32 s8, s6, 8
	s_mov_b32 s9, s7
	s_lshr_b64 s[10:11], s[68:69], 8
	s_lshl_b64 s[2:3], s[8:9], 2
	s_add_u32 s0, s72, s2
	s_addc_u32 s1, s73, s3
	s_add_u32 s2, s74, s2
	s_addc_u32 s3, s75, s3
	s_cmp_lg_u64 s[10:11], s[6:7]
	s_cbranch_scc0 .LBB434_203
; %bb.197:
	v_lshlrev_b32_e32 v1, 2, v0
	global_load_dword v4, v1, s[2:3]
	global_load_dword v5, v1, s[0:1]
	global_load_dword v6, v1, s[2:3] offset:512
	global_load_dword v7, v1, s[0:1] offset:512
	v_mbcnt_lo_u32_b32 v1, -1, 0
	v_mbcnt_hi_u32_b32 v2, -1, v1
	v_lshlrev_b32_e32 v3, 2, v2
	s_waitcnt vmcnt(3)
	v_cmp_eq_u32_e32 vcc, s33, v4
	s_waitcnt vmcnt(2)
	v_cndmask_b32_e32 v1, 0, v5, vcc
	s_waitcnt vmcnt(1)
	v_cmp_eq_u32_e32 vcc, s33, v6
	s_waitcnt vmcnt(0)
	v_cndmask_b32_e32 v4, 0, v7, vcc
	v_max_u32_e32 v1, v1, v4
	v_or_b32_e32 v4, 0xfc, v3
	v_cmp_eq_u32_e32 vcc, 0, v2
	v_max_u32_dpp v1, v1, v1 quad_perm:[1,0,3,2] row_mask:0xf bank_mask:0xf bound_ctrl:1
	s_nop 1
	v_max_u32_dpp v1, v1, v1 quad_perm:[2,3,0,1] row_mask:0xf bank_mask:0xf bound_ctrl:1
	s_nop 1
	v_max_u32_dpp v1, v1, v1 row_ror:4 row_mask:0xf bank_mask:0xf bound_ctrl:1
	s_nop 1
	v_max_u32_dpp v1, v1, v1 row_ror:8 row_mask:0xf bank_mask:0xf bound_ctrl:1
	s_nop 1
	v_max_u32_dpp v1, v1, v1 row_bcast:15 row_mask:0xf bank_mask:0xf bound_ctrl:1
	s_nop 1
	v_max_u32_dpp v1, v1, v1 row_bcast:31 row_mask:0xf bank_mask:0xf bound_ctrl:1
	ds_bpermute_b32 v1, v4, v1
	s_and_saveexec_b64 s[10:11], vcc
	s_cbranch_execz .LBB434_199
; %bb.198:
	v_lshrrev_b32_e32 v4, 4, v0
	v_and_b32_e32 v4, 4, v4
	s_waitcnt lgkmcnt(0)
	ds_write_b32 v4, v1 offset:16
.LBB434_199:
	s_or_b64 exec, exec, s[10:11]
	v_cmp_gt_u32_e32 vcc, 64, v0
	s_waitcnt lgkmcnt(0)
	s_barrier
	s_and_saveexec_b64 s[10:11], vcc
	s_cbranch_execz .LBB434_201
; %bb.200:
	v_and_b32_e32 v1, 1, v2
	v_lshlrev_b32_e32 v1, 2, v1
	ds_read_b32 v1, v1 offset:16
	v_or_b32_e32 v2, 4, v3
	s_waitcnt lgkmcnt(0)
	ds_bpermute_b32 v2, v2, v1
	s_waitcnt lgkmcnt(0)
	v_max_u32_e32 v1, v1, v2
.LBB434_201:
	s_or_b64 exec, exec, s[10:11]
	s_mov_b64 s[10:11], 0
	s_branch .LBB434_204
.LBB434_202:
                                        ; implicit-def: $vgpr1
	s_branch .LBB434_224
.LBB434_203:
	s_mov_b64 s[10:11], -1
                                        ; implicit-def: $vgpr1
.LBB434_204:
	s_and_b64 vcc, exec, s[10:11]
	s_cbranch_vccz .LBB434_214
; %bb.205:
	s_sub_i32 s10, s68, s8
	v_cmp_gt_u32_e32 vcc, s10, v0
                                        ; implicit-def: $vgpr2_vgpr3
	s_and_saveexec_b64 s[8:9], vcc
	s_cbranch_execz .LBB434_207
; %bb.206:
	v_lshlrev_b32_e32 v1, 2, v0
	global_load_dword v2, v1, s[2:3]
	global_load_dword v3, v1, s[0:1]
	s_waitcnt vmcnt(1)
	v_cmp_eq_u32_e32 vcc, s33, v2
	s_waitcnt vmcnt(0)
	v_cndmask_b32_e32 v2, 0, v3, vcc
.LBB434_207:
	s_or_b64 exec, exec, s[8:9]
	v_or_b32_e32 v1, 0x80, v0
	v_cmp_gt_u32_e32 vcc, s10, v1
	s_and_saveexec_b64 s[8:9], vcc
	s_cbranch_execz .LBB434_209
; %bb.208:
	v_lshlrev_b32_e32 v1, 2, v0
	global_load_dword v3, v1, s[2:3] offset:512
	global_load_dword v4, v1, s[0:1] offset:512
	s_waitcnt vmcnt(1)
	v_cmp_eq_u32_e64 s[0:1], s33, v3
	s_waitcnt vmcnt(0)
	v_cndmask_b32_e64 v3, 0, v4, s[0:1]
.LBB434_209:
	s_or_b64 exec, exec, s[8:9]
	v_max_u32_e32 v1, v2, v3
	v_cndmask_b32_e32 v1, v2, v1, vcc
	v_mbcnt_lo_u32_b32 v2, -1, 0
	v_mbcnt_hi_u32_b32 v2, -1, v2
	v_and_b32_e32 v3, 63, v2
	v_cmp_ne_u32_e32 vcc, 63, v3
	v_addc_co_u32_e32 v4, vcc, 0, v2, vcc
	v_lshlrev_b32_e32 v4, 2, v4
	ds_bpermute_b32 v4, v4, v1
	s_min_u32 s2, s10, 0x80
	v_and_b32_e32 v5, 64, v0
	v_sub_u32_e64 v5, s2, v5 clamp
	v_add_u32_e32 v6, 1, v3
	s_waitcnt lgkmcnt(0)
	v_max_u32_e32 v4, v1, v4
	v_cmp_lt_u32_e32 vcc, v6, v5
	v_cndmask_b32_e32 v1, v1, v4, vcc
	v_cmp_gt_u32_e32 vcc, 62, v3
	v_cndmask_b32_e64 v4, 0, 1, vcc
	v_lshlrev_b32_e32 v4, 1, v4
	v_add_lshl_u32 v4, v4, v2, 2
	ds_bpermute_b32 v4, v4, v1
	v_add_u32_e32 v6, 2, v3
	v_cmp_lt_u32_e32 vcc, v6, v5
	v_add_u32_e32 v6, 4, v3
	s_waitcnt lgkmcnt(0)
	v_max_u32_e32 v4, v1, v4
	v_cndmask_b32_e32 v1, v1, v4, vcc
	v_cmp_gt_u32_e32 vcc, 60, v3
	v_cndmask_b32_e64 v4, 0, 1, vcc
	v_lshlrev_b32_e32 v4, 2, v4
	v_add_lshl_u32 v4, v4, v2, 2
	ds_bpermute_b32 v4, v4, v1
	v_cmp_lt_u32_e32 vcc, v6, v5
	v_add_u32_e32 v6, 8, v3
	s_waitcnt lgkmcnt(0)
	v_max_u32_e32 v4, v1, v4
	v_cndmask_b32_e32 v1, v1, v4, vcc
	v_cmp_gt_u32_e32 vcc, 56, v3
	v_cndmask_b32_e64 v4, 0, 1, vcc
	v_lshlrev_b32_e32 v4, 3, v4
	v_add_lshl_u32 v4, v4, v2, 2
	ds_bpermute_b32 v4, v4, v1
	;; [unrolled: 10-line block ×3, first 2 shown]
	v_cmp_lt_u32_e32 vcc, v6, v5
	s_waitcnt lgkmcnt(0)
	v_max_u32_e32 v4, v1, v4
	v_cndmask_b32_e32 v1, v1, v4, vcc
	v_cmp_gt_u32_e32 vcc, 32, v3
	v_cndmask_b32_e64 v4, 0, 1, vcc
	v_lshlrev_b32_e32 v4, 5, v4
	v_add_lshl_u32 v4, v4, v2, 2
	ds_bpermute_b32 v4, v4, v1
	v_add_u32_e32 v3, 32, v3
	v_cmp_lt_u32_e32 vcc, v3, v5
	s_waitcnt lgkmcnt(0)
	v_max_u32_e32 v4, v1, v4
	v_cndmask_b32_e32 v1, v1, v4, vcc
	v_cmp_eq_u32_e32 vcc, 0, v2
	s_and_saveexec_b64 s[0:1], vcc
	s_cbranch_execz .LBB434_211
; %bb.210:
	v_lshrrev_b32_e32 v3, 4, v0
	v_and_b32_e32 v3, 4, v3
	ds_write_b32 v3, v1 offset:48
.LBB434_211:
	s_or_b64 exec, exec, s[0:1]
	v_cmp_gt_u32_e32 vcc, 2, v0
	s_waitcnt lgkmcnt(0)
	s_barrier
	s_and_saveexec_b64 s[0:1], vcc
	s_cbranch_execz .LBB434_213
; %bb.212:
	v_lshlrev_b32_e32 v1, 2, v2
	ds_read_b32 v3, v1 offset:48
	v_or_b32_e32 v1, 4, v1
	s_add_i32 s2, s2, 63
	v_and_b32_e32 v2, 1, v2
	s_lshr_b32 s2, s2, 6
	s_waitcnt lgkmcnt(0)
	ds_bpermute_b32 v1, v1, v3
	v_add_u32_e32 v2, 1, v2
	v_cmp_gt_u32_e32 vcc, s2, v2
	s_waitcnt lgkmcnt(0)
	v_max_u32_e32 v1, v3, v1
	v_cndmask_b32_e32 v1, v3, v1, vcc
.LBB434_213:
	s_or_b64 exec, exec, s[0:1]
.LBB434_214:
	v_cmp_eq_u32_e64 s[0:1], 0, v0
	s_branch .LBB434_224
.LBB434_215:
	s_cmp_eq_u32 s82, 1
	s_cbranch_scc0 .LBB434_223
; %bb.216:
	s_mov_b32 s1, 0
	s_lshl_b32 s0, s6, 7
	s_mov_b32 s7, s1
	s_lshr_b64 s[2:3], s[68:69], 7
	s_cmp_lg_u64 s[2:3], s[6:7]
	v_mbcnt_lo_u32_b32 v2, -1, 0
	s_cbranch_scc0 .LBB434_227
; %bb.217:
	s_lshl_b64 s[2:3], s[0:1], 2
	s_add_u32 s8, s72, s2
	s_addc_u32 s9, s73, s3
	s_add_u32 s2, s74, s2
	s_addc_u32 s3, s75, s3
	v_lshlrev_b32_e32 v1, 2, v0
	global_load_dword v5, v1, s[2:3]
	global_load_dword v6, v1, s[8:9]
	v_mbcnt_hi_u32_b32 v3, -1, v2
	v_lshlrev_b32_e32 v4, 2, v3
	s_waitcnt vmcnt(1)
	v_cmp_eq_u32_e32 vcc, s33, v5
	s_waitcnt vmcnt(0)
	v_cndmask_b32_e32 v1, 0, v6, vcc
	v_or_b32_e32 v5, 0xfc, v4
	v_cmp_eq_u32_e32 vcc, 0, v3
	v_max_u32_dpp v1, v1, v1 quad_perm:[1,0,3,2] row_mask:0xf bank_mask:0xf bound_ctrl:1
	s_nop 1
	v_max_u32_dpp v1, v1, v1 quad_perm:[2,3,0,1] row_mask:0xf bank_mask:0xf bound_ctrl:1
	s_nop 1
	v_max_u32_dpp v1, v1, v1 row_ror:4 row_mask:0xf bank_mask:0xf bound_ctrl:1
	s_nop 1
	v_max_u32_dpp v1, v1, v1 row_ror:8 row_mask:0xf bank_mask:0xf bound_ctrl:1
	s_nop 1
	v_max_u32_dpp v1, v1, v1 row_bcast:15 row_mask:0xf bank_mask:0xf bound_ctrl:1
	s_nop 1
	v_max_u32_dpp v1, v1, v1 row_bcast:31 row_mask:0xf bank_mask:0xf bound_ctrl:1
	ds_bpermute_b32 v1, v5, v1
	s_and_saveexec_b64 s[2:3], vcc
	s_cbranch_execz .LBB434_219
; %bb.218:
	v_lshrrev_b32_e32 v5, 4, v0
	v_and_b32_e32 v5, 4, v5
	s_waitcnt lgkmcnt(0)
	ds_write_b32 v5, v1 offset:8
.LBB434_219:
	s_or_b64 exec, exec, s[2:3]
	v_cmp_gt_u32_e32 vcc, 64, v0
	s_waitcnt lgkmcnt(0)
	s_barrier
	s_and_saveexec_b64 s[2:3], vcc
	s_cbranch_execz .LBB434_221
; %bb.220:
	v_and_b32_e32 v1, 1, v3
	v_lshlrev_b32_e32 v1, 2, v1
	ds_read_b32 v1, v1 offset:8
	v_or_b32_e32 v3, 4, v4
	s_waitcnt lgkmcnt(0)
	ds_bpermute_b32 v3, v3, v1
	s_waitcnt lgkmcnt(0)
	v_max_u32_e32 v1, v1, v3
.LBB434_221:
	s_or_b64 exec, exec, s[2:3]
.LBB434_222:
	v_cmp_eq_u32_e64 s[0:1], 0, v0
	s_and_saveexec_b64 s[2:3], s[0:1]
	s_cbranch_execnz .LBB434_225
	s_branch .LBB434_226
.LBB434_223:
                                        ; implicit-def: $vgpr1
                                        ; implicit-def: $sgpr6_sgpr7
.LBB434_224:
	s_and_saveexec_b64 s[2:3], s[0:1]
	s_cbranch_execz .LBB434_226
.LBB434_225:
	s_load_dword s2, s[4:5], 0x30
	s_lshl_b64 s[0:1], s[6:7], 2
	s_add_u32 s0, s70, s0
	s_addc_u32 s1, s71, s1
	s_cmp_eq_u64 s[68:69], 0
	s_waitcnt lgkmcnt(0)
	v_max_u32_e32 v1, s2, v1
	v_mov_b32_e32 v2, s2
	s_cselect_b64 vcc, -1, 0
	v_mov_b32_e32 v0, 0
	v_cndmask_b32_e32 v1, v1, v2, vcc
	global_store_dword v0, v1, s[0:1]
.LBB434_226:
	s_endpgm
.LBB434_227:
                                        ; implicit-def: $vgpr1
	s_cbranch_execz .LBB434_222
; %bb.228:
	s_sub_i32 s8, s68, s0
	v_cmp_gt_u32_e32 vcc, s8, v0
                                        ; implicit-def: $vgpr1
	s_and_saveexec_b64 s[2:3], vcc
	s_cbranch_execz .LBB434_230
; %bb.229:
	s_lshl_b64 s[0:1], s[0:1], 2
	s_add_u32 s10, s72, s0
	s_addc_u32 s11, s73, s1
	s_add_u32 s0, s74, s0
	v_lshlrev_b32_e32 v1, 2, v0
	s_addc_u32 s1, s75, s1
	global_load_dword v3, v1, s[0:1]
	global_load_dword v4, v1, s[10:11]
	s_waitcnt vmcnt(1)
	v_cmp_eq_u32_e32 vcc, s33, v3
	s_waitcnt vmcnt(0)
	v_cndmask_b32_e32 v1, 0, v4, vcc
.LBB434_230:
	s_or_b64 exec, exec, s[2:3]
	v_mbcnt_hi_u32_b32 v2, -1, v2
	v_and_b32_e32 v3, 63, v2
	v_cmp_ne_u32_e32 vcc, 63, v3
	v_addc_co_u32_e32 v4, vcc, 0, v2, vcc
	v_lshlrev_b32_e32 v4, 2, v4
	ds_bpermute_b32 v4, v4, v1
	s_min_u32 s2, s8, 0x80
	v_and_b32_e32 v5, 64, v0
	v_sub_u32_e64 v5, s2, v5 clamp
	v_add_u32_e32 v6, 1, v3
	s_waitcnt lgkmcnt(0)
	v_max_u32_e32 v4, v1, v4
	v_cmp_lt_u32_e32 vcc, v6, v5
	v_cndmask_b32_e32 v1, v1, v4, vcc
	v_cmp_gt_u32_e32 vcc, 62, v3
	v_cndmask_b32_e64 v4, 0, 1, vcc
	v_lshlrev_b32_e32 v4, 1, v4
	v_add_lshl_u32 v4, v4, v2, 2
	ds_bpermute_b32 v4, v4, v1
	v_add_u32_e32 v6, 2, v3
	v_cmp_lt_u32_e32 vcc, v6, v5
	v_add_u32_e32 v6, 4, v3
	s_waitcnt lgkmcnt(0)
	v_max_u32_e32 v4, v1, v4
	v_cndmask_b32_e32 v1, v1, v4, vcc
	v_cmp_gt_u32_e32 vcc, 60, v3
	v_cndmask_b32_e64 v4, 0, 1, vcc
	v_lshlrev_b32_e32 v4, 2, v4
	v_add_lshl_u32 v4, v4, v2, 2
	ds_bpermute_b32 v4, v4, v1
	v_cmp_lt_u32_e32 vcc, v6, v5
	v_add_u32_e32 v6, 8, v3
	s_waitcnt lgkmcnt(0)
	v_max_u32_e32 v4, v1, v4
	v_cndmask_b32_e32 v1, v1, v4, vcc
	v_cmp_gt_u32_e32 vcc, 56, v3
	v_cndmask_b32_e64 v4, 0, 1, vcc
	v_lshlrev_b32_e32 v4, 3, v4
	v_add_lshl_u32 v4, v4, v2, 2
	ds_bpermute_b32 v4, v4, v1
	;; [unrolled: 10-line block ×3, first 2 shown]
	v_cmp_lt_u32_e32 vcc, v6, v5
	s_waitcnt lgkmcnt(0)
	v_max_u32_e32 v4, v1, v4
	v_cndmask_b32_e32 v1, v1, v4, vcc
	v_cmp_gt_u32_e32 vcc, 32, v3
	v_cndmask_b32_e64 v4, 0, 1, vcc
	v_lshlrev_b32_e32 v4, 5, v4
	v_add_lshl_u32 v4, v4, v2, 2
	ds_bpermute_b32 v4, v4, v1
	v_add_u32_e32 v3, 32, v3
	v_cmp_lt_u32_e32 vcc, v3, v5
	s_waitcnt lgkmcnt(0)
	v_max_u32_e32 v4, v1, v4
	v_cndmask_b32_e32 v1, v1, v4, vcc
	v_cmp_eq_u32_e32 vcc, 0, v2
	s_and_saveexec_b64 s[0:1], vcc
	s_cbranch_execz .LBB434_232
; %bb.231:
	v_lshrrev_b32_e32 v3, 4, v0
	v_and_b32_e32 v3, 4, v3
	ds_write_b32 v3, v1 offset:48
.LBB434_232:
	s_or_b64 exec, exec, s[0:1]
	v_cmp_gt_u32_e32 vcc, 2, v0
	s_waitcnt lgkmcnt(0)
	s_barrier
	s_and_saveexec_b64 s[0:1], vcc
	s_cbranch_execz .LBB434_234
; %bb.233:
	v_lshlrev_b32_e32 v1, 2, v2
	ds_read_b32 v3, v1 offset:48
	v_or_b32_e32 v1, 4, v1
	s_add_i32 s2, s2, 63
	v_and_b32_e32 v2, 1, v2
	s_lshr_b32 s2, s2, 6
	s_waitcnt lgkmcnt(0)
	ds_bpermute_b32 v1, v1, v3
	v_add_u32_e32 v2, 1, v2
	v_cmp_gt_u32_e32 vcc, s2, v2
	s_waitcnt lgkmcnt(0)
	v_max_u32_e32 v1, v3, v1
	v_cndmask_b32_e32 v1, v3, v1, vcc
.LBB434_234:
	s_or_b64 exec, exec, s[0:1]
	v_cmp_eq_u32_e64 s[0:1], 0, v0
	s_and_saveexec_b64 s[2:3], s[0:1]
	s_cbranch_execnz .LBB434_225
	s_branch .LBB434_226
	.section	.rodata,"a",@progbits
	.p2align	6, 0x0
	.amdhsa_kernel _ZN7rocprim17ROCPRIM_400000_NS6detail17trampoline_kernelINS0_14default_configENS1_22reduce_config_selectorIiEEZNS1_11reduce_implILb1ES3_N6thrust23THRUST_200600_302600_NS11hip_rocprim26transform_input_iterator_tIiNS8_12zip_iteratorINS8_5tupleIPjPiNS8_9null_typeESF_SF_SF_SF_SF_SF_SF_EEEEN6dUtils22getValueFilteredByMaskIjiEEEESE_iNS8_7maximumIjEEEE10hipError_tPvRmT1_T2_T3_mT4_P12ihipStream_tbEUlT_E1_NS1_11comp_targetILNS1_3genE4ELNS1_11target_archE910ELNS1_3gpuE8ELNS1_3repE0EEENS1_30default_config_static_selectorELNS0_4arch9wavefront6targetE1EEEvSR_
		.amdhsa_group_segment_fixed_size 56
		.amdhsa_private_segment_fixed_size 0
		.amdhsa_kernarg_size 56
		.amdhsa_user_sgpr_count 6
		.amdhsa_user_sgpr_private_segment_buffer 1
		.amdhsa_user_sgpr_dispatch_ptr 0
		.amdhsa_user_sgpr_queue_ptr 0
		.amdhsa_user_sgpr_kernarg_segment_ptr 1
		.amdhsa_user_sgpr_dispatch_id 0
		.amdhsa_user_sgpr_flat_scratch_init 0
		.amdhsa_user_sgpr_kernarg_preload_length 0
		.amdhsa_user_sgpr_kernarg_preload_offset 0
		.amdhsa_user_sgpr_private_segment_size 0
		.amdhsa_uses_dynamic_stack 0
		.amdhsa_system_sgpr_private_segment_wavefront_offset 0
		.amdhsa_system_sgpr_workgroup_id_x 1
		.amdhsa_system_sgpr_workgroup_id_y 0
		.amdhsa_system_sgpr_workgroup_id_z 0
		.amdhsa_system_sgpr_workgroup_info 0
		.amdhsa_system_vgpr_workitem_id 0
		.amdhsa_next_free_vgpr 64
		.amdhsa_next_free_sgpr 84
		.amdhsa_accum_offset 64
		.amdhsa_reserve_vcc 1
		.amdhsa_reserve_flat_scratch 0
		.amdhsa_float_round_mode_32 0
		.amdhsa_float_round_mode_16_64 0
		.amdhsa_float_denorm_mode_32 3
		.amdhsa_float_denorm_mode_16_64 3
		.amdhsa_dx10_clamp 1
		.amdhsa_ieee_mode 1
		.amdhsa_fp16_overflow 0
		.amdhsa_tg_split 0
		.amdhsa_exception_fp_ieee_invalid_op 0
		.amdhsa_exception_fp_denorm_src 0
		.amdhsa_exception_fp_ieee_div_zero 0
		.amdhsa_exception_fp_ieee_overflow 0
		.amdhsa_exception_fp_ieee_underflow 0
		.amdhsa_exception_fp_ieee_inexact 0
		.amdhsa_exception_int_div_zero 0
	.end_amdhsa_kernel
	.section	.text._ZN7rocprim17ROCPRIM_400000_NS6detail17trampoline_kernelINS0_14default_configENS1_22reduce_config_selectorIiEEZNS1_11reduce_implILb1ES3_N6thrust23THRUST_200600_302600_NS11hip_rocprim26transform_input_iterator_tIiNS8_12zip_iteratorINS8_5tupleIPjPiNS8_9null_typeESF_SF_SF_SF_SF_SF_SF_EEEEN6dUtils22getValueFilteredByMaskIjiEEEESE_iNS8_7maximumIjEEEE10hipError_tPvRmT1_T2_T3_mT4_P12ihipStream_tbEUlT_E1_NS1_11comp_targetILNS1_3genE4ELNS1_11target_archE910ELNS1_3gpuE8ELNS1_3repE0EEENS1_30default_config_static_selectorELNS0_4arch9wavefront6targetE1EEEvSR_,"axG",@progbits,_ZN7rocprim17ROCPRIM_400000_NS6detail17trampoline_kernelINS0_14default_configENS1_22reduce_config_selectorIiEEZNS1_11reduce_implILb1ES3_N6thrust23THRUST_200600_302600_NS11hip_rocprim26transform_input_iterator_tIiNS8_12zip_iteratorINS8_5tupleIPjPiNS8_9null_typeESF_SF_SF_SF_SF_SF_SF_EEEEN6dUtils22getValueFilteredByMaskIjiEEEESE_iNS8_7maximumIjEEEE10hipError_tPvRmT1_T2_T3_mT4_P12ihipStream_tbEUlT_E1_NS1_11comp_targetILNS1_3genE4ELNS1_11target_archE910ELNS1_3gpuE8ELNS1_3repE0EEENS1_30default_config_static_selectorELNS0_4arch9wavefront6targetE1EEEvSR_,comdat
.Lfunc_end434:
	.size	_ZN7rocprim17ROCPRIM_400000_NS6detail17trampoline_kernelINS0_14default_configENS1_22reduce_config_selectorIiEEZNS1_11reduce_implILb1ES3_N6thrust23THRUST_200600_302600_NS11hip_rocprim26transform_input_iterator_tIiNS8_12zip_iteratorINS8_5tupleIPjPiNS8_9null_typeESF_SF_SF_SF_SF_SF_SF_EEEEN6dUtils22getValueFilteredByMaskIjiEEEESE_iNS8_7maximumIjEEEE10hipError_tPvRmT1_T2_T3_mT4_P12ihipStream_tbEUlT_E1_NS1_11comp_targetILNS1_3genE4ELNS1_11target_archE910ELNS1_3gpuE8ELNS1_3repE0EEENS1_30default_config_static_selectorELNS0_4arch9wavefront6targetE1EEEvSR_, .Lfunc_end434-_ZN7rocprim17ROCPRIM_400000_NS6detail17trampoline_kernelINS0_14default_configENS1_22reduce_config_selectorIiEEZNS1_11reduce_implILb1ES3_N6thrust23THRUST_200600_302600_NS11hip_rocprim26transform_input_iterator_tIiNS8_12zip_iteratorINS8_5tupleIPjPiNS8_9null_typeESF_SF_SF_SF_SF_SF_SF_EEEEN6dUtils22getValueFilteredByMaskIjiEEEESE_iNS8_7maximumIjEEEE10hipError_tPvRmT1_T2_T3_mT4_P12ihipStream_tbEUlT_E1_NS1_11comp_targetILNS1_3genE4ELNS1_11target_archE910ELNS1_3gpuE8ELNS1_3repE0EEENS1_30default_config_static_selectorELNS0_4arch9wavefront6targetE1EEEvSR_
                                        ; -- End function
	.section	.AMDGPU.csdata,"",@progbits
; Kernel info:
; codeLenInByte = 12072
; NumSgprs: 88
; NumVgprs: 64
; NumAgprs: 0
; TotalNumVgprs: 64
; ScratchSize: 0
; MemoryBound: 0
; FloatMode: 240
; IeeeMode: 1
; LDSByteSize: 56 bytes/workgroup (compile time only)
; SGPRBlocks: 10
; VGPRBlocks: 7
; NumSGPRsForWavesPerEU: 88
; NumVGPRsForWavesPerEU: 64
; AccumOffset: 64
; Occupancy: 8
; WaveLimiterHint : 0
; COMPUTE_PGM_RSRC2:SCRATCH_EN: 0
; COMPUTE_PGM_RSRC2:USER_SGPR: 6
; COMPUTE_PGM_RSRC2:TRAP_HANDLER: 0
; COMPUTE_PGM_RSRC2:TGID_X_EN: 1
; COMPUTE_PGM_RSRC2:TGID_Y_EN: 0
; COMPUTE_PGM_RSRC2:TGID_Z_EN: 0
; COMPUTE_PGM_RSRC2:TIDIG_COMP_CNT: 0
; COMPUTE_PGM_RSRC3_GFX90A:ACCUM_OFFSET: 15
; COMPUTE_PGM_RSRC3_GFX90A:TG_SPLIT: 0
	.section	.text._ZN7rocprim17ROCPRIM_400000_NS6detail17trampoline_kernelINS0_14default_configENS1_22reduce_config_selectorIiEEZNS1_11reduce_implILb1ES3_N6thrust23THRUST_200600_302600_NS11hip_rocprim26transform_input_iterator_tIiNS8_12zip_iteratorINS8_5tupleIPjPiNS8_9null_typeESF_SF_SF_SF_SF_SF_SF_EEEEN6dUtils22getValueFilteredByMaskIjiEEEESE_iNS8_7maximumIjEEEE10hipError_tPvRmT1_T2_T3_mT4_P12ihipStream_tbEUlT_E1_NS1_11comp_targetILNS1_3genE3ELNS1_11target_archE908ELNS1_3gpuE7ELNS1_3repE0EEENS1_30default_config_static_selectorELNS0_4arch9wavefront6targetE1EEEvSR_,"axG",@progbits,_ZN7rocprim17ROCPRIM_400000_NS6detail17trampoline_kernelINS0_14default_configENS1_22reduce_config_selectorIiEEZNS1_11reduce_implILb1ES3_N6thrust23THRUST_200600_302600_NS11hip_rocprim26transform_input_iterator_tIiNS8_12zip_iteratorINS8_5tupleIPjPiNS8_9null_typeESF_SF_SF_SF_SF_SF_SF_EEEEN6dUtils22getValueFilteredByMaskIjiEEEESE_iNS8_7maximumIjEEEE10hipError_tPvRmT1_T2_T3_mT4_P12ihipStream_tbEUlT_E1_NS1_11comp_targetILNS1_3genE3ELNS1_11target_archE908ELNS1_3gpuE7ELNS1_3repE0EEENS1_30default_config_static_selectorELNS0_4arch9wavefront6targetE1EEEvSR_,comdat
	.protected	_ZN7rocprim17ROCPRIM_400000_NS6detail17trampoline_kernelINS0_14default_configENS1_22reduce_config_selectorIiEEZNS1_11reduce_implILb1ES3_N6thrust23THRUST_200600_302600_NS11hip_rocprim26transform_input_iterator_tIiNS8_12zip_iteratorINS8_5tupleIPjPiNS8_9null_typeESF_SF_SF_SF_SF_SF_SF_EEEEN6dUtils22getValueFilteredByMaskIjiEEEESE_iNS8_7maximumIjEEEE10hipError_tPvRmT1_T2_T3_mT4_P12ihipStream_tbEUlT_E1_NS1_11comp_targetILNS1_3genE3ELNS1_11target_archE908ELNS1_3gpuE7ELNS1_3repE0EEENS1_30default_config_static_selectorELNS0_4arch9wavefront6targetE1EEEvSR_ ; -- Begin function _ZN7rocprim17ROCPRIM_400000_NS6detail17trampoline_kernelINS0_14default_configENS1_22reduce_config_selectorIiEEZNS1_11reduce_implILb1ES3_N6thrust23THRUST_200600_302600_NS11hip_rocprim26transform_input_iterator_tIiNS8_12zip_iteratorINS8_5tupleIPjPiNS8_9null_typeESF_SF_SF_SF_SF_SF_SF_EEEEN6dUtils22getValueFilteredByMaskIjiEEEESE_iNS8_7maximumIjEEEE10hipError_tPvRmT1_T2_T3_mT4_P12ihipStream_tbEUlT_E1_NS1_11comp_targetILNS1_3genE3ELNS1_11target_archE908ELNS1_3gpuE7ELNS1_3repE0EEENS1_30default_config_static_selectorELNS0_4arch9wavefront6targetE1EEEvSR_
	.globl	_ZN7rocprim17ROCPRIM_400000_NS6detail17trampoline_kernelINS0_14default_configENS1_22reduce_config_selectorIiEEZNS1_11reduce_implILb1ES3_N6thrust23THRUST_200600_302600_NS11hip_rocprim26transform_input_iterator_tIiNS8_12zip_iteratorINS8_5tupleIPjPiNS8_9null_typeESF_SF_SF_SF_SF_SF_SF_EEEEN6dUtils22getValueFilteredByMaskIjiEEEESE_iNS8_7maximumIjEEEE10hipError_tPvRmT1_T2_T3_mT4_P12ihipStream_tbEUlT_E1_NS1_11comp_targetILNS1_3genE3ELNS1_11target_archE908ELNS1_3gpuE7ELNS1_3repE0EEENS1_30default_config_static_selectorELNS0_4arch9wavefront6targetE1EEEvSR_
	.p2align	8
	.type	_ZN7rocprim17ROCPRIM_400000_NS6detail17trampoline_kernelINS0_14default_configENS1_22reduce_config_selectorIiEEZNS1_11reduce_implILb1ES3_N6thrust23THRUST_200600_302600_NS11hip_rocprim26transform_input_iterator_tIiNS8_12zip_iteratorINS8_5tupleIPjPiNS8_9null_typeESF_SF_SF_SF_SF_SF_SF_EEEEN6dUtils22getValueFilteredByMaskIjiEEEESE_iNS8_7maximumIjEEEE10hipError_tPvRmT1_T2_T3_mT4_P12ihipStream_tbEUlT_E1_NS1_11comp_targetILNS1_3genE3ELNS1_11target_archE908ELNS1_3gpuE7ELNS1_3repE0EEENS1_30default_config_static_selectorELNS0_4arch9wavefront6targetE1EEEvSR_,@function
_ZN7rocprim17ROCPRIM_400000_NS6detail17trampoline_kernelINS0_14default_configENS1_22reduce_config_selectorIiEEZNS1_11reduce_implILb1ES3_N6thrust23THRUST_200600_302600_NS11hip_rocprim26transform_input_iterator_tIiNS8_12zip_iteratorINS8_5tupleIPjPiNS8_9null_typeESF_SF_SF_SF_SF_SF_SF_EEEEN6dUtils22getValueFilteredByMaskIjiEEEESE_iNS8_7maximumIjEEEE10hipError_tPvRmT1_T2_T3_mT4_P12ihipStream_tbEUlT_E1_NS1_11comp_targetILNS1_3genE3ELNS1_11target_archE908ELNS1_3gpuE7ELNS1_3repE0EEENS1_30default_config_static_selectorELNS0_4arch9wavefront6targetE1EEEvSR_: ; @_ZN7rocprim17ROCPRIM_400000_NS6detail17trampoline_kernelINS0_14default_configENS1_22reduce_config_selectorIiEEZNS1_11reduce_implILb1ES3_N6thrust23THRUST_200600_302600_NS11hip_rocprim26transform_input_iterator_tIiNS8_12zip_iteratorINS8_5tupleIPjPiNS8_9null_typeESF_SF_SF_SF_SF_SF_SF_EEEEN6dUtils22getValueFilteredByMaskIjiEEEESE_iNS8_7maximumIjEEEE10hipError_tPvRmT1_T2_T3_mT4_P12ihipStream_tbEUlT_E1_NS1_11comp_targetILNS1_3genE3ELNS1_11target_archE908ELNS1_3gpuE7ELNS1_3repE0EEENS1_30default_config_static_selectorELNS0_4arch9wavefront6targetE1EEEvSR_
; %bb.0:
	.section	.rodata,"a",@progbits
	.p2align	6, 0x0
	.amdhsa_kernel _ZN7rocprim17ROCPRIM_400000_NS6detail17trampoline_kernelINS0_14default_configENS1_22reduce_config_selectorIiEEZNS1_11reduce_implILb1ES3_N6thrust23THRUST_200600_302600_NS11hip_rocprim26transform_input_iterator_tIiNS8_12zip_iteratorINS8_5tupleIPjPiNS8_9null_typeESF_SF_SF_SF_SF_SF_SF_EEEEN6dUtils22getValueFilteredByMaskIjiEEEESE_iNS8_7maximumIjEEEE10hipError_tPvRmT1_T2_T3_mT4_P12ihipStream_tbEUlT_E1_NS1_11comp_targetILNS1_3genE3ELNS1_11target_archE908ELNS1_3gpuE7ELNS1_3repE0EEENS1_30default_config_static_selectorELNS0_4arch9wavefront6targetE1EEEvSR_
		.amdhsa_group_segment_fixed_size 0
		.amdhsa_private_segment_fixed_size 0
		.amdhsa_kernarg_size 56
		.amdhsa_user_sgpr_count 6
		.amdhsa_user_sgpr_private_segment_buffer 1
		.amdhsa_user_sgpr_dispatch_ptr 0
		.amdhsa_user_sgpr_queue_ptr 0
		.amdhsa_user_sgpr_kernarg_segment_ptr 1
		.amdhsa_user_sgpr_dispatch_id 0
		.amdhsa_user_sgpr_flat_scratch_init 0
		.amdhsa_user_sgpr_kernarg_preload_length 0
		.amdhsa_user_sgpr_kernarg_preload_offset 0
		.amdhsa_user_sgpr_private_segment_size 0
		.amdhsa_uses_dynamic_stack 0
		.amdhsa_system_sgpr_private_segment_wavefront_offset 0
		.amdhsa_system_sgpr_workgroup_id_x 1
		.amdhsa_system_sgpr_workgroup_id_y 0
		.amdhsa_system_sgpr_workgroup_id_z 0
		.amdhsa_system_sgpr_workgroup_info 0
		.amdhsa_system_vgpr_workitem_id 0
		.amdhsa_next_free_vgpr 1
		.amdhsa_next_free_sgpr 0
		.amdhsa_accum_offset 4
		.amdhsa_reserve_vcc 0
		.amdhsa_reserve_flat_scratch 0
		.amdhsa_float_round_mode_32 0
		.amdhsa_float_round_mode_16_64 0
		.amdhsa_float_denorm_mode_32 3
		.amdhsa_float_denorm_mode_16_64 3
		.amdhsa_dx10_clamp 1
		.amdhsa_ieee_mode 1
		.amdhsa_fp16_overflow 0
		.amdhsa_tg_split 0
		.amdhsa_exception_fp_ieee_invalid_op 0
		.amdhsa_exception_fp_denorm_src 0
		.amdhsa_exception_fp_ieee_div_zero 0
		.amdhsa_exception_fp_ieee_overflow 0
		.amdhsa_exception_fp_ieee_underflow 0
		.amdhsa_exception_fp_ieee_inexact 0
		.amdhsa_exception_int_div_zero 0
	.end_amdhsa_kernel
	.section	.text._ZN7rocprim17ROCPRIM_400000_NS6detail17trampoline_kernelINS0_14default_configENS1_22reduce_config_selectorIiEEZNS1_11reduce_implILb1ES3_N6thrust23THRUST_200600_302600_NS11hip_rocprim26transform_input_iterator_tIiNS8_12zip_iteratorINS8_5tupleIPjPiNS8_9null_typeESF_SF_SF_SF_SF_SF_SF_EEEEN6dUtils22getValueFilteredByMaskIjiEEEESE_iNS8_7maximumIjEEEE10hipError_tPvRmT1_T2_T3_mT4_P12ihipStream_tbEUlT_E1_NS1_11comp_targetILNS1_3genE3ELNS1_11target_archE908ELNS1_3gpuE7ELNS1_3repE0EEENS1_30default_config_static_selectorELNS0_4arch9wavefront6targetE1EEEvSR_,"axG",@progbits,_ZN7rocprim17ROCPRIM_400000_NS6detail17trampoline_kernelINS0_14default_configENS1_22reduce_config_selectorIiEEZNS1_11reduce_implILb1ES3_N6thrust23THRUST_200600_302600_NS11hip_rocprim26transform_input_iterator_tIiNS8_12zip_iteratorINS8_5tupleIPjPiNS8_9null_typeESF_SF_SF_SF_SF_SF_SF_EEEEN6dUtils22getValueFilteredByMaskIjiEEEESE_iNS8_7maximumIjEEEE10hipError_tPvRmT1_T2_T3_mT4_P12ihipStream_tbEUlT_E1_NS1_11comp_targetILNS1_3genE3ELNS1_11target_archE908ELNS1_3gpuE7ELNS1_3repE0EEENS1_30default_config_static_selectorELNS0_4arch9wavefront6targetE1EEEvSR_,comdat
.Lfunc_end435:
	.size	_ZN7rocprim17ROCPRIM_400000_NS6detail17trampoline_kernelINS0_14default_configENS1_22reduce_config_selectorIiEEZNS1_11reduce_implILb1ES3_N6thrust23THRUST_200600_302600_NS11hip_rocprim26transform_input_iterator_tIiNS8_12zip_iteratorINS8_5tupleIPjPiNS8_9null_typeESF_SF_SF_SF_SF_SF_SF_EEEEN6dUtils22getValueFilteredByMaskIjiEEEESE_iNS8_7maximumIjEEEE10hipError_tPvRmT1_T2_T3_mT4_P12ihipStream_tbEUlT_E1_NS1_11comp_targetILNS1_3genE3ELNS1_11target_archE908ELNS1_3gpuE7ELNS1_3repE0EEENS1_30default_config_static_selectorELNS0_4arch9wavefront6targetE1EEEvSR_, .Lfunc_end435-_ZN7rocprim17ROCPRIM_400000_NS6detail17trampoline_kernelINS0_14default_configENS1_22reduce_config_selectorIiEEZNS1_11reduce_implILb1ES3_N6thrust23THRUST_200600_302600_NS11hip_rocprim26transform_input_iterator_tIiNS8_12zip_iteratorINS8_5tupleIPjPiNS8_9null_typeESF_SF_SF_SF_SF_SF_SF_EEEEN6dUtils22getValueFilteredByMaskIjiEEEESE_iNS8_7maximumIjEEEE10hipError_tPvRmT1_T2_T3_mT4_P12ihipStream_tbEUlT_E1_NS1_11comp_targetILNS1_3genE3ELNS1_11target_archE908ELNS1_3gpuE7ELNS1_3repE0EEENS1_30default_config_static_selectorELNS0_4arch9wavefront6targetE1EEEvSR_
                                        ; -- End function
	.section	.AMDGPU.csdata,"",@progbits
; Kernel info:
; codeLenInByte = 0
; NumSgprs: 4
; NumVgprs: 0
; NumAgprs: 0
; TotalNumVgprs: 0
; ScratchSize: 0
; MemoryBound: 0
; FloatMode: 240
; IeeeMode: 1
; LDSByteSize: 0 bytes/workgroup (compile time only)
; SGPRBlocks: 0
; VGPRBlocks: 0
; NumSGPRsForWavesPerEU: 4
; NumVGPRsForWavesPerEU: 1
; AccumOffset: 4
; Occupancy: 8
; WaveLimiterHint : 0
; COMPUTE_PGM_RSRC2:SCRATCH_EN: 0
; COMPUTE_PGM_RSRC2:USER_SGPR: 6
; COMPUTE_PGM_RSRC2:TRAP_HANDLER: 0
; COMPUTE_PGM_RSRC2:TGID_X_EN: 1
; COMPUTE_PGM_RSRC2:TGID_Y_EN: 0
; COMPUTE_PGM_RSRC2:TGID_Z_EN: 0
; COMPUTE_PGM_RSRC2:TIDIG_COMP_CNT: 0
; COMPUTE_PGM_RSRC3_GFX90A:ACCUM_OFFSET: 0
; COMPUTE_PGM_RSRC3_GFX90A:TG_SPLIT: 0
	.section	.text._ZN7rocprim17ROCPRIM_400000_NS6detail17trampoline_kernelINS0_14default_configENS1_22reduce_config_selectorIiEEZNS1_11reduce_implILb1ES3_N6thrust23THRUST_200600_302600_NS11hip_rocprim26transform_input_iterator_tIiNS8_12zip_iteratorINS8_5tupleIPjPiNS8_9null_typeESF_SF_SF_SF_SF_SF_SF_EEEEN6dUtils22getValueFilteredByMaskIjiEEEESE_iNS8_7maximumIjEEEE10hipError_tPvRmT1_T2_T3_mT4_P12ihipStream_tbEUlT_E1_NS1_11comp_targetILNS1_3genE2ELNS1_11target_archE906ELNS1_3gpuE6ELNS1_3repE0EEENS1_30default_config_static_selectorELNS0_4arch9wavefront6targetE1EEEvSR_,"axG",@progbits,_ZN7rocprim17ROCPRIM_400000_NS6detail17trampoline_kernelINS0_14default_configENS1_22reduce_config_selectorIiEEZNS1_11reduce_implILb1ES3_N6thrust23THRUST_200600_302600_NS11hip_rocprim26transform_input_iterator_tIiNS8_12zip_iteratorINS8_5tupleIPjPiNS8_9null_typeESF_SF_SF_SF_SF_SF_SF_EEEEN6dUtils22getValueFilteredByMaskIjiEEEESE_iNS8_7maximumIjEEEE10hipError_tPvRmT1_T2_T3_mT4_P12ihipStream_tbEUlT_E1_NS1_11comp_targetILNS1_3genE2ELNS1_11target_archE906ELNS1_3gpuE6ELNS1_3repE0EEENS1_30default_config_static_selectorELNS0_4arch9wavefront6targetE1EEEvSR_,comdat
	.protected	_ZN7rocprim17ROCPRIM_400000_NS6detail17trampoline_kernelINS0_14default_configENS1_22reduce_config_selectorIiEEZNS1_11reduce_implILb1ES3_N6thrust23THRUST_200600_302600_NS11hip_rocprim26transform_input_iterator_tIiNS8_12zip_iteratorINS8_5tupleIPjPiNS8_9null_typeESF_SF_SF_SF_SF_SF_SF_EEEEN6dUtils22getValueFilteredByMaskIjiEEEESE_iNS8_7maximumIjEEEE10hipError_tPvRmT1_T2_T3_mT4_P12ihipStream_tbEUlT_E1_NS1_11comp_targetILNS1_3genE2ELNS1_11target_archE906ELNS1_3gpuE6ELNS1_3repE0EEENS1_30default_config_static_selectorELNS0_4arch9wavefront6targetE1EEEvSR_ ; -- Begin function _ZN7rocprim17ROCPRIM_400000_NS6detail17trampoline_kernelINS0_14default_configENS1_22reduce_config_selectorIiEEZNS1_11reduce_implILb1ES3_N6thrust23THRUST_200600_302600_NS11hip_rocprim26transform_input_iterator_tIiNS8_12zip_iteratorINS8_5tupleIPjPiNS8_9null_typeESF_SF_SF_SF_SF_SF_SF_EEEEN6dUtils22getValueFilteredByMaskIjiEEEESE_iNS8_7maximumIjEEEE10hipError_tPvRmT1_T2_T3_mT4_P12ihipStream_tbEUlT_E1_NS1_11comp_targetILNS1_3genE2ELNS1_11target_archE906ELNS1_3gpuE6ELNS1_3repE0EEENS1_30default_config_static_selectorELNS0_4arch9wavefront6targetE1EEEvSR_
	.globl	_ZN7rocprim17ROCPRIM_400000_NS6detail17trampoline_kernelINS0_14default_configENS1_22reduce_config_selectorIiEEZNS1_11reduce_implILb1ES3_N6thrust23THRUST_200600_302600_NS11hip_rocprim26transform_input_iterator_tIiNS8_12zip_iteratorINS8_5tupleIPjPiNS8_9null_typeESF_SF_SF_SF_SF_SF_SF_EEEEN6dUtils22getValueFilteredByMaskIjiEEEESE_iNS8_7maximumIjEEEE10hipError_tPvRmT1_T2_T3_mT4_P12ihipStream_tbEUlT_E1_NS1_11comp_targetILNS1_3genE2ELNS1_11target_archE906ELNS1_3gpuE6ELNS1_3repE0EEENS1_30default_config_static_selectorELNS0_4arch9wavefront6targetE1EEEvSR_
	.p2align	8
	.type	_ZN7rocprim17ROCPRIM_400000_NS6detail17trampoline_kernelINS0_14default_configENS1_22reduce_config_selectorIiEEZNS1_11reduce_implILb1ES3_N6thrust23THRUST_200600_302600_NS11hip_rocprim26transform_input_iterator_tIiNS8_12zip_iteratorINS8_5tupleIPjPiNS8_9null_typeESF_SF_SF_SF_SF_SF_SF_EEEEN6dUtils22getValueFilteredByMaskIjiEEEESE_iNS8_7maximumIjEEEE10hipError_tPvRmT1_T2_T3_mT4_P12ihipStream_tbEUlT_E1_NS1_11comp_targetILNS1_3genE2ELNS1_11target_archE906ELNS1_3gpuE6ELNS1_3repE0EEENS1_30default_config_static_selectorELNS0_4arch9wavefront6targetE1EEEvSR_,@function
_ZN7rocprim17ROCPRIM_400000_NS6detail17trampoline_kernelINS0_14default_configENS1_22reduce_config_selectorIiEEZNS1_11reduce_implILb1ES3_N6thrust23THRUST_200600_302600_NS11hip_rocprim26transform_input_iterator_tIiNS8_12zip_iteratorINS8_5tupleIPjPiNS8_9null_typeESF_SF_SF_SF_SF_SF_SF_EEEEN6dUtils22getValueFilteredByMaskIjiEEEESE_iNS8_7maximumIjEEEE10hipError_tPvRmT1_T2_T3_mT4_P12ihipStream_tbEUlT_E1_NS1_11comp_targetILNS1_3genE2ELNS1_11target_archE906ELNS1_3gpuE6ELNS1_3repE0EEENS1_30default_config_static_selectorELNS0_4arch9wavefront6targetE1EEEvSR_: ; @_ZN7rocprim17ROCPRIM_400000_NS6detail17trampoline_kernelINS0_14default_configENS1_22reduce_config_selectorIiEEZNS1_11reduce_implILb1ES3_N6thrust23THRUST_200600_302600_NS11hip_rocprim26transform_input_iterator_tIiNS8_12zip_iteratorINS8_5tupleIPjPiNS8_9null_typeESF_SF_SF_SF_SF_SF_SF_EEEEN6dUtils22getValueFilteredByMaskIjiEEEESE_iNS8_7maximumIjEEEE10hipError_tPvRmT1_T2_T3_mT4_P12ihipStream_tbEUlT_E1_NS1_11comp_targetILNS1_3genE2ELNS1_11target_archE906ELNS1_3gpuE6ELNS1_3repE0EEENS1_30default_config_static_selectorELNS0_4arch9wavefront6targetE1EEEvSR_
; %bb.0:
	.section	.rodata,"a",@progbits
	.p2align	6, 0x0
	.amdhsa_kernel _ZN7rocprim17ROCPRIM_400000_NS6detail17trampoline_kernelINS0_14default_configENS1_22reduce_config_selectorIiEEZNS1_11reduce_implILb1ES3_N6thrust23THRUST_200600_302600_NS11hip_rocprim26transform_input_iterator_tIiNS8_12zip_iteratorINS8_5tupleIPjPiNS8_9null_typeESF_SF_SF_SF_SF_SF_SF_EEEEN6dUtils22getValueFilteredByMaskIjiEEEESE_iNS8_7maximumIjEEEE10hipError_tPvRmT1_T2_T3_mT4_P12ihipStream_tbEUlT_E1_NS1_11comp_targetILNS1_3genE2ELNS1_11target_archE906ELNS1_3gpuE6ELNS1_3repE0EEENS1_30default_config_static_selectorELNS0_4arch9wavefront6targetE1EEEvSR_
		.amdhsa_group_segment_fixed_size 0
		.amdhsa_private_segment_fixed_size 0
		.amdhsa_kernarg_size 56
		.amdhsa_user_sgpr_count 6
		.amdhsa_user_sgpr_private_segment_buffer 1
		.amdhsa_user_sgpr_dispatch_ptr 0
		.amdhsa_user_sgpr_queue_ptr 0
		.amdhsa_user_sgpr_kernarg_segment_ptr 1
		.amdhsa_user_sgpr_dispatch_id 0
		.amdhsa_user_sgpr_flat_scratch_init 0
		.amdhsa_user_sgpr_kernarg_preload_length 0
		.amdhsa_user_sgpr_kernarg_preload_offset 0
		.amdhsa_user_sgpr_private_segment_size 0
		.amdhsa_uses_dynamic_stack 0
		.amdhsa_system_sgpr_private_segment_wavefront_offset 0
		.amdhsa_system_sgpr_workgroup_id_x 1
		.amdhsa_system_sgpr_workgroup_id_y 0
		.amdhsa_system_sgpr_workgroup_id_z 0
		.amdhsa_system_sgpr_workgroup_info 0
		.amdhsa_system_vgpr_workitem_id 0
		.amdhsa_next_free_vgpr 1
		.amdhsa_next_free_sgpr 0
		.amdhsa_accum_offset 4
		.amdhsa_reserve_vcc 0
		.amdhsa_reserve_flat_scratch 0
		.amdhsa_float_round_mode_32 0
		.amdhsa_float_round_mode_16_64 0
		.amdhsa_float_denorm_mode_32 3
		.amdhsa_float_denorm_mode_16_64 3
		.amdhsa_dx10_clamp 1
		.amdhsa_ieee_mode 1
		.amdhsa_fp16_overflow 0
		.amdhsa_tg_split 0
		.amdhsa_exception_fp_ieee_invalid_op 0
		.amdhsa_exception_fp_denorm_src 0
		.amdhsa_exception_fp_ieee_div_zero 0
		.amdhsa_exception_fp_ieee_overflow 0
		.amdhsa_exception_fp_ieee_underflow 0
		.amdhsa_exception_fp_ieee_inexact 0
		.amdhsa_exception_int_div_zero 0
	.end_amdhsa_kernel
	.section	.text._ZN7rocprim17ROCPRIM_400000_NS6detail17trampoline_kernelINS0_14default_configENS1_22reduce_config_selectorIiEEZNS1_11reduce_implILb1ES3_N6thrust23THRUST_200600_302600_NS11hip_rocprim26transform_input_iterator_tIiNS8_12zip_iteratorINS8_5tupleIPjPiNS8_9null_typeESF_SF_SF_SF_SF_SF_SF_EEEEN6dUtils22getValueFilteredByMaskIjiEEEESE_iNS8_7maximumIjEEEE10hipError_tPvRmT1_T2_T3_mT4_P12ihipStream_tbEUlT_E1_NS1_11comp_targetILNS1_3genE2ELNS1_11target_archE906ELNS1_3gpuE6ELNS1_3repE0EEENS1_30default_config_static_selectorELNS0_4arch9wavefront6targetE1EEEvSR_,"axG",@progbits,_ZN7rocprim17ROCPRIM_400000_NS6detail17trampoline_kernelINS0_14default_configENS1_22reduce_config_selectorIiEEZNS1_11reduce_implILb1ES3_N6thrust23THRUST_200600_302600_NS11hip_rocprim26transform_input_iterator_tIiNS8_12zip_iteratorINS8_5tupleIPjPiNS8_9null_typeESF_SF_SF_SF_SF_SF_SF_EEEEN6dUtils22getValueFilteredByMaskIjiEEEESE_iNS8_7maximumIjEEEE10hipError_tPvRmT1_T2_T3_mT4_P12ihipStream_tbEUlT_E1_NS1_11comp_targetILNS1_3genE2ELNS1_11target_archE906ELNS1_3gpuE6ELNS1_3repE0EEENS1_30default_config_static_selectorELNS0_4arch9wavefront6targetE1EEEvSR_,comdat
.Lfunc_end436:
	.size	_ZN7rocprim17ROCPRIM_400000_NS6detail17trampoline_kernelINS0_14default_configENS1_22reduce_config_selectorIiEEZNS1_11reduce_implILb1ES3_N6thrust23THRUST_200600_302600_NS11hip_rocprim26transform_input_iterator_tIiNS8_12zip_iteratorINS8_5tupleIPjPiNS8_9null_typeESF_SF_SF_SF_SF_SF_SF_EEEEN6dUtils22getValueFilteredByMaskIjiEEEESE_iNS8_7maximumIjEEEE10hipError_tPvRmT1_T2_T3_mT4_P12ihipStream_tbEUlT_E1_NS1_11comp_targetILNS1_3genE2ELNS1_11target_archE906ELNS1_3gpuE6ELNS1_3repE0EEENS1_30default_config_static_selectorELNS0_4arch9wavefront6targetE1EEEvSR_, .Lfunc_end436-_ZN7rocprim17ROCPRIM_400000_NS6detail17trampoline_kernelINS0_14default_configENS1_22reduce_config_selectorIiEEZNS1_11reduce_implILb1ES3_N6thrust23THRUST_200600_302600_NS11hip_rocprim26transform_input_iterator_tIiNS8_12zip_iteratorINS8_5tupleIPjPiNS8_9null_typeESF_SF_SF_SF_SF_SF_SF_EEEEN6dUtils22getValueFilteredByMaskIjiEEEESE_iNS8_7maximumIjEEEE10hipError_tPvRmT1_T2_T3_mT4_P12ihipStream_tbEUlT_E1_NS1_11comp_targetILNS1_3genE2ELNS1_11target_archE906ELNS1_3gpuE6ELNS1_3repE0EEENS1_30default_config_static_selectorELNS0_4arch9wavefront6targetE1EEEvSR_
                                        ; -- End function
	.section	.AMDGPU.csdata,"",@progbits
; Kernel info:
; codeLenInByte = 0
; NumSgprs: 4
; NumVgprs: 0
; NumAgprs: 0
; TotalNumVgprs: 0
; ScratchSize: 0
; MemoryBound: 0
; FloatMode: 240
; IeeeMode: 1
; LDSByteSize: 0 bytes/workgroup (compile time only)
; SGPRBlocks: 0
; VGPRBlocks: 0
; NumSGPRsForWavesPerEU: 4
; NumVGPRsForWavesPerEU: 1
; AccumOffset: 4
; Occupancy: 8
; WaveLimiterHint : 0
; COMPUTE_PGM_RSRC2:SCRATCH_EN: 0
; COMPUTE_PGM_RSRC2:USER_SGPR: 6
; COMPUTE_PGM_RSRC2:TRAP_HANDLER: 0
; COMPUTE_PGM_RSRC2:TGID_X_EN: 1
; COMPUTE_PGM_RSRC2:TGID_Y_EN: 0
; COMPUTE_PGM_RSRC2:TGID_Z_EN: 0
; COMPUTE_PGM_RSRC2:TIDIG_COMP_CNT: 0
; COMPUTE_PGM_RSRC3_GFX90A:ACCUM_OFFSET: 0
; COMPUTE_PGM_RSRC3_GFX90A:TG_SPLIT: 0
	.section	.text._ZN7rocprim17ROCPRIM_400000_NS6detail17trampoline_kernelINS0_14default_configENS1_22reduce_config_selectorIiEEZNS1_11reduce_implILb1ES3_N6thrust23THRUST_200600_302600_NS11hip_rocprim26transform_input_iterator_tIiNS8_12zip_iteratorINS8_5tupleIPjPiNS8_9null_typeESF_SF_SF_SF_SF_SF_SF_EEEEN6dUtils22getValueFilteredByMaskIjiEEEESE_iNS8_7maximumIjEEEE10hipError_tPvRmT1_T2_T3_mT4_P12ihipStream_tbEUlT_E1_NS1_11comp_targetILNS1_3genE10ELNS1_11target_archE1201ELNS1_3gpuE5ELNS1_3repE0EEENS1_30default_config_static_selectorELNS0_4arch9wavefront6targetE1EEEvSR_,"axG",@progbits,_ZN7rocprim17ROCPRIM_400000_NS6detail17trampoline_kernelINS0_14default_configENS1_22reduce_config_selectorIiEEZNS1_11reduce_implILb1ES3_N6thrust23THRUST_200600_302600_NS11hip_rocprim26transform_input_iterator_tIiNS8_12zip_iteratorINS8_5tupleIPjPiNS8_9null_typeESF_SF_SF_SF_SF_SF_SF_EEEEN6dUtils22getValueFilteredByMaskIjiEEEESE_iNS8_7maximumIjEEEE10hipError_tPvRmT1_T2_T3_mT4_P12ihipStream_tbEUlT_E1_NS1_11comp_targetILNS1_3genE10ELNS1_11target_archE1201ELNS1_3gpuE5ELNS1_3repE0EEENS1_30default_config_static_selectorELNS0_4arch9wavefront6targetE1EEEvSR_,comdat
	.protected	_ZN7rocprim17ROCPRIM_400000_NS6detail17trampoline_kernelINS0_14default_configENS1_22reduce_config_selectorIiEEZNS1_11reduce_implILb1ES3_N6thrust23THRUST_200600_302600_NS11hip_rocprim26transform_input_iterator_tIiNS8_12zip_iteratorINS8_5tupleIPjPiNS8_9null_typeESF_SF_SF_SF_SF_SF_SF_EEEEN6dUtils22getValueFilteredByMaskIjiEEEESE_iNS8_7maximumIjEEEE10hipError_tPvRmT1_T2_T3_mT4_P12ihipStream_tbEUlT_E1_NS1_11comp_targetILNS1_3genE10ELNS1_11target_archE1201ELNS1_3gpuE5ELNS1_3repE0EEENS1_30default_config_static_selectorELNS0_4arch9wavefront6targetE1EEEvSR_ ; -- Begin function _ZN7rocprim17ROCPRIM_400000_NS6detail17trampoline_kernelINS0_14default_configENS1_22reduce_config_selectorIiEEZNS1_11reduce_implILb1ES3_N6thrust23THRUST_200600_302600_NS11hip_rocprim26transform_input_iterator_tIiNS8_12zip_iteratorINS8_5tupleIPjPiNS8_9null_typeESF_SF_SF_SF_SF_SF_SF_EEEEN6dUtils22getValueFilteredByMaskIjiEEEESE_iNS8_7maximumIjEEEE10hipError_tPvRmT1_T2_T3_mT4_P12ihipStream_tbEUlT_E1_NS1_11comp_targetILNS1_3genE10ELNS1_11target_archE1201ELNS1_3gpuE5ELNS1_3repE0EEENS1_30default_config_static_selectorELNS0_4arch9wavefront6targetE1EEEvSR_
	.globl	_ZN7rocprim17ROCPRIM_400000_NS6detail17trampoline_kernelINS0_14default_configENS1_22reduce_config_selectorIiEEZNS1_11reduce_implILb1ES3_N6thrust23THRUST_200600_302600_NS11hip_rocprim26transform_input_iterator_tIiNS8_12zip_iteratorINS8_5tupleIPjPiNS8_9null_typeESF_SF_SF_SF_SF_SF_SF_EEEEN6dUtils22getValueFilteredByMaskIjiEEEESE_iNS8_7maximumIjEEEE10hipError_tPvRmT1_T2_T3_mT4_P12ihipStream_tbEUlT_E1_NS1_11comp_targetILNS1_3genE10ELNS1_11target_archE1201ELNS1_3gpuE5ELNS1_3repE0EEENS1_30default_config_static_selectorELNS0_4arch9wavefront6targetE1EEEvSR_
	.p2align	8
	.type	_ZN7rocprim17ROCPRIM_400000_NS6detail17trampoline_kernelINS0_14default_configENS1_22reduce_config_selectorIiEEZNS1_11reduce_implILb1ES3_N6thrust23THRUST_200600_302600_NS11hip_rocprim26transform_input_iterator_tIiNS8_12zip_iteratorINS8_5tupleIPjPiNS8_9null_typeESF_SF_SF_SF_SF_SF_SF_EEEEN6dUtils22getValueFilteredByMaskIjiEEEESE_iNS8_7maximumIjEEEE10hipError_tPvRmT1_T2_T3_mT4_P12ihipStream_tbEUlT_E1_NS1_11comp_targetILNS1_3genE10ELNS1_11target_archE1201ELNS1_3gpuE5ELNS1_3repE0EEENS1_30default_config_static_selectorELNS0_4arch9wavefront6targetE1EEEvSR_,@function
_ZN7rocprim17ROCPRIM_400000_NS6detail17trampoline_kernelINS0_14default_configENS1_22reduce_config_selectorIiEEZNS1_11reduce_implILb1ES3_N6thrust23THRUST_200600_302600_NS11hip_rocprim26transform_input_iterator_tIiNS8_12zip_iteratorINS8_5tupleIPjPiNS8_9null_typeESF_SF_SF_SF_SF_SF_SF_EEEEN6dUtils22getValueFilteredByMaskIjiEEEESE_iNS8_7maximumIjEEEE10hipError_tPvRmT1_T2_T3_mT4_P12ihipStream_tbEUlT_E1_NS1_11comp_targetILNS1_3genE10ELNS1_11target_archE1201ELNS1_3gpuE5ELNS1_3repE0EEENS1_30default_config_static_selectorELNS0_4arch9wavefront6targetE1EEEvSR_: ; @_ZN7rocprim17ROCPRIM_400000_NS6detail17trampoline_kernelINS0_14default_configENS1_22reduce_config_selectorIiEEZNS1_11reduce_implILb1ES3_N6thrust23THRUST_200600_302600_NS11hip_rocprim26transform_input_iterator_tIiNS8_12zip_iteratorINS8_5tupleIPjPiNS8_9null_typeESF_SF_SF_SF_SF_SF_SF_EEEEN6dUtils22getValueFilteredByMaskIjiEEEESE_iNS8_7maximumIjEEEE10hipError_tPvRmT1_T2_T3_mT4_P12ihipStream_tbEUlT_E1_NS1_11comp_targetILNS1_3genE10ELNS1_11target_archE1201ELNS1_3gpuE5ELNS1_3repE0EEENS1_30default_config_static_selectorELNS0_4arch9wavefront6targetE1EEEvSR_
; %bb.0:
	.section	.rodata,"a",@progbits
	.p2align	6, 0x0
	.amdhsa_kernel _ZN7rocprim17ROCPRIM_400000_NS6detail17trampoline_kernelINS0_14default_configENS1_22reduce_config_selectorIiEEZNS1_11reduce_implILb1ES3_N6thrust23THRUST_200600_302600_NS11hip_rocprim26transform_input_iterator_tIiNS8_12zip_iteratorINS8_5tupleIPjPiNS8_9null_typeESF_SF_SF_SF_SF_SF_SF_EEEEN6dUtils22getValueFilteredByMaskIjiEEEESE_iNS8_7maximumIjEEEE10hipError_tPvRmT1_T2_T3_mT4_P12ihipStream_tbEUlT_E1_NS1_11comp_targetILNS1_3genE10ELNS1_11target_archE1201ELNS1_3gpuE5ELNS1_3repE0EEENS1_30default_config_static_selectorELNS0_4arch9wavefront6targetE1EEEvSR_
		.amdhsa_group_segment_fixed_size 0
		.amdhsa_private_segment_fixed_size 0
		.amdhsa_kernarg_size 56
		.amdhsa_user_sgpr_count 6
		.amdhsa_user_sgpr_private_segment_buffer 1
		.amdhsa_user_sgpr_dispatch_ptr 0
		.amdhsa_user_sgpr_queue_ptr 0
		.amdhsa_user_sgpr_kernarg_segment_ptr 1
		.amdhsa_user_sgpr_dispatch_id 0
		.amdhsa_user_sgpr_flat_scratch_init 0
		.amdhsa_user_sgpr_kernarg_preload_length 0
		.amdhsa_user_sgpr_kernarg_preload_offset 0
		.amdhsa_user_sgpr_private_segment_size 0
		.amdhsa_uses_dynamic_stack 0
		.amdhsa_system_sgpr_private_segment_wavefront_offset 0
		.amdhsa_system_sgpr_workgroup_id_x 1
		.amdhsa_system_sgpr_workgroup_id_y 0
		.amdhsa_system_sgpr_workgroup_id_z 0
		.amdhsa_system_sgpr_workgroup_info 0
		.amdhsa_system_vgpr_workitem_id 0
		.amdhsa_next_free_vgpr 1
		.amdhsa_next_free_sgpr 0
		.amdhsa_accum_offset 4
		.amdhsa_reserve_vcc 0
		.amdhsa_reserve_flat_scratch 0
		.amdhsa_float_round_mode_32 0
		.amdhsa_float_round_mode_16_64 0
		.amdhsa_float_denorm_mode_32 3
		.amdhsa_float_denorm_mode_16_64 3
		.amdhsa_dx10_clamp 1
		.amdhsa_ieee_mode 1
		.amdhsa_fp16_overflow 0
		.amdhsa_tg_split 0
		.amdhsa_exception_fp_ieee_invalid_op 0
		.amdhsa_exception_fp_denorm_src 0
		.amdhsa_exception_fp_ieee_div_zero 0
		.amdhsa_exception_fp_ieee_overflow 0
		.amdhsa_exception_fp_ieee_underflow 0
		.amdhsa_exception_fp_ieee_inexact 0
		.amdhsa_exception_int_div_zero 0
	.end_amdhsa_kernel
	.section	.text._ZN7rocprim17ROCPRIM_400000_NS6detail17trampoline_kernelINS0_14default_configENS1_22reduce_config_selectorIiEEZNS1_11reduce_implILb1ES3_N6thrust23THRUST_200600_302600_NS11hip_rocprim26transform_input_iterator_tIiNS8_12zip_iteratorINS8_5tupleIPjPiNS8_9null_typeESF_SF_SF_SF_SF_SF_SF_EEEEN6dUtils22getValueFilteredByMaskIjiEEEESE_iNS8_7maximumIjEEEE10hipError_tPvRmT1_T2_T3_mT4_P12ihipStream_tbEUlT_E1_NS1_11comp_targetILNS1_3genE10ELNS1_11target_archE1201ELNS1_3gpuE5ELNS1_3repE0EEENS1_30default_config_static_selectorELNS0_4arch9wavefront6targetE1EEEvSR_,"axG",@progbits,_ZN7rocprim17ROCPRIM_400000_NS6detail17trampoline_kernelINS0_14default_configENS1_22reduce_config_selectorIiEEZNS1_11reduce_implILb1ES3_N6thrust23THRUST_200600_302600_NS11hip_rocprim26transform_input_iterator_tIiNS8_12zip_iteratorINS8_5tupleIPjPiNS8_9null_typeESF_SF_SF_SF_SF_SF_SF_EEEEN6dUtils22getValueFilteredByMaskIjiEEEESE_iNS8_7maximumIjEEEE10hipError_tPvRmT1_T2_T3_mT4_P12ihipStream_tbEUlT_E1_NS1_11comp_targetILNS1_3genE10ELNS1_11target_archE1201ELNS1_3gpuE5ELNS1_3repE0EEENS1_30default_config_static_selectorELNS0_4arch9wavefront6targetE1EEEvSR_,comdat
.Lfunc_end437:
	.size	_ZN7rocprim17ROCPRIM_400000_NS6detail17trampoline_kernelINS0_14default_configENS1_22reduce_config_selectorIiEEZNS1_11reduce_implILb1ES3_N6thrust23THRUST_200600_302600_NS11hip_rocprim26transform_input_iterator_tIiNS8_12zip_iteratorINS8_5tupleIPjPiNS8_9null_typeESF_SF_SF_SF_SF_SF_SF_EEEEN6dUtils22getValueFilteredByMaskIjiEEEESE_iNS8_7maximumIjEEEE10hipError_tPvRmT1_T2_T3_mT4_P12ihipStream_tbEUlT_E1_NS1_11comp_targetILNS1_3genE10ELNS1_11target_archE1201ELNS1_3gpuE5ELNS1_3repE0EEENS1_30default_config_static_selectorELNS0_4arch9wavefront6targetE1EEEvSR_, .Lfunc_end437-_ZN7rocprim17ROCPRIM_400000_NS6detail17trampoline_kernelINS0_14default_configENS1_22reduce_config_selectorIiEEZNS1_11reduce_implILb1ES3_N6thrust23THRUST_200600_302600_NS11hip_rocprim26transform_input_iterator_tIiNS8_12zip_iteratorINS8_5tupleIPjPiNS8_9null_typeESF_SF_SF_SF_SF_SF_SF_EEEEN6dUtils22getValueFilteredByMaskIjiEEEESE_iNS8_7maximumIjEEEE10hipError_tPvRmT1_T2_T3_mT4_P12ihipStream_tbEUlT_E1_NS1_11comp_targetILNS1_3genE10ELNS1_11target_archE1201ELNS1_3gpuE5ELNS1_3repE0EEENS1_30default_config_static_selectorELNS0_4arch9wavefront6targetE1EEEvSR_
                                        ; -- End function
	.section	.AMDGPU.csdata,"",@progbits
; Kernel info:
; codeLenInByte = 0
; NumSgprs: 4
; NumVgprs: 0
; NumAgprs: 0
; TotalNumVgprs: 0
; ScratchSize: 0
; MemoryBound: 0
; FloatMode: 240
; IeeeMode: 1
; LDSByteSize: 0 bytes/workgroup (compile time only)
; SGPRBlocks: 0
; VGPRBlocks: 0
; NumSGPRsForWavesPerEU: 4
; NumVGPRsForWavesPerEU: 1
; AccumOffset: 4
; Occupancy: 8
; WaveLimiterHint : 0
; COMPUTE_PGM_RSRC2:SCRATCH_EN: 0
; COMPUTE_PGM_RSRC2:USER_SGPR: 6
; COMPUTE_PGM_RSRC2:TRAP_HANDLER: 0
; COMPUTE_PGM_RSRC2:TGID_X_EN: 1
; COMPUTE_PGM_RSRC2:TGID_Y_EN: 0
; COMPUTE_PGM_RSRC2:TGID_Z_EN: 0
; COMPUTE_PGM_RSRC2:TIDIG_COMP_CNT: 0
; COMPUTE_PGM_RSRC3_GFX90A:ACCUM_OFFSET: 0
; COMPUTE_PGM_RSRC3_GFX90A:TG_SPLIT: 0
	.section	.text._ZN7rocprim17ROCPRIM_400000_NS6detail17trampoline_kernelINS0_14default_configENS1_22reduce_config_selectorIiEEZNS1_11reduce_implILb1ES3_N6thrust23THRUST_200600_302600_NS11hip_rocprim26transform_input_iterator_tIiNS8_12zip_iteratorINS8_5tupleIPjPiNS8_9null_typeESF_SF_SF_SF_SF_SF_SF_EEEEN6dUtils22getValueFilteredByMaskIjiEEEESE_iNS8_7maximumIjEEEE10hipError_tPvRmT1_T2_T3_mT4_P12ihipStream_tbEUlT_E1_NS1_11comp_targetILNS1_3genE10ELNS1_11target_archE1200ELNS1_3gpuE4ELNS1_3repE0EEENS1_30default_config_static_selectorELNS0_4arch9wavefront6targetE1EEEvSR_,"axG",@progbits,_ZN7rocprim17ROCPRIM_400000_NS6detail17trampoline_kernelINS0_14default_configENS1_22reduce_config_selectorIiEEZNS1_11reduce_implILb1ES3_N6thrust23THRUST_200600_302600_NS11hip_rocprim26transform_input_iterator_tIiNS8_12zip_iteratorINS8_5tupleIPjPiNS8_9null_typeESF_SF_SF_SF_SF_SF_SF_EEEEN6dUtils22getValueFilteredByMaskIjiEEEESE_iNS8_7maximumIjEEEE10hipError_tPvRmT1_T2_T3_mT4_P12ihipStream_tbEUlT_E1_NS1_11comp_targetILNS1_3genE10ELNS1_11target_archE1200ELNS1_3gpuE4ELNS1_3repE0EEENS1_30default_config_static_selectorELNS0_4arch9wavefront6targetE1EEEvSR_,comdat
	.protected	_ZN7rocprim17ROCPRIM_400000_NS6detail17trampoline_kernelINS0_14default_configENS1_22reduce_config_selectorIiEEZNS1_11reduce_implILb1ES3_N6thrust23THRUST_200600_302600_NS11hip_rocprim26transform_input_iterator_tIiNS8_12zip_iteratorINS8_5tupleIPjPiNS8_9null_typeESF_SF_SF_SF_SF_SF_SF_EEEEN6dUtils22getValueFilteredByMaskIjiEEEESE_iNS8_7maximumIjEEEE10hipError_tPvRmT1_T2_T3_mT4_P12ihipStream_tbEUlT_E1_NS1_11comp_targetILNS1_3genE10ELNS1_11target_archE1200ELNS1_3gpuE4ELNS1_3repE0EEENS1_30default_config_static_selectorELNS0_4arch9wavefront6targetE1EEEvSR_ ; -- Begin function _ZN7rocprim17ROCPRIM_400000_NS6detail17trampoline_kernelINS0_14default_configENS1_22reduce_config_selectorIiEEZNS1_11reduce_implILb1ES3_N6thrust23THRUST_200600_302600_NS11hip_rocprim26transform_input_iterator_tIiNS8_12zip_iteratorINS8_5tupleIPjPiNS8_9null_typeESF_SF_SF_SF_SF_SF_SF_EEEEN6dUtils22getValueFilteredByMaskIjiEEEESE_iNS8_7maximumIjEEEE10hipError_tPvRmT1_T2_T3_mT4_P12ihipStream_tbEUlT_E1_NS1_11comp_targetILNS1_3genE10ELNS1_11target_archE1200ELNS1_3gpuE4ELNS1_3repE0EEENS1_30default_config_static_selectorELNS0_4arch9wavefront6targetE1EEEvSR_
	.globl	_ZN7rocprim17ROCPRIM_400000_NS6detail17trampoline_kernelINS0_14default_configENS1_22reduce_config_selectorIiEEZNS1_11reduce_implILb1ES3_N6thrust23THRUST_200600_302600_NS11hip_rocprim26transform_input_iterator_tIiNS8_12zip_iteratorINS8_5tupleIPjPiNS8_9null_typeESF_SF_SF_SF_SF_SF_SF_EEEEN6dUtils22getValueFilteredByMaskIjiEEEESE_iNS8_7maximumIjEEEE10hipError_tPvRmT1_T2_T3_mT4_P12ihipStream_tbEUlT_E1_NS1_11comp_targetILNS1_3genE10ELNS1_11target_archE1200ELNS1_3gpuE4ELNS1_3repE0EEENS1_30default_config_static_selectorELNS0_4arch9wavefront6targetE1EEEvSR_
	.p2align	8
	.type	_ZN7rocprim17ROCPRIM_400000_NS6detail17trampoline_kernelINS0_14default_configENS1_22reduce_config_selectorIiEEZNS1_11reduce_implILb1ES3_N6thrust23THRUST_200600_302600_NS11hip_rocprim26transform_input_iterator_tIiNS8_12zip_iteratorINS8_5tupleIPjPiNS8_9null_typeESF_SF_SF_SF_SF_SF_SF_EEEEN6dUtils22getValueFilteredByMaskIjiEEEESE_iNS8_7maximumIjEEEE10hipError_tPvRmT1_T2_T3_mT4_P12ihipStream_tbEUlT_E1_NS1_11comp_targetILNS1_3genE10ELNS1_11target_archE1200ELNS1_3gpuE4ELNS1_3repE0EEENS1_30default_config_static_selectorELNS0_4arch9wavefront6targetE1EEEvSR_,@function
_ZN7rocprim17ROCPRIM_400000_NS6detail17trampoline_kernelINS0_14default_configENS1_22reduce_config_selectorIiEEZNS1_11reduce_implILb1ES3_N6thrust23THRUST_200600_302600_NS11hip_rocprim26transform_input_iterator_tIiNS8_12zip_iteratorINS8_5tupleIPjPiNS8_9null_typeESF_SF_SF_SF_SF_SF_SF_EEEEN6dUtils22getValueFilteredByMaskIjiEEEESE_iNS8_7maximumIjEEEE10hipError_tPvRmT1_T2_T3_mT4_P12ihipStream_tbEUlT_E1_NS1_11comp_targetILNS1_3genE10ELNS1_11target_archE1200ELNS1_3gpuE4ELNS1_3repE0EEENS1_30default_config_static_selectorELNS0_4arch9wavefront6targetE1EEEvSR_: ; @_ZN7rocprim17ROCPRIM_400000_NS6detail17trampoline_kernelINS0_14default_configENS1_22reduce_config_selectorIiEEZNS1_11reduce_implILb1ES3_N6thrust23THRUST_200600_302600_NS11hip_rocprim26transform_input_iterator_tIiNS8_12zip_iteratorINS8_5tupleIPjPiNS8_9null_typeESF_SF_SF_SF_SF_SF_SF_EEEEN6dUtils22getValueFilteredByMaskIjiEEEESE_iNS8_7maximumIjEEEE10hipError_tPvRmT1_T2_T3_mT4_P12ihipStream_tbEUlT_E1_NS1_11comp_targetILNS1_3genE10ELNS1_11target_archE1200ELNS1_3gpuE4ELNS1_3repE0EEENS1_30default_config_static_selectorELNS0_4arch9wavefront6targetE1EEEvSR_
; %bb.0:
	.section	.rodata,"a",@progbits
	.p2align	6, 0x0
	.amdhsa_kernel _ZN7rocprim17ROCPRIM_400000_NS6detail17trampoline_kernelINS0_14default_configENS1_22reduce_config_selectorIiEEZNS1_11reduce_implILb1ES3_N6thrust23THRUST_200600_302600_NS11hip_rocprim26transform_input_iterator_tIiNS8_12zip_iteratorINS8_5tupleIPjPiNS8_9null_typeESF_SF_SF_SF_SF_SF_SF_EEEEN6dUtils22getValueFilteredByMaskIjiEEEESE_iNS8_7maximumIjEEEE10hipError_tPvRmT1_T2_T3_mT4_P12ihipStream_tbEUlT_E1_NS1_11comp_targetILNS1_3genE10ELNS1_11target_archE1200ELNS1_3gpuE4ELNS1_3repE0EEENS1_30default_config_static_selectorELNS0_4arch9wavefront6targetE1EEEvSR_
		.amdhsa_group_segment_fixed_size 0
		.amdhsa_private_segment_fixed_size 0
		.amdhsa_kernarg_size 56
		.amdhsa_user_sgpr_count 6
		.amdhsa_user_sgpr_private_segment_buffer 1
		.amdhsa_user_sgpr_dispatch_ptr 0
		.amdhsa_user_sgpr_queue_ptr 0
		.amdhsa_user_sgpr_kernarg_segment_ptr 1
		.amdhsa_user_sgpr_dispatch_id 0
		.amdhsa_user_sgpr_flat_scratch_init 0
		.amdhsa_user_sgpr_kernarg_preload_length 0
		.amdhsa_user_sgpr_kernarg_preload_offset 0
		.amdhsa_user_sgpr_private_segment_size 0
		.amdhsa_uses_dynamic_stack 0
		.amdhsa_system_sgpr_private_segment_wavefront_offset 0
		.amdhsa_system_sgpr_workgroup_id_x 1
		.amdhsa_system_sgpr_workgroup_id_y 0
		.amdhsa_system_sgpr_workgroup_id_z 0
		.amdhsa_system_sgpr_workgroup_info 0
		.amdhsa_system_vgpr_workitem_id 0
		.amdhsa_next_free_vgpr 1
		.amdhsa_next_free_sgpr 0
		.amdhsa_accum_offset 4
		.amdhsa_reserve_vcc 0
		.amdhsa_reserve_flat_scratch 0
		.amdhsa_float_round_mode_32 0
		.amdhsa_float_round_mode_16_64 0
		.amdhsa_float_denorm_mode_32 3
		.amdhsa_float_denorm_mode_16_64 3
		.amdhsa_dx10_clamp 1
		.amdhsa_ieee_mode 1
		.amdhsa_fp16_overflow 0
		.amdhsa_tg_split 0
		.amdhsa_exception_fp_ieee_invalid_op 0
		.amdhsa_exception_fp_denorm_src 0
		.amdhsa_exception_fp_ieee_div_zero 0
		.amdhsa_exception_fp_ieee_overflow 0
		.amdhsa_exception_fp_ieee_underflow 0
		.amdhsa_exception_fp_ieee_inexact 0
		.amdhsa_exception_int_div_zero 0
	.end_amdhsa_kernel
	.section	.text._ZN7rocprim17ROCPRIM_400000_NS6detail17trampoline_kernelINS0_14default_configENS1_22reduce_config_selectorIiEEZNS1_11reduce_implILb1ES3_N6thrust23THRUST_200600_302600_NS11hip_rocprim26transform_input_iterator_tIiNS8_12zip_iteratorINS8_5tupleIPjPiNS8_9null_typeESF_SF_SF_SF_SF_SF_SF_EEEEN6dUtils22getValueFilteredByMaskIjiEEEESE_iNS8_7maximumIjEEEE10hipError_tPvRmT1_T2_T3_mT4_P12ihipStream_tbEUlT_E1_NS1_11comp_targetILNS1_3genE10ELNS1_11target_archE1200ELNS1_3gpuE4ELNS1_3repE0EEENS1_30default_config_static_selectorELNS0_4arch9wavefront6targetE1EEEvSR_,"axG",@progbits,_ZN7rocprim17ROCPRIM_400000_NS6detail17trampoline_kernelINS0_14default_configENS1_22reduce_config_selectorIiEEZNS1_11reduce_implILb1ES3_N6thrust23THRUST_200600_302600_NS11hip_rocprim26transform_input_iterator_tIiNS8_12zip_iteratorINS8_5tupleIPjPiNS8_9null_typeESF_SF_SF_SF_SF_SF_SF_EEEEN6dUtils22getValueFilteredByMaskIjiEEEESE_iNS8_7maximumIjEEEE10hipError_tPvRmT1_T2_T3_mT4_P12ihipStream_tbEUlT_E1_NS1_11comp_targetILNS1_3genE10ELNS1_11target_archE1200ELNS1_3gpuE4ELNS1_3repE0EEENS1_30default_config_static_selectorELNS0_4arch9wavefront6targetE1EEEvSR_,comdat
.Lfunc_end438:
	.size	_ZN7rocprim17ROCPRIM_400000_NS6detail17trampoline_kernelINS0_14default_configENS1_22reduce_config_selectorIiEEZNS1_11reduce_implILb1ES3_N6thrust23THRUST_200600_302600_NS11hip_rocprim26transform_input_iterator_tIiNS8_12zip_iteratorINS8_5tupleIPjPiNS8_9null_typeESF_SF_SF_SF_SF_SF_SF_EEEEN6dUtils22getValueFilteredByMaskIjiEEEESE_iNS8_7maximumIjEEEE10hipError_tPvRmT1_T2_T3_mT4_P12ihipStream_tbEUlT_E1_NS1_11comp_targetILNS1_3genE10ELNS1_11target_archE1200ELNS1_3gpuE4ELNS1_3repE0EEENS1_30default_config_static_selectorELNS0_4arch9wavefront6targetE1EEEvSR_, .Lfunc_end438-_ZN7rocprim17ROCPRIM_400000_NS6detail17trampoline_kernelINS0_14default_configENS1_22reduce_config_selectorIiEEZNS1_11reduce_implILb1ES3_N6thrust23THRUST_200600_302600_NS11hip_rocprim26transform_input_iterator_tIiNS8_12zip_iteratorINS8_5tupleIPjPiNS8_9null_typeESF_SF_SF_SF_SF_SF_SF_EEEEN6dUtils22getValueFilteredByMaskIjiEEEESE_iNS8_7maximumIjEEEE10hipError_tPvRmT1_T2_T3_mT4_P12ihipStream_tbEUlT_E1_NS1_11comp_targetILNS1_3genE10ELNS1_11target_archE1200ELNS1_3gpuE4ELNS1_3repE0EEENS1_30default_config_static_selectorELNS0_4arch9wavefront6targetE1EEEvSR_
                                        ; -- End function
	.section	.AMDGPU.csdata,"",@progbits
; Kernel info:
; codeLenInByte = 0
; NumSgprs: 4
; NumVgprs: 0
; NumAgprs: 0
; TotalNumVgprs: 0
; ScratchSize: 0
; MemoryBound: 0
; FloatMode: 240
; IeeeMode: 1
; LDSByteSize: 0 bytes/workgroup (compile time only)
; SGPRBlocks: 0
; VGPRBlocks: 0
; NumSGPRsForWavesPerEU: 4
; NumVGPRsForWavesPerEU: 1
; AccumOffset: 4
; Occupancy: 8
; WaveLimiterHint : 0
; COMPUTE_PGM_RSRC2:SCRATCH_EN: 0
; COMPUTE_PGM_RSRC2:USER_SGPR: 6
; COMPUTE_PGM_RSRC2:TRAP_HANDLER: 0
; COMPUTE_PGM_RSRC2:TGID_X_EN: 1
; COMPUTE_PGM_RSRC2:TGID_Y_EN: 0
; COMPUTE_PGM_RSRC2:TGID_Z_EN: 0
; COMPUTE_PGM_RSRC2:TIDIG_COMP_CNT: 0
; COMPUTE_PGM_RSRC3_GFX90A:ACCUM_OFFSET: 0
; COMPUTE_PGM_RSRC3_GFX90A:TG_SPLIT: 0
	.section	.text._ZN7rocprim17ROCPRIM_400000_NS6detail17trampoline_kernelINS0_14default_configENS1_22reduce_config_selectorIiEEZNS1_11reduce_implILb1ES3_N6thrust23THRUST_200600_302600_NS11hip_rocprim26transform_input_iterator_tIiNS8_12zip_iteratorINS8_5tupleIPjPiNS8_9null_typeESF_SF_SF_SF_SF_SF_SF_EEEEN6dUtils22getValueFilteredByMaskIjiEEEESE_iNS8_7maximumIjEEEE10hipError_tPvRmT1_T2_T3_mT4_P12ihipStream_tbEUlT_E1_NS1_11comp_targetILNS1_3genE9ELNS1_11target_archE1100ELNS1_3gpuE3ELNS1_3repE0EEENS1_30default_config_static_selectorELNS0_4arch9wavefront6targetE1EEEvSR_,"axG",@progbits,_ZN7rocprim17ROCPRIM_400000_NS6detail17trampoline_kernelINS0_14default_configENS1_22reduce_config_selectorIiEEZNS1_11reduce_implILb1ES3_N6thrust23THRUST_200600_302600_NS11hip_rocprim26transform_input_iterator_tIiNS8_12zip_iteratorINS8_5tupleIPjPiNS8_9null_typeESF_SF_SF_SF_SF_SF_SF_EEEEN6dUtils22getValueFilteredByMaskIjiEEEESE_iNS8_7maximumIjEEEE10hipError_tPvRmT1_T2_T3_mT4_P12ihipStream_tbEUlT_E1_NS1_11comp_targetILNS1_3genE9ELNS1_11target_archE1100ELNS1_3gpuE3ELNS1_3repE0EEENS1_30default_config_static_selectorELNS0_4arch9wavefront6targetE1EEEvSR_,comdat
	.protected	_ZN7rocprim17ROCPRIM_400000_NS6detail17trampoline_kernelINS0_14default_configENS1_22reduce_config_selectorIiEEZNS1_11reduce_implILb1ES3_N6thrust23THRUST_200600_302600_NS11hip_rocprim26transform_input_iterator_tIiNS8_12zip_iteratorINS8_5tupleIPjPiNS8_9null_typeESF_SF_SF_SF_SF_SF_SF_EEEEN6dUtils22getValueFilteredByMaskIjiEEEESE_iNS8_7maximumIjEEEE10hipError_tPvRmT1_T2_T3_mT4_P12ihipStream_tbEUlT_E1_NS1_11comp_targetILNS1_3genE9ELNS1_11target_archE1100ELNS1_3gpuE3ELNS1_3repE0EEENS1_30default_config_static_selectorELNS0_4arch9wavefront6targetE1EEEvSR_ ; -- Begin function _ZN7rocprim17ROCPRIM_400000_NS6detail17trampoline_kernelINS0_14default_configENS1_22reduce_config_selectorIiEEZNS1_11reduce_implILb1ES3_N6thrust23THRUST_200600_302600_NS11hip_rocprim26transform_input_iterator_tIiNS8_12zip_iteratorINS8_5tupleIPjPiNS8_9null_typeESF_SF_SF_SF_SF_SF_SF_EEEEN6dUtils22getValueFilteredByMaskIjiEEEESE_iNS8_7maximumIjEEEE10hipError_tPvRmT1_T2_T3_mT4_P12ihipStream_tbEUlT_E1_NS1_11comp_targetILNS1_3genE9ELNS1_11target_archE1100ELNS1_3gpuE3ELNS1_3repE0EEENS1_30default_config_static_selectorELNS0_4arch9wavefront6targetE1EEEvSR_
	.globl	_ZN7rocprim17ROCPRIM_400000_NS6detail17trampoline_kernelINS0_14default_configENS1_22reduce_config_selectorIiEEZNS1_11reduce_implILb1ES3_N6thrust23THRUST_200600_302600_NS11hip_rocprim26transform_input_iterator_tIiNS8_12zip_iteratorINS8_5tupleIPjPiNS8_9null_typeESF_SF_SF_SF_SF_SF_SF_EEEEN6dUtils22getValueFilteredByMaskIjiEEEESE_iNS8_7maximumIjEEEE10hipError_tPvRmT1_T2_T3_mT4_P12ihipStream_tbEUlT_E1_NS1_11comp_targetILNS1_3genE9ELNS1_11target_archE1100ELNS1_3gpuE3ELNS1_3repE0EEENS1_30default_config_static_selectorELNS0_4arch9wavefront6targetE1EEEvSR_
	.p2align	8
	.type	_ZN7rocprim17ROCPRIM_400000_NS6detail17trampoline_kernelINS0_14default_configENS1_22reduce_config_selectorIiEEZNS1_11reduce_implILb1ES3_N6thrust23THRUST_200600_302600_NS11hip_rocprim26transform_input_iterator_tIiNS8_12zip_iteratorINS8_5tupleIPjPiNS8_9null_typeESF_SF_SF_SF_SF_SF_SF_EEEEN6dUtils22getValueFilteredByMaskIjiEEEESE_iNS8_7maximumIjEEEE10hipError_tPvRmT1_T2_T3_mT4_P12ihipStream_tbEUlT_E1_NS1_11comp_targetILNS1_3genE9ELNS1_11target_archE1100ELNS1_3gpuE3ELNS1_3repE0EEENS1_30default_config_static_selectorELNS0_4arch9wavefront6targetE1EEEvSR_,@function
_ZN7rocprim17ROCPRIM_400000_NS6detail17trampoline_kernelINS0_14default_configENS1_22reduce_config_selectorIiEEZNS1_11reduce_implILb1ES3_N6thrust23THRUST_200600_302600_NS11hip_rocprim26transform_input_iterator_tIiNS8_12zip_iteratorINS8_5tupleIPjPiNS8_9null_typeESF_SF_SF_SF_SF_SF_SF_EEEEN6dUtils22getValueFilteredByMaskIjiEEEESE_iNS8_7maximumIjEEEE10hipError_tPvRmT1_T2_T3_mT4_P12ihipStream_tbEUlT_E1_NS1_11comp_targetILNS1_3genE9ELNS1_11target_archE1100ELNS1_3gpuE3ELNS1_3repE0EEENS1_30default_config_static_selectorELNS0_4arch9wavefront6targetE1EEEvSR_: ; @_ZN7rocprim17ROCPRIM_400000_NS6detail17trampoline_kernelINS0_14default_configENS1_22reduce_config_selectorIiEEZNS1_11reduce_implILb1ES3_N6thrust23THRUST_200600_302600_NS11hip_rocprim26transform_input_iterator_tIiNS8_12zip_iteratorINS8_5tupleIPjPiNS8_9null_typeESF_SF_SF_SF_SF_SF_SF_EEEEN6dUtils22getValueFilteredByMaskIjiEEEESE_iNS8_7maximumIjEEEE10hipError_tPvRmT1_T2_T3_mT4_P12ihipStream_tbEUlT_E1_NS1_11comp_targetILNS1_3genE9ELNS1_11target_archE1100ELNS1_3gpuE3ELNS1_3repE0EEENS1_30default_config_static_selectorELNS0_4arch9wavefront6targetE1EEEvSR_
; %bb.0:
	.section	.rodata,"a",@progbits
	.p2align	6, 0x0
	.amdhsa_kernel _ZN7rocprim17ROCPRIM_400000_NS6detail17trampoline_kernelINS0_14default_configENS1_22reduce_config_selectorIiEEZNS1_11reduce_implILb1ES3_N6thrust23THRUST_200600_302600_NS11hip_rocprim26transform_input_iterator_tIiNS8_12zip_iteratorINS8_5tupleIPjPiNS8_9null_typeESF_SF_SF_SF_SF_SF_SF_EEEEN6dUtils22getValueFilteredByMaskIjiEEEESE_iNS8_7maximumIjEEEE10hipError_tPvRmT1_T2_T3_mT4_P12ihipStream_tbEUlT_E1_NS1_11comp_targetILNS1_3genE9ELNS1_11target_archE1100ELNS1_3gpuE3ELNS1_3repE0EEENS1_30default_config_static_selectorELNS0_4arch9wavefront6targetE1EEEvSR_
		.amdhsa_group_segment_fixed_size 0
		.amdhsa_private_segment_fixed_size 0
		.amdhsa_kernarg_size 56
		.amdhsa_user_sgpr_count 6
		.amdhsa_user_sgpr_private_segment_buffer 1
		.amdhsa_user_sgpr_dispatch_ptr 0
		.amdhsa_user_sgpr_queue_ptr 0
		.amdhsa_user_sgpr_kernarg_segment_ptr 1
		.amdhsa_user_sgpr_dispatch_id 0
		.amdhsa_user_sgpr_flat_scratch_init 0
		.amdhsa_user_sgpr_kernarg_preload_length 0
		.amdhsa_user_sgpr_kernarg_preload_offset 0
		.amdhsa_user_sgpr_private_segment_size 0
		.amdhsa_uses_dynamic_stack 0
		.amdhsa_system_sgpr_private_segment_wavefront_offset 0
		.amdhsa_system_sgpr_workgroup_id_x 1
		.amdhsa_system_sgpr_workgroup_id_y 0
		.amdhsa_system_sgpr_workgroup_id_z 0
		.amdhsa_system_sgpr_workgroup_info 0
		.amdhsa_system_vgpr_workitem_id 0
		.amdhsa_next_free_vgpr 1
		.amdhsa_next_free_sgpr 0
		.amdhsa_accum_offset 4
		.amdhsa_reserve_vcc 0
		.amdhsa_reserve_flat_scratch 0
		.amdhsa_float_round_mode_32 0
		.amdhsa_float_round_mode_16_64 0
		.amdhsa_float_denorm_mode_32 3
		.amdhsa_float_denorm_mode_16_64 3
		.amdhsa_dx10_clamp 1
		.amdhsa_ieee_mode 1
		.amdhsa_fp16_overflow 0
		.amdhsa_tg_split 0
		.amdhsa_exception_fp_ieee_invalid_op 0
		.amdhsa_exception_fp_denorm_src 0
		.amdhsa_exception_fp_ieee_div_zero 0
		.amdhsa_exception_fp_ieee_overflow 0
		.amdhsa_exception_fp_ieee_underflow 0
		.amdhsa_exception_fp_ieee_inexact 0
		.amdhsa_exception_int_div_zero 0
	.end_amdhsa_kernel
	.section	.text._ZN7rocprim17ROCPRIM_400000_NS6detail17trampoline_kernelINS0_14default_configENS1_22reduce_config_selectorIiEEZNS1_11reduce_implILb1ES3_N6thrust23THRUST_200600_302600_NS11hip_rocprim26transform_input_iterator_tIiNS8_12zip_iteratorINS8_5tupleIPjPiNS8_9null_typeESF_SF_SF_SF_SF_SF_SF_EEEEN6dUtils22getValueFilteredByMaskIjiEEEESE_iNS8_7maximumIjEEEE10hipError_tPvRmT1_T2_T3_mT4_P12ihipStream_tbEUlT_E1_NS1_11comp_targetILNS1_3genE9ELNS1_11target_archE1100ELNS1_3gpuE3ELNS1_3repE0EEENS1_30default_config_static_selectorELNS0_4arch9wavefront6targetE1EEEvSR_,"axG",@progbits,_ZN7rocprim17ROCPRIM_400000_NS6detail17trampoline_kernelINS0_14default_configENS1_22reduce_config_selectorIiEEZNS1_11reduce_implILb1ES3_N6thrust23THRUST_200600_302600_NS11hip_rocprim26transform_input_iterator_tIiNS8_12zip_iteratorINS8_5tupleIPjPiNS8_9null_typeESF_SF_SF_SF_SF_SF_SF_EEEEN6dUtils22getValueFilteredByMaskIjiEEEESE_iNS8_7maximumIjEEEE10hipError_tPvRmT1_T2_T3_mT4_P12ihipStream_tbEUlT_E1_NS1_11comp_targetILNS1_3genE9ELNS1_11target_archE1100ELNS1_3gpuE3ELNS1_3repE0EEENS1_30default_config_static_selectorELNS0_4arch9wavefront6targetE1EEEvSR_,comdat
.Lfunc_end439:
	.size	_ZN7rocprim17ROCPRIM_400000_NS6detail17trampoline_kernelINS0_14default_configENS1_22reduce_config_selectorIiEEZNS1_11reduce_implILb1ES3_N6thrust23THRUST_200600_302600_NS11hip_rocprim26transform_input_iterator_tIiNS8_12zip_iteratorINS8_5tupleIPjPiNS8_9null_typeESF_SF_SF_SF_SF_SF_SF_EEEEN6dUtils22getValueFilteredByMaskIjiEEEESE_iNS8_7maximumIjEEEE10hipError_tPvRmT1_T2_T3_mT4_P12ihipStream_tbEUlT_E1_NS1_11comp_targetILNS1_3genE9ELNS1_11target_archE1100ELNS1_3gpuE3ELNS1_3repE0EEENS1_30default_config_static_selectorELNS0_4arch9wavefront6targetE1EEEvSR_, .Lfunc_end439-_ZN7rocprim17ROCPRIM_400000_NS6detail17trampoline_kernelINS0_14default_configENS1_22reduce_config_selectorIiEEZNS1_11reduce_implILb1ES3_N6thrust23THRUST_200600_302600_NS11hip_rocprim26transform_input_iterator_tIiNS8_12zip_iteratorINS8_5tupleIPjPiNS8_9null_typeESF_SF_SF_SF_SF_SF_SF_EEEEN6dUtils22getValueFilteredByMaskIjiEEEESE_iNS8_7maximumIjEEEE10hipError_tPvRmT1_T2_T3_mT4_P12ihipStream_tbEUlT_E1_NS1_11comp_targetILNS1_3genE9ELNS1_11target_archE1100ELNS1_3gpuE3ELNS1_3repE0EEENS1_30default_config_static_selectorELNS0_4arch9wavefront6targetE1EEEvSR_
                                        ; -- End function
	.section	.AMDGPU.csdata,"",@progbits
; Kernel info:
; codeLenInByte = 0
; NumSgprs: 4
; NumVgprs: 0
; NumAgprs: 0
; TotalNumVgprs: 0
; ScratchSize: 0
; MemoryBound: 0
; FloatMode: 240
; IeeeMode: 1
; LDSByteSize: 0 bytes/workgroup (compile time only)
; SGPRBlocks: 0
; VGPRBlocks: 0
; NumSGPRsForWavesPerEU: 4
; NumVGPRsForWavesPerEU: 1
; AccumOffset: 4
; Occupancy: 8
; WaveLimiterHint : 0
; COMPUTE_PGM_RSRC2:SCRATCH_EN: 0
; COMPUTE_PGM_RSRC2:USER_SGPR: 6
; COMPUTE_PGM_RSRC2:TRAP_HANDLER: 0
; COMPUTE_PGM_RSRC2:TGID_X_EN: 1
; COMPUTE_PGM_RSRC2:TGID_Y_EN: 0
; COMPUTE_PGM_RSRC2:TGID_Z_EN: 0
; COMPUTE_PGM_RSRC2:TIDIG_COMP_CNT: 0
; COMPUTE_PGM_RSRC3_GFX90A:ACCUM_OFFSET: 0
; COMPUTE_PGM_RSRC3_GFX90A:TG_SPLIT: 0
	.section	.text._ZN7rocprim17ROCPRIM_400000_NS6detail17trampoline_kernelINS0_14default_configENS1_22reduce_config_selectorIiEEZNS1_11reduce_implILb1ES3_N6thrust23THRUST_200600_302600_NS11hip_rocprim26transform_input_iterator_tIiNS8_12zip_iteratorINS8_5tupleIPjPiNS8_9null_typeESF_SF_SF_SF_SF_SF_SF_EEEEN6dUtils22getValueFilteredByMaskIjiEEEESE_iNS8_7maximumIjEEEE10hipError_tPvRmT1_T2_T3_mT4_P12ihipStream_tbEUlT_E1_NS1_11comp_targetILNS1_3genE8ELNS1_11target_archE1030ELNS1_3gpuE2ELNS1_3repE0EEENS1_30default_config_static_selectorELNS0_4arch9wavefront6targetE1EEEvSR_,"axG",@progbits,_ZN7rocprim17ROCPRIM_400000_NS6detail17trampoline_kernelINS0_14default_configENS1_22reduce_config_selectorIiEEZNS1_11reduce_implILb1ES3_N6thrust23THRUST_200600_302600_NS11hip_rocprim26transform_input_iterator_tIiNS8_12zip_iteratorINS8_5tupleIPjPiNS8_9null_typeESF_SF_SF_SF_SF_SF_SF_EEEEN6dUtils22getValueFilteredByMaskIjiEEEESE_iNS8_7maximumIjEEEE10hipError_tPvRmT1_T2_T3_mT4_P12ihipStream_tbEUlT_E1_NS1_11comp_targetILNS1_3genE8ELNS1_11target_archE1030ELNS1_3gpuE2ELNS1_3repE0EEENS1_30default_config_static_selectorELNS0_4arch9wavefront6targetE1EEEvSR_,comdat
	.protected	_ZN7rocprim17ROCPRIM_400000_NS6detail17trampoline_kernelINS0_14default_configENS1_22reduce_config_selectorIiEEZNS1_11reduce_implILb1ES3_N6thrust23THRUST_200600_302600_NS11hip_rocprim26transform_input_iterator_tIiNS8_12zip_iteratorINS8_5tupleIPjPiNS8_9null_typeESF_SF_SF_SF_SF_SF_SF_EEEEN6dUtils22getValueFilteredByMaskIjiEEEESE_iNS8_7maximumIjEEEE10hipError_tPvRmT1_T2_T3_mT4_P12ihipStream_tbEUlT_E1_NS1_11comp_targetILNS1_3genE8ELNS1_11target_archE1030ELNS1_3gpuE2ELNS1_3repE0EEENS1_30default_config_static_selectorELNS0_4arch9wavefront6targetE1EEEvSR_ ; -- Begin function _ZN7rocprim17ROCPRIM_400000_NS6detail17trampoline_kernelINS0_14default_configENS1_22reduce_config_selectorIiEEZNS1_11reduce_implILb1ES3_N6thrust23THRUST_200600_302600_NS11hip_rocprim26transform_input_iterator_tIiNS8_12zip_iteratorINS8_5tupleIPjPiNS8_9null_typeESF_SF_SF_SF_SF_SF_SF_EEEEN6dUtils22getValueFilteredByMaskIjiEEEESE_iNS8_7maximumIjEEEE10hipError_tPvRmT1_T2_T3_mT4_P12ihipStream_tbEUlT_E1_NS1_11comp_targetILNS1_3genE8ELNS1_11target_archE1030ELNS1_3gpuE2ELNS1_3repE0EEENS1_30default_config_static_selectorELNS0_4arch9wavefront6targetE1EEEvSR_
	.globl	_ZN7rocprim17ROCPRIM_400000_NS6detail17trampoline_kernelINS0_14default_configENS1_22reduce_config_selectorIiEEZNS1_11reduce_implILb1ES3_N6thrust23THRUST_200600_302600_NS11hip_rocprim26transform_input_iterator_tIiNS8_12zip_iteratorINS8_5tupleIPjPiNS8_9null_typeESF_SF_SF_SF_SF_SF_SF_EEEEN6dUtils22getValueFilteredByMaskIjiEEEESE_iNS8_7maximumIjEEEE10hipError_tPvRmT1_T2_T3_mT4_P12ihipStream_tbEUlT_E1_NS1_11comp_targetILNS1_3genE8ELNS1_11target_archE1030ELNS1_3gpuE2ELNS1_3repE0EEENS1_30default_config_static_selectorELNS0_4arch9wavefront6targetE1EEEvSR_
	.p2align	8
	.type	_ZN7rocprim17ROCPRIM_400000_NS6detail17trampoline_kernelINS0_14default_configENS1_22reduce_config_selectorIiEEZNS1_11reduce_implILb1ES3_N6thrust23THRUST_200600_302600_NS11hip_rocprim26transform_input_iterator_tIiNS8_12zip_iteratorINS8_5tupleIPjPiNS8_9null_typeESF_SF_SF_SF_SF_SF_SF_EEEEN6dUtils22getValueFilteredByMaskIjiEEEESE_iNS8_7maximumIjEEEE10hipError_tPvRmT1_T2_T3_mT4_P12ihipStream_tbEUlT_E1_NS1_11comp_targetILNS1_3genE8ELNS1_11target_archE1030ELNS1_3gpuE2ELNS1_3repE0EEENS1_30default_config_static_selectorELNS0_4arch9wavefront6targetE1EEEvSR_,@function
_ZN7rocprim17ROCPRIM_400000_NS6detail17trampoline_kernelINS0_14default_configENS1_22reduce_config_selectorIiEEZNS1_11reduce_implILb1ES3_N6thrust23THRUST_200600_302600_NS11hip_rocprim26transform_input_iterator_tIiNS8_12zip_iteratorINS8_5tupleIPjPiNS8_9null_typeESF_SF_SF_SF_SF_SF_SF_EEEEN6dUtils22getValueFilteredByMaskIjiEEEESE_iNS8_7maximumIjEEEE10hipError_tPvRmT1_T2_T3_mT4_P12ihipStream_tbEUlT_E1_NS1_11comp_targetILNS1_3genE8ELNS1_11target_archE1030ELNS1_3gpuE2ELNS1_3repE0EEENS1_30default_config_static_selectorELNS0_4arch9wavefront6targetE1EEEvSR_: ; @_ZN7rocprim17ROCPRIM_400000_NS6detail17trampoline_kernelINS0_14default_configENS1_22reduce_config_selectorIiEEZNS1_11reduce_implILb1ES3_N6thrust23THRUST_200600_302600_NS11hip_rocprim26transform_input_iterator_tIiNS8_12zip_iteratorINS8_5tupleIPjPiNS8_9null_typeESF_SF_SF_SF_SF_SF_SF_EEEEN6dUtils22getValueFilteredByMaskIjiEEEESE_iNS8_7maximumIjEEEE10hipError_tPvRmT1_T2_T3_mT4_P12ihipStream_tbEUlT_E1_NS1_11comp_targetILNS1_3genE8ELNS1_11target_archE1030ELNS1_3gpuE2ELNS1_3repE0EEENS1_30default_config_static_selectorELNS0_4arch9wavefront6targetE1EEEvSR_
; %bb.0:
	.section	.rodata,"a",@progbits
	.p2align	6, 0x0
	.amdhsa_kernel _ZN7rocprim17ROCPRIM_400000_NS6detail17trampoline_kernelINS0_14default_configENS1_22reduce_config_selectorIiEEZNS1_11reduce_implILb1ES3_N6thrust23THRUST_200600_302600_NS11hip_rocprim26transform_input_iterator_tIiNS8_12zip_iteratorINS8_5tupleIPjPiNS8_9null_typeESF_SF_SF_SF_SF_SF_SF_EEEEN6dUtils22getValueFilteredByMaskIjiEEEESE_iNS8_7maximumIjEEEE10hipError_tPvRmT1_T2_T3_mT4_P12ihipStream_tbEUlT_E1_NS1_11comp_targetILNS1_3genE8ELNS1_11target_archE1030ELNS1_3gpuE2ELNS1_3repE0EEENS1_30default_config_static_selectorELNS0_4arch9wavefront6targetE1EEEvSR_
		.amdhsa_group_segment_fixed_size 0
		.amdhsa_private_segment_fixed_size 0
		.amdhsa_kernarg_size 56
		.amdhsa_user_sgpr_count 6
		.amdhsa_user_sgpr_private_segment_buffer 1
		.amdhsa_user_sgpr_dispatch_ptr 0
		.amdhsa_user_sgpr_queue_ptr 0
		.amdhsa_user_sgpr_kernarg_segment_ptr 1
		.amdhsa_user_sgpr_dispatch_id 0
		.amdhsa_user_sgpr_flat_scratch_init 0
		.amdhsa_user_sgpr_kernarg_preload_length 0
		.amdhsa_user_sgpr_kernarg_preload_offset 0
		.amdhsa_user_sgpr_private_segment_size 0
		.amdhsa_uses_dynamic_stack 0
		.amdhsa_system_sgpr_private_segment_wavefront_offset 0
		.amdhsa_system_sgpr_workgroup_id_x 1
		.amdhsa_system_sgpr_workgroup_id_y 0
		.amdhsa_system_sgpr_workgroup_id_z 0
		.amdhsa_system_sgpr_workgroup_info 0
		.amdhsa_system_vgpr_workitem_id 0
		.amdhsa_next_free_vgpr 1
		.amdhsa_next_free_sgpr 0
		.amdhsa_accum_offset 4
		.amdhsa_reserve_vcc 0
		.amdhsa_reserve_flat_scratch 0
		.amdhsa_float_round_mode_32 0
		.amdhsa_float_round_mode_16_64 0
		.amdhsa_float_denorm_mode_32 3
		.amdhsa_float_denorm_mode_16_64 3
		.amdhsa_dx10_clamp 1
		.amdhsa_ieee_mode 1
		.amdhsa_fp16_overflow 0
		.amdhsa_tg_split 0
		.amdhsa_exception_fp_ieee_invalid_op 0
		.amdhsa_exception_fp_denorm_src 0
		.amdhsa_exception_fp_ieee_div_zero 0
		.amdhsa_exception_fp_ieee_overflow 0
		.amdhsa_exception_fp_ieee_underflow 0
		.amdhsa_exception_fp_ieee_inexact 0
		.amdhsa_exception_int_div_zero 0
	.end_amdhsa_kernel
	.section	.text._ZN7rocprim17ROCPRIM_400000_NS6detail17trampoline_kernelINS0_14default_configENS1_22reduce_config_selectorIiEEZNS1_11reduce_implILb1ES3_N6thrust23THRUST_200600_302600_NS11hip_rocprim26transform_input_iterator_tIiNS8_12zip_iteratorINS8_5tupleIPjPiNS8_9null_typeESF_SF_SF_SF_SF_SF_SF_EEEEN6dUtils22getValueFilteredByMaskIjiEEEESE_iNS8_7maximumIjEEEE10hipError_tPvRmT1_T2_T3_mT4_P12ihipStream_tbEUlT_E1_NS1_11comp_targetILNS1_3genE8ELNS1_11target_archE1030ELNS1_3gpuE2ELNS1_3repE0EEENS1_30default_config_static_selectorELNS0_4arch9wavefront6targetE1EEEvSR_,"axG",@progbits,_ZN7rocprim17ROCPRIM_400000_NS6detail17trampoline_kernelINS0_14default_configENS1_22reduce_config_selectorIiEEZNS1_11reduce_implILb1ES3_N6thrust23THRUST_200600_302600_NS11hip_rocprim26transform_input_iterator_tIiNS8_12zip_iteratorINS8_5tupleIPjPiNS8_9null_typeESF_SF_SF_SF_SF_SF_SF_EEEEN6dUtils22getValueFilteredByMaskIjiEEEESE_iNS8_7maximumIjEEEE10hipError_tPvRmT1_T2_T3_mT4_P12ihipStream_tbEUlT_E1_NS1_11comp_targetILNS1_3genE8ELNS1_11target_archE1030ELNS1_3gpuE2ELNS1_3repE0EEENS1_30default_config_static_selectorELNS0_4arch9wavefront6targetE1EEEvSR_,comdat
.Lfunc_end440:
	.size	_ZN7rocprim17ROCPRIM_400000_NS6detail17trampoline_kernelINS0_14default_configENS1_22reduce_config_selectorIiEEZNS1_11reduce_implILb1ES3_N6thrust23THRUST_200600_302600_NS11hip_rocprim26transform_input_iterator_tIiNS8_12zip_iteratorINS8_5tupleIPjPiNS8_9null_typeESF_SF_SF_SF_SF_SF_SF_EEEEN6dUtils22getValueFilteredByMaskIjiEEEESE_iNS8_7maximumIjEEEE10hipError_tPvRmT1_T2_T3_mT4_P12ihipStream_tbEUlT_E1_NS1_11comp_targetILNS1_3genE8ELNS1_11target_archE1030ELNS1_3gpuE2ELNS1_3repE0EEENS1_30default_config_static_selectorELNS0_4arch9wavefront6targetE1EEEvSR_, .Lfunc_end440-_ZN7rocprim17ROCPRIM_400000_NS6detail17trampoline_kernelINS0_14default_configENS1_22reduce_config_selectorIiEEZNS1_11reduce_implILb1ES3_N6thrust23THRUST_200600_302600_NS11hip_rocprim26transform_input_iterator_tIiNS8_12zip_iteratorINS8_5tupleIPjPiNS8_9null_typeESF_SF_SF_SF_SF_SF_SF_EEEEN6dUtils22getValueFilteredByMaskIjiEEEESE_iNS8_7maximumIjEEEE10hipError_tPvRmT1_T2_T3_mT4_P12ihipStream_tbEUlT_E1_NS1_11comp_targetILNS1_3genE8ELNS1_11target_archE1030ELNS1_3gpuE2ELNS1_3repE0EEENS1_30default_config_static_selectorELNS0_4arch9wavefront6targetE1EEEvSR_
                                        ; -- End function
	.section	.AMDGPU.csdata,"",@progbits
; Kernel info:
; codeLenInByte = 0
; NumSgprs: 4
; NumVgprs: 0
; NumAgprs: 0
; TotalNumVgprs: 0
; ScratchSize: 0
; MemoryBound: 0
; FloatMode: 240
; IeeeMode: 1
; LDSByteSize: 0 bytes/workgroup (compile time only)
; SGPRBlocks: 0
; VGPRBlocks: 0
; NumSGPRsForWavesPerEU: 4
; NumVGPRsForWavesPerEU: 1
; AccumOffset: 4
; Occupancy: 8
; WaveLimiterHint : 0
; COMPUTE_PGM_RSRC2:SCRATCH_EN: 0
; COMPUTE_PGM_RSRC2:USER_SGPR: 6
; COMPUTE_PGM_RSRC2:TRAP_HANDLER: 0
; COMPUTE_PGM_RSRC2:TGID_X_EN: 1
; COMPUTE_PGM_RSRC2:TGID_Y_EN: 0
; COMPUTE_PGM_RSRC2:TGID_Z_EN: 0
; COMPUTE_PGM_RSRC2:TIDIG_COMP_CNT: 0
; COMPUTE_PGM_RSRC3_GFX90A:ACCUM_OFFSET: 0
; COMPUTE_PGM_RSRC3_GFX90A:TG_SPLIT: 0
	.section	.text._Z36insert_batch_no_update_masked_kernelIjjEvPT_PT0_PKS0_PKS2_PKiii,"axG",@progbits,_Z36insert_batch_no_update_masked_kernelIjjEvPT_PT0_PKS0_PKS2_PKiii,comdat
	.protected	_Z36insert_batch_no_update_masked_kernelIjjEvPT_PT0_PKS0_PKS2_PKiii ; -- Begin function _Z36insert_batch_no_update_masked_kernelIjjEvPT_PT0_PKS0_PKS2_PKiii
	.globl	_Z36insert_batch_no_update_masked_kernelIjjEvPT_PT0_PKS0_PKS2_PKiii
	.p2align	8
	.type	_Z36insert_batch_no_update_masked_kernelIjjEvPT_PT0_PKS0_PKS2_PKiii,@function
_Z36insert_batch_no_update_masked_kernelIjjEvPT_PT0_PKS0_PKS2_PKiii: ; @_Z36insert_batch_no_update_masked_kernelIjjEvPT_PT0_PKS0_PKS2_PKiii
; %bb.0:
	s_load_dword s0, s[4:5], 0x3c
	s_load_dwordx2 s[8:9], s[4:5], 0x28
	s_waitcnt lgkmcnt(0)
	s_and_b32 s0, s0, 0xffff
	s_mul_i32 s6, s6, s0
	v_add_u32_e32 v0, s6, v0
	v_cmp_gt_i32_e32 vcc, s8, v0
	s_and_saveexec_b64 s[0:1], vcc
	s_cbranch_execz .LBB441_10
; %bb.1:
	s_load_dwordx2 s[0:1], s[4:5], 0x20
	v_ashrrev_i32_e32 v1, 31, v0
	v_lshlrev_b64 v[2:3], 2, v[0:1]
	s_waitcnt lgkmcnt(0)
	v_mov_b32_e32 v1, s1
	v_add_co_u32_e32 v0, vcc, s0, v2
	v_addc_co_u32_e32 v1, vcc, v1, v3, vcc
	global_load_dword v0, v[0:1], off
	s_waitcnt vmcnt(0)
	v_cmp_eq_u32_e32 vcc, 1, v0
	s_and_b64 exec, exec, vcc
	s_cbranch_execz .LBB441_10
; %bb.2:
	s_load_dwordx8 s[0:7], s[4:5], 0x0
	s_sub_i32 s8, 0, s9
	s_waitcnt lgkmcnt(0)
	v_mov_b32_e32 v1, s5
	v_add_co_u32_e32 v0, vcc, s4, v2
	v_addc_co_u32_e32 v1, vcc, v1, v3, vcc
	global_load_dword v0, v[0:1], off
	v_mov_b32_e32 v1, s7
	v_add_co_u32_e32 v2, vcc, s6, v2
	v_addc_co_u32_e32 v3, vcc, v1, v3, vcc
	global_load_dword v6, v[2:3], off
	v_cvt_f32_u32_e32 v1, s9
	s_mov_b32 s6, 0x85ebca6b
	s_mov_b32 s7, 0xc2b2ae35
	v_mov_b32_e32 v3, 0
	v_rcp_iflag_f32_e32 v1, v1
	s_mov_b64 s[4:5], 0
	v_mov_b32_e32 v7, s1
	v_mul_f32_e32 v1, 0x4f7ffffe, v1
	v_cvt_u32_f32_e32 v1, v1
	v_mul_lo_u32 v2, s8, v1
	v_mul_hi_u32 v2, v1, v2
	v_add_u32_e32 v8, v1, v2
	s_waitcnt vmcnt(1)
	v_xor_b32_sdwa v1, v0, v0 dst_sel:DWORD dst_unused:UNUSED_PAD src0_sel:WORD_1 src1_sel:DWORD
	v_mul_lo_u32 v1, v1, s6
	v_lshrrev_b32_e32 v2, 13, v1
	v_xor_b32_e32 v1, v2, v1
	v_mul_lo_u32 v1, v1, s7
	v_xor_b32_sdwa v1, v1, v1 dst_sel:DWORD dst_unused:UNUSED_PAD src0_sel:WORD_1 src1_sel:DWORD
	v_mul_hi_u32 v2, v1, v8
	v_mul_lo_u32 v2, v2, s9
	v_sub_u32_e32 v1, v1, v2
	v_subrev_u32_e32 v2, s9, v1
	v_cmp_le_u32_e32 vcc, s9, v1
	v_cndmask_b32_e32 v1, v1, v2, vcc
	v_subrev_u32_e32 v2, s9, v1
	v_cmp_le_u32_e32 vcc, s9, v1
	v_cndmask_b32_e32 v2, v1, v2, vcc
	v_mov_b32_e32 v1, -1
	s_branch .LBB441_4
.LBB441_3:                              ;   in Loop: Header=BB441_4 Depth=1
	s_or_b64 exec, exec, s[10:11]
	s_xor_b64 s[6:7], s[6:7], -1
	s_and_b64 s[6:7], exec, s[6:7]
	s_or_b64 s[4:5], s[6:7], s[4:5]
	s_andn2_b64 exec, exec, s[4:5]
	s_cbranch_execz .LBB441_10
.LBB441_4:                              ; =>This Inner Loop Header: Depth=1
	v_lshlrev_b64 v[4:5], 2, v[2:3]
	v_add_co_u32_e32 v10, vcc, s0, v4
	v_addc_co_u32_e32 v11, vcc, v7, v5, vcc
	global_atomic_cmpswap v9, v[10:11], v[0:1], off glc
                                        ; implicit-def: $sgpr6_sgpr7
	s_waitcnt vmcnt(0)
	v_cmp_ne_u32_e32 vcc, -1, v9
	s_and_saveexec_b64 s[10:11], vcc
	s_xor_b64 s[10:11], exec, s[10:11]
	s_cbranch_execz .LBB441_8
; %bb.5:                                ;   in Loop: Header=BB441_4 Depth=1
	v_cmp_ne_u32_e32 vcc, v9, v0
	s_mov_b64 s[6:7], 0
	s_and_saveexec_b64 s[12:13], vcc
; %bb.6:                                ;   in Loop: Header=BB441_4 Depth=1
	v_add_u32_e32 v2, 1, v2
	v_mul_hi_u32 v4, v2, v8
	v_mul_lo_u32 v4, v4, s9
	v_sub_u32_e32 v2, v2, v4
	v_subrev_u32_e32 v4, s9, v2
	v_cmp_le_u32_e32 vcc, s9, v2
	v_cndmask_b32_e32 v2, v2, v4, vcc
	v_subrev_u32_e32 v4, s9, v2
	v_cmp_le_u32_e32 vcc, s9, v2
	s_mov_b64 s[6:7], exec
	v_cndmask_b32_e32 v2, v2, v4, vcc
; %bb.7:                                ;   in Loop: Header=BB441_4 Depth=1
	s_or_b64 exec, exec, s[12:13]
	s_and_b64 s[6:7], s[6:7], exec
                                        ; implicit-def: $vgpr4_vgpr5
.LBB441_8:                              ;   in Loop: Header=BB441_4 Depth=1
	s_andn2_saveexec_b64 s[10:11], s[10:11]
	s_cbranch_execz .LBB441_3
; %bb.9:                                ;   in Loop: Header=BB441_4 Depth=1
	v_mov_b32_e32 v9, s3
	v_add_co_u32_e32 v4, vcc, s2, v4
	v_addc_co_u32_e32 v5, vcc, v9, v5, vcc
	s_andn2_b64 s[6:7], s[6:7], exec
	global_store_dword v[4:5], v6, off
	s_branch .LBB441_3
.LBB441_10:
	s_endpgm
	.section	.rodata,"a",@progbits
	.p2align	6, 0x0
	.amdhsa_kernel _Z36insert_batch_no_update_masked_kernelIjjEvPT_PT0_PKS0_PKS2_PKiii
		.amdhsa_group_segment_fixed_size 0
		.amdhsa_private_segment_fixed_size 0
		.amdhsa_kernarg_size 304
		.amdhsa_user_sgpr_count 6
		.amdhsa_user_sgpr_private_segment_buffer 1
		.amdhsa_user_sgpr_dispatch_ptr 0
		.amdhsa_user_sgpr_queue_ptr 0
		.amdhsa_user_sgpr_kernarg_segment_ptr 1
		.amdhsa_user_sgpr_dispatch_id 0
		.amdhsa_user_sgpr_flat_scratch_init 0
		.amdhsa_user_sgpr_kernarg_preload_length 0
		.amdhsa_user_sgpr_kernarg_preload_offset 0
		.amdhsa_user_sgpr_private_segment_size 0
		.amdhsa_uses_dynamic_stack 0
		.amdhsa_system_sgpr_private_segment_wavefront_offset 0
		.amdhsa_system_sgpr_workgroup_id_x 1
		.amdhsa_system_sgpr_workgroup_id_y 0
		.amdhsa_system_sgpr_workgroup_id_z 0
		.amdhsa_system_sgpr_workgroup_info 0
		.amdhsa_system_vgpr_workitem_id 0
		.amdhsa_next_free_vgpr 12
		.amdhsa_next_free_sgpr 14
		.amdhsa_accum_offset 12
		.amdhsa_reserve_vcc 1
		.amdhsa_reserve_flat_scratch 0
		.amdhsa_float_round_mode_32 0
		.amdhsa_float_round_mode_16_64 0
		.amdhsa_float_denorm_mode_32 3
		.amdhsa_float_denorm_mode_16_64 3
		.amdhsa_dx10_clamp 1
		.amdhsa_ieee_mode 1
		.amdhsa_fp16_overflow 0
		.amdhsa_tg_split 0
		.amdhsa_exception_fp_ieee_invalid_op 0
		.amdhsa_exception_fp_denorm_src 0
		.amdhsa_exception_fp_ieee_div_zero 0
		.amdhsa_exception_fp_ieee_overflow 0
		.amdhsa_exception_fp_ieee_underflow 0
		.amdhsa_exception_fp_ieee_inexact 0
		.amdhsa_exception_int_div_zero 0
	.end_amdhsa_kernel
	.section	.text._Z36insert_batch_no_update_masked_kernelIjjEvPT_PT0_PKS0_PKS2_PKiii,"axG",@progbits,_Z36insert_batch_no_update_masked_kernelIjjEvPT_PT0_PKS0_PKS2_PKiii,comdat
.Lfunc_end441:
	.size	_Z36insert_batch_no_update_masked_kernelIjjEvPT_PT0_PKS0_PKS2_PKiii, .Lfunc_end441-_Z36insert_batch_no_update_masked_kernelIjjEvPT_PT0_PKS0_PKS2_PKiii
                                        ; -- End function
	.section	.AMDGPU.csdata,"",@progbits
; Kernel info:
; codeLenInByte = 508
; NumSgprs: 18
; NumVgprs: 12
; NumAgprs: 0
; TotalNumVgprs: 12
; ScratchSize: 0
; MemoryBound: 0
; FloatMode: 240
; IeeeMode: 1
; LDSByteSize: 0 bytes/workgroup (compile time only)
; SGPRBlocks: 2
; VGPRBlocks: 1
; NumSGPRsForWavesPerEU: 18
; NumVGPRsForWavesPerEU: 12
; AccumOffset: 12
; Occupancy: 8
; WaveLimiterHint : 0
; COMPUTE_PGM_RSRC2:SCRATCH_EN: 0
; COMPUTE_PGM_RSRC2:USER_SGPR: 6
; COMPUTE_PGM_RSRC2:TRAP_HANDLER: 0
; COMPUTE_PGM_RSRC2:TGID_X_EN: 1
; COMPUTE_PGM_RSRC2:TGID_Y_EN: 0
; COMPUTE_PGM_RSRC2:TGID_Z_EN: 0
; COMPUTE_PGM_RSRC2:TIDIG_COMP_CNT: 0
; COMPUTE_PGM_RSRC3_GFX90A:ACCUM_OFFSET: 2
; COMPUTE_PGM_RSRC3_GFX90A:TG_SPLIT: 0
	.section	.text._Z17getEntryIndicatorIyjEvPiPT_i,"axG",@progbits,_Z17getEntryIndicatorIyjEvPiPT_i,comdat
	.protected	_Z17getEntryIndicatorIyjEvPiPT_i ; -- Begin function _Z17getEntryIndicatorIyjEvPiPT_i
	.globl	_Z17getEntryIndicatorIyjEvPiPT_i
	.p2align	8
	.type	_Z17getEntryIndicatorIyjEvPiPT_i,@function
_Z17getEntryIndicatorIyjEvPiPT_i:       ; @_Z17getEntryIndicatorIyjEvPiPT_i
; %bb.0:
	s_load_dword s0, s[4:5], 0x24
	s_load_dword s1, s[4:5], 0x10
	s_waitcnt lgkmcnt(0)
	s_and_b32 s0, s0, 0xffff
	s_mul_i32 s6, s6, s0
	v_add_u32_e32 v0, s6, v0
	v_cmp_gt_i32_e32 vcc, s1, v0
	s_and_saveexec_b64 s[0:1], vcc
	s_cbranch_execz .LBB442_2
; %bb.1:
	s_load_dwordx4 s[0:3], s[4:5], 0x0
	v_ashrrev_i32_e32 v1, 31, v0
	v_lshlrev_b64 v[2:3], 3, v[0:1]
	v_lshlrev_b64 v[0:1], 2, v[0:1]
	s_waitcnt lgkmcnt(0)
	v_mov_b32_e32 v4, s3
	v_add_co_u32_e32 v2, vcc, s2, v2
	v_addc_co_u32_e32 v3, vcc, v4, v3, vcc
	global_load_dwordx2 v[2:3], v[2:3], off
	v_mov_b32_e32 v4, s1
	v_add_co_u32_e32 v0, vcc, s0, v0
	v_addc_co_u32_e32 v1, vcc, v4, v1, vcc
	s_waitcnt vmcnt(0)
	v_cmp_ne_u64_e32 vcc, -1, v[2:3]
	v_cndmask_b32_e64 v2, 0, 1, vcc
	global_store_dword v[0:1], v2, off
.LBB442_2:
	s_endpgm
	.section	.rodata,"a",@progbits
	.p2align	6, 0x0
	.amdhsa_kernel _Z17getEntryIndicatorIyjEvPiPT_i
		.amdhsa_group_segment_fixed_size 0
		.amdhsa_private_segment_fixed_size 0
		.amdhsa_kernarg_size 280
		.amdhsa_user_sgpr_count 6
		.amdhsa_user_sgpr_private_segment_buffer 1
		.amdhsa_user_sgpr_dispatch_ptr 0
		.amdhsa_user_sgpr_queue_ptr 0
		.amdhsa_user_sgpr_kernarg_segment_ptr 1
		.amdhsa_user_sgpr_dispatch_id 0
		.amdhsa_user_sgpr_flat_scratch_init 0
		.amdhsa_user_sgpr_kernarg_preload_length 0
		.amdhsa_user_sgpr_kernarg_preload_offset 0
		.amdhsa_user_sgpr_private_segment_size 0
		.amdhsa_uses_dynamic_stack 0
		.amdhsa_system_sgpr_private_segment_wavefront_offset 0
		.amdhsa_system_sgpr_workgroup_id_x 1
		.amdhsa_system_sgpr_workgroup_id_y 0
		.amdhsa_system_sgpr_workgroup_id_z 0
		.amdhsa_system_sgpr_workgroup_info 0
		.amdhsa_system_vgpr_workitem_id 0
		.amdhsa_next_free_vgpr 5
		.amdhsa_next_free_sgpr 7
		.amdhsa_accum_offset 8
		.amdhsa_reserve_vcc 1
		.amdhsa_reserve_flat_scratch 0
		.amdhsa_float_round_mode_32 0
		.amdhsa_float_round_mode_16_64 0
		.amdhsa_float_denorm_mode_32 3
		.amdhsa_float_denorm_mode_16_64 3
		.amdhsa_dx10_clamp 1
		.amdhsa_ieee_mode 1
		.amdhsa_fp16_overflow 0
		.amdhsa_tg_split 0
		.amdhsa_exception_fp_ieee_invalid_op 0
		.amdhsa_exception_fp_denorm_src 0
		.amdhsa_exception_fp_ieee_div_zero 0
		.amdhsa_exception_fp_ieee_overflow 0
		.amdhsa_exception_fp_ieee_underflow 0
		.amdhsa_exception_fp_ieee_inexact 0
		.amdhsa_exception_int_div_zero 0
	.end_amdhsa_kernel
	.section	.text._Z17getEntryIndicatorIyjEvPiPT_i,"axG",@progbits,_Z17getEntryIndicatorIyjEvPiPT_i,comdat
.Lfunc_end442:
	.size	_Z17getEntryIndicatorIyjEvPiPT_i, .Lfunc_end442-_Z17getEntryIndicatorIyjEvPiPT_i
                                        ; -- End function
	.section	.AMDGPU.csdata,"",@progbits
; Kernel info:
; codeLenInByte = 140
; NumSgprs: 11
; NumVgprs: 5
; NumAgprs: 0
; TotalNumVgprs: 5
; ScratchSize: 0
; MemoryBound: 0
; FloatMode: 240
; IeeeMode: 1
; LDSByteSize: 0 bytes/workgroup (compile time only)
; SGPRBlocks: 1
; VGPRBlocks: 0
; NumSGPRsForWavesPerEU: 11
; NumVGPRsForWavesPerEU: 5
; AccumOffset: 8
; Occupancy: 8
; WaveLimiterHint : 0
; COMPUTE_PGM_RSRC2:SCRATCH_EN: 0
; COMPUTE_PGM_RSRC2:USER_SGPR: 6
; COMPUTE_PGM_RSRC2:TRAP_HANDLER: 0
; COMPUTE_PGM_RSRC2:TGID_X_EN: 1
; COMPUTE_PGM_RSRC2:TGID_Y_EN: 0
; COMPUTE_PGM_RSRC2:TGID_Z_EN: 0
; COMPUTE_PGM_RSRC2:TIDIG_COMP_CNT: 0
; COMPUTE_PGM_RSRC3_GFX90A:ACCUM_OFFSET: 1
; COMPUTE_PGM_RSRC3_GFX90A:TG_SPLIT: 0
	.section	.text._Z15gatherKeyValuesIyjEvPKiPKT_PKT0_PS2_PS5_i,"axG",@progbits,_Z15gatherKeyValuesIyjEvPKiPKT_PKT0_PS2_PS5_i,comdat
	.protected	_Z15gatherKeyValuesIyjEvPKiPKT_PKT0_PS2_PS5_i ; -- Begin function _Z15gatherKeyValuesIyjEvPKiPKT_PKT0_PS2_PS5_i
	.globl	_Z15gatherKeyValuesIyjEvPKiPKT_PKT0_PS2_PS5_i
	.p2align	8
	.type	_Z15gatherKeyValuesIyjEvPKiPKT_PKT0_PS2_PS5_i,@function
_Z15gatherKeyValuesIyjEvPKiPKT_PKT0_PS2_PS5_i: ; @_Z15gatherKeyValuesIyjEvPKiPKT_PKT0_PS2_PS5_i
; %bb.0:
	s_load_dword s2, s[4:5], 0x3c
	s_load_dwordx2 s[0:1], s[4:5], 0x20
	s_load_dwordx8 s[8:15], s[4:5], 0x0
                                        ; implicit-def: $vgpr2_vgpr3
                                        ; implicit-def: $vgpr4_vgpr5
                                        ; implicit-def: $vgpr6_vgpr7
	s_waitcnt lgkmcnt(0)
	s_and_b32 s2, s2, 0xffff
	s_mul_i32 s6, s6, s2
	v_add_u32_e32 v8, s6, v0
	v_cmp_ne_u32_e32 vcc, 0, v8
	s_mov_b64 s[6:7], 0
                                        ; implicit-def: $vgpr0_vgpr1
	s_and_saveexec_b64 s[2:3], vcc
	s_xor_b64 s[2:3], exec, s[2:3]
	s_cbranch_execnz .LBB443_4
; %bb.1:
	s_andn2_saveexec_b64 s[2:3], s[2:3]
	s_cbranch_execnz .LBB443_9
.LBB443_2:
	s_or_b64 exec, exec, s[2:3]
	s_and_saveexec_b64 s[0:1], s[6:7]
	s_cbranch_execnz .LBB443_10
.LBB443_3:
	s_endpgm
.LBB443_4:
	s_load_dword s4, s[4:5], 0x28
                                        ; implicit-def: $vgpr0_vgpr1
                                        ; implicit-def: $vgpr2_vgpr3
                                        ; implicit-def: $vgpr4_vgpr5
                                        ; implicit-def: $vgpr6_vgpr7
	s_waitcnt lgkmcnt(0)
	v_cmp_gt_i32_e32 vcc, s4, v8
	s_and_saveexec_b64 s[4:5], vcc
	s_cbranch_execz .LBB443_8
; %bb.5:
	v_ashrrev_i32_e32 v9, 31, v8
	v_lshlrev_b64 v[10:11], 2, v[8:9]
	v_mov_b32_e32 v1, s9
	v_add_co_u32_e32 v0, vcc, s8, v10
	v_addc_co_u32_e32 v1, vcc, v1, v11, vcc
	global_load_dwordx2 v[12:13], v[0:1], off offset:-4
                                        ; implicit-def: $vgpr0_vgpr1
                                        ; implicit-def: $vgpr2_vgpr3
                                        ; implicit-def: $vgpr4_vgpr5
                                        ; implicit-def: $vgpr6_vgpr7
	s_waitcnt vmcnt(0)
	v_cmp_gt_i32_e32 vcc, v13, v12
	s_and_saveexec_b64 s[16:17], vcc
	s_xor_b64 s[16:17], exec, s[16:17]
	s_cbranch_execz .LBB443_7
; %bb.6:
	v_ashrrev_i32_e32 v5, 31, v13
	v_mov_b32_e32 v4, v13
	v_lshlrev_b64 v[0:1], 2, v[4:5]
	v_mov_b32_e32 v2, s1
	v_add_co_u32_e32 v0, vcc, s0, v0
	v_addc_co_u32_e32 v1, vcc, v2, v1, vcc
	v_add_co_u32_e32 v0, vcc, -4, v0
	v_addc_co_u32_e32 v1, vcc, -1, v1, vcc
	v_mov_b32_e32 v3, s13
	v_add_co_u32_e32 v2, vcc, s12, v10
	v_addc_co_u32_e32 v3, vcc, v3, v11, vcc
	v_lshlrev_b64 v[4:5], 3, v[4:5]
	v_mov_b32_e32 v6, s15
	v_add_co_u32_e32 v4, vcc, s14, v4
	v_addc_co_u32_e32 v5, vcc, v6, v5, vcc
	v_add_co_u32_e32 v4, vcc, -8, v4
	v_addc_co_u32_e32 v5, vcc, -1, v5, vcc
	v_lshlrev_b64 v[6:7], 3, v[8:9]
	v_mov_b32_e32 v8, s11
	v_add_co_u32_e32 v6, vcc, s10, v6
	s_mov_b64 s[6:7], exec
	v_addc_co_u32_e32 v7, vcc, v8, v7, vcc
.LBB443_7:
	s_or_b64 exec, exec, s[16:17]
	s_and_b64 s[6:7], s[6:7], exec
.LBB443_8:
	s_or_b64 exec, exec, s[4:5]
	s_and_b64 s[6:7], s[6:7], exec
	s_andn2_saveexec_b64 s[2:3], s[2:3]
	s_cbranch_execz .LBB443_2
.LBB443_9:
	s_load_dword s4, s[8:9], 0x0
	v_pk_mov_b32 v[0:1], s[0:1], s[0:1] op_sel:[0,1]
	v_pk_mov_b32 v[2:3], s[12:13], s[12:13] op_sel:[0,1]
	v_pk_mov_b32 v[4:5], s[14:15], s[14:15] op_sel:[0,1]
	v_pk_mov_b32 v[6:7], s[10:11], s[10:11] op_sel:[0,1]
	s_waitcnt lgkmcnt(0)
	s_cmp_eq_u32 s4, 1
	s_cselect_b64 s[0:1], -1, 0
	s_andn2_b64 s[4:5], s[6:7], exec
	s_and_b64 s[0:1], s[0:1], exec
	s_or_b64 s[6:7], s[4:5], s[0:1]
	s_or_b64 exec, exec, s[2:3]
	s_and_saveexec_b64 s[0:1], s[6:7]
	s_cbranch_execz .LBB443_3
.LBB443_10:
	global_load_dwordx2 v[8:9], v[6:7], off
	global_load_dword v10, v[2:3], off
	s_waitcnt vmcnt(1)
	global_store_dwordx2 v[4:5], v[8:9], off
	s_waitcnt vmcnt(1)
	global_store_dword v[0:1], v10, off
	s_endpgm
	.section	.rodata,"a",@progbits
	.p2align	6, 0x0
	.amdhsa_kernel _Z15gatherKeyValuesIyjEvPKiPKT_PKT0_PS2_PS5_i
		.amdhsa_group_segment_fixed_size 0
		.amdhsa_private_segment_fixed_size 0
		.amdhsa_kernarg_size 304
		.amdhsa_user_sgpr_count 6
		.amdhsa_user_sgpr_private_segment_buffer 1
		.amdhsa_user_sgpr_dispatch_ptr 0
		.amdhsa_user_sgpr_queue_ptr 0
		.amdhsa_user_sgpr_kernarg_segment_ptr 1
		.amdhsa_user_sgpr_dispatch_id 0
		.amdhsa_user_sgpr_flat_scratch_init 0
		.amdhsa_user_sgpr_kernarg_preload_length 0
		.amdhsa_user_sgpr_kernarg_preload_offset 0
		.amdhsa_user_sgpr_private_segment_size 0
		.amdhsa_uses_dynamic_stack 0
		.amdhsa_system_sgpr_private_segment_wavefront_offset 0
		.amdhsa_system_sgpr_workgroup_id_x 1
		.amdhsa_system_sgpr_workgroup_id_y 0
		.amdhsa_system_sgpr_workgroup_id_z 0
		.amdhsa_system_sgpr_workgroup_info 0
		.amdhsa_system_vgpr_workitem_id 0
		.amdhsa_next_free_vgpr 14
		.amdhsa_next_free_sgpr 18
		.amdhsa_accum_offset 16
		.amdhsa_reserve_vcc 1
		.amdhsa_reserve_flat_scratch 0
		.amdhsa_float_round_mode_32 0
		.amdhsa_float_round_mode_16_64 0
		.amdhsa_float_denorm_mode_32 3
		.amdhsa_float_denorm_mode_16_64 3
		.amdhsa_dx10_clamp 1
		.amdhsa_ieee_mode 1
		.amdhsa_fp16_overflow 0
		.amdhsa_tg_split 0
		.amdhsa_exception_fp_ieee_invalid_op 0
		.amdhsa_exception_fp_denorm_src 0
		.amdhsa_exception_fp_ieee_div_zero 0
		.amdhsa_exception_fp_ieee_overflow 0
		.amdhsa_exception_fp_ieee_underflow 0
		.amdhsa_exception_fp_ieee_inexact 0
		.amdhsa_exception_int_div_zero 0
	.end_amdhsa_kernel
	.section	.text._Z15gatherKeyValuesIyjEvPKiPKT_PKT0_PS2_PS5_i,"axG",@progbits,_Z15gatherKeyValuesIyjEvPKiPKT_PKT0_PS2_PS5_i,comdat
.Lfunc_end443:
	.size	_Z15gatherKeyValuesIyjEvPKiPKT_PKT0_PS2_PS5_i, .Lfunc_end443-_Z15gatherKeyValuesIyjEvPKiPKT_PKT0_PS2_PS5_i
                                        ; -- End function
	.section	.AMDGPU.csdata,"",@progbits
; Kernel info:
; codeLenInByte = 408
; NumSgprs: 22
; NumVgprs: 14
; NumAgprs: 0
; TotalNumVgprs: 14
; ScratchSize: 0
; MemoryBound: 1
; FloatMode: 240
; IeeeMode: 1
; LDSByteSize: 0 bytes/workgroup (compile time only)
; SGPRBlocks: 2
; VGPRBlocks: 1
; NumSGPRsForWavesPerEU: 22
; NumVGPRsForWavesPerEU: 14
; AccumOffset: 16
; Occupancy: 8
; WaveLimiterHint : 0
; COMPUTE_PGM_RSRC2:SCRATCH_EN: 0
; COMPUTE_PGM_RSRC2:USER_SGPR: 6
; COMPUTE_PGM_RSRC2:TRAP_HANDLER: 0
; COMPUTE_PGM_RSRC2:TGID_X_EN: 1
; COMPUTE_PGM_RSRC2:TGID_Y_EN: 0
; COMPUTE_PGM_RSRC2:TGID_Z_EN: 0
; COMPUTE_PGM_RSRC2:TIDIG_COMP_CNT: 0
; COMPUTE_PGM_RSRC3_GFX90A:ACCUM_OFFSET: 3
; COMPUTE_PGM_RSRC3_GFX90A:TG_SPLIT: 0
	.section	.text._ZN7rocprim17ROCPRIM_400000_NS6detail17trampoline_kernelINS0_13kernel_configILj256ELj4ELj4294967295EEENS1_37radix_sort_block_sort_config_selectorIjyEEZNS1_21radix_sort_block_sortIS4_Lb0EPjS8_PyS9_NS0_19identity_decomposerEEE10hipError_tT1_T2_T3_T4_jRjT5_jjP12ihipStream_tbEUlT_E_NS1_11comp_targetILNS1_3genE0ELNS1_11target_archE4294967295ELNS1_3gpuE0ELNS1_3repE0EEENS1_44radix_sort_block_sort_config_static_selectorELNS0_4arch9wavefront6targetE1EEEvSC_,"axG",@progbits,_ZN7rocprim17ROCPRIM_400000_NS6detail17trampoline_kernelINS0_13kernel_configILj256ELj4ELj4294967295EEENS1_37radix_sort_block_sort_config_selectorIjyEEZNS1_21radix_sort_block_sortIS4_Lb0EPjS8_PyS9_NS0_19identity_decomposerEEE10hipError_tT1_T2_T3_T4_jRjT5_jjP12ihipStream_tbEUlT_E_NS1_11comp_targetILNS1_3genE0ELNS1_11target_archE4294967295ELNS1_3gpuE0ELNS1_3repE0EEENS1_44radix_sort_block_sort_config_static_selectorELNS0_4arch9wavefront6targetE1EEEvSC_,comdat
	.protected	_ZN7rocprim17ROCPRIM_400000_NS6detail17trampoline_kernelINS0_13kernel_configILj256ELj4ELj4294967295EEENS1_37radix_sort_block_sort_config_selectorIjyEEZNS1_21radix_sort_block_sortIS4_Lb0EPjS8_PyS9_NS0_19identity_decomposerEEE10hipError_tT1_T2_T3_T4_jRjT5_jjP12ihipStream_tbEUlT_E_NS1_11comp_targetILNS1_3genE0ELNS1_11target_archE4294967295ELNS1_3gpuE0ELNS1_3repE0EEENS1_44radix_sort_block_sort_config_static_selectorELNS0_4arch9wavefront6targetE1EEEvSC_ ; -- Begin function _ZN7rocprim17ROCPRIM_400000_NS6detail17trampoline_kernelINS0_13kernel_configILj256ELj4ELj4294967295EEENS1_37radix_sort_block_sort_config_selectorIjyEEZNS1_21radix_sort_block_sortIS4_Lb0EPjS8_PyS9_NS0_19identity_decomposerEEE10hipError_tT1_T2_T3_T4_jRjT5_jjP12ihipStream_tbEUlT_E_NS1_11comp_targetILNS1_3genE0ELNS1_11target_archE4294967295ELNS1_3gpuE0ELNS1_3repE0EEENS1_44radix_sort_block_sort_config_static_selectorELNS0_4arch9wavefront6targetE1EEEvSC_
	.globl	_ZN7rocprim17ROCPRIM_400000_NS6detail17trampoline_kernelINS0_13kernel_configILj256ELj4ELj4294967295EEENS1_37radix_sort_block_sort_config_selectorIjyEEZNS1_21radix_sort_block_sortIS4_Lb0EPjS8_PyS9_NS0_19identity_decomposerEEE10hipError_tT1_T2_T3_T4_jRjT5_jjP12ihipStream_tbEUlT_E_NS1_11comp_targetILNS1_3genE0ELNS1_11target_archE4294967295ELNS1_3gpuE0ELNS1_3repE0EEENS1_44radix_sort_block_sort_config_static_selectorELNS0_4arch9wavefront6targetE1EEEvSC_
	.p2align	8
	.type	_ZN7rocprim17ROCPRIM_400000_NS6detail17trampoline_kernelINS0_13kernel_configILj256ELj4ELj4294967295EEENS1_37radix_sort_block_sort_config_selectorIjyEEZNS1_21radix_sort_block_sortIS4_Lb0EPjS8_PyS9_NS0_19identity_decomposerEEE10hipError_tT1_T2_T3_T4_jRjT5_jjP12ihipStream_tbEUlT_E_NS1_11comp_targetILNS1_3genE0ELNS1_11target_archE4294967295ELNS1_3gpuE0ELNS1_3repE0EEENS1_44radix_sort_block_sort_config_static_selectorELNS0_4arch9wavefront6targetE1EEEvSC_,@function
_ZN7rocprim17ROCPRIM_400000_NS6detail17trampoline_kernelINS0_13kernel_configILj256ELj4ELj4294967295EEENS1_37radix_sort_block_sort_config_selectorIjyEEZNS1_21radix_sort_block_sortIS4_Lb0EPjS8_PyS9_NS0_19identity_decomposerEEE10hipError_tT1_T2_T3_T4_jRjT5_jjP12ihipStream_tbEUlT_E_NS1_11comp_targetILNS1_3genE0ELNS1_11target_archE4294967295ELNS1_3gpuE0ELNS1_3repE0EEENS1_44radix_sort_block_sort_config_static_selectorELNS0_4arch9wavefront6targetE1EEEvSC_: ; @_ZN7rocprim17ROCPRIM_400000_NS6detail17trampoline_kernelINS0_13kernel_configILj256ELj4ELj4294967295EEENS1_37radix_sort_block_sort_config_selectorIjyEEZNS1_21radix_sort_block_sortIS4_Lb0EPjS8_PyS9_NS0_19identity_decomposerEEE10hipError_tT1_T2_T3_T4_jRjT5_jjP12ihipStream_tbEUlT_E_NS1_11comp_targetILNS1_3genE0ELNS1_11target_archE4294967295ELNS1_3gpuE0ELNS1_3repE0EEENS1_44radix_sort_block_sort_config_static_selectorELNS0_4arch9wavefront6targetE1EEEvSC_
; %bb.0:
	.section	.rodata,"a",@progbits
	.p2align	6, 0x0
	.amdhsa_kernel _ZN7rocprim17ROCPRIM_400000_NS6detail17trampoline_kernelINS0_13kernel_configILj256ELj4ELj4294967295EEENS1_37radix_sort_block_sort_config_selectorIjyEEZNS1_21radix_sort_block_sortIS4_Lb0EPjS8_PyS9_NS0_19identity_decomposerEEE10hipError_tT1_T2_T3_T4_jRjT5_jjP12ihipStream_tbEUlT_E_NS1_11comp_targetILNS1_3genE0ELNS1_11target_archE4294967295ELNS1_3gpuE0ELNS1_3repE0EEENS1_44radix_sort_block_sort_config_static_selectorELNS0_4arch9wavefront6targetE1EEEvSC_
		.amdhsa_group_segment_fixed_size 0
		.amdhsa_private_segment_fixed_size 0
		.amdhsa_kernarg_size 48
		.amdhsa_user_sgpr_count 6
		.amdhsa_user_sgpr_private_segment_buffer 1
		.amdhsa_user_sgpr_dispatch_ptr 0
		.amdhsa_user_sgpr_queue_ptr 0
		.amdhsa_user_sgpr_kernarg_segment_ptr 1
		.amdhsa_user_sgpr_dispatch_id 0
		.amdhsa_user_sgpr_flat_scratch_init 0
		.amdhsa_user_sgpr_kernarg_preload_length 0
		.amdhsa_user_sgpr_kernarg_preload_offset 0
		.amdhsa_user_sgpr_private_segment_size 0
		.amdhsa_uses_dynamic_stack 0
		.amdhsa_system_sgpr_private_segment_wavefront_offset 0
		.amdhsa_system_sgpr_workgroup_id_x 1
		.amdhsa_system_sgpr_workgroup_id_y 0
		.amdhsa_system_sgpr_workgroup_id_z 0
		.amdhsa_system_sgpr_workgroup_info 0
		.amdhsa_system_vgpr_workitem_id 0
		.amdhsa_next_free_vgpr 1
		.amdhsa_next_free_sgpr 0
		.amdhsa_accum_offset 4
		.amdhsa_reserve_vcc 0
		.amdhsa_reserve_flat_scratch 0
		.amdhsa_float_round_mode_32 0
		.amdhsa_float_round_mode_16_64 0
		.amdhsa_float_denorm_mode_32 3
		.amdhsa_float_denorm_mode_16_64 3
		.amdhsa_dx10_clamp 1
		.amdhsa_ieee_mode 1
		.amdhsa_fp16_overflow 0
		.amdhsa_tg_split 0
		.amdhsa_exception_fp_ieee_invalid_op 0
		.amdhsa_exception_fp_denorm_src 0
		.amdhsa_exception_fp_ieee_div_zero 0
		.amdhsa_exception_fp_ieee_overflow 0
		.amdhsa_exception_fp_ieee_underflow 0
		.amdhsa_exception_fp_ieee_inexact 0
		.amdhsa_exception_int_div_zero 0
	.end_amdhsa_kernel
	.section	.text._ZN7rocprim17ROCPRIM_400000_NS6detail17trampoline_kernelINS0_13kernel_configILj256ELj4ELj4294967295EEENS1_37radix_sort_block_sort_config_selectorIjyEEZNS1_21radix_sort_block_sortIS4_Lb0EPjS8_PyS9_NS0_19identity_decomposerEEE10hipError_tT1_T2_T3_T4_jRjT5_jjP12ihipStream_tbEUlT_E_NS1_11comp_targetILNS1_3genE0ELNS1_11target_archE4294967295ELNS1_3gpuE0ELNS1_3repE0EEENS1_44radix_sort_block_sort_config_static_selectorELNS0_4arch9wavefront6targetE1EEEvSC_,"axG",@progbits,_ZN7rocprim17ROCPRIM_400000_NS6detail17trampoline_kernelINS0_13kernel_configILj256ELj4ELj4294967295EEENS1_37radix_sort_block_sort_config_selectorIjyEEZNS1_21radix_sort_block_sortIS4_Lb0EPjS8_PyS9_NS0_19identity_decomposerEEE10hipError_tT1_T2_T3_T4_jRjT5_jjP12ihipStream_tbEUlT_E_NS1_11comp_targetILNS1_3genE0ELNS1_11target_archE4294967295ELNS1_3gpuE0ELNS1_3repE0EEENS1_44radix_sort_block_sort_config_static_selectorELNS0_4arch9wavefront6targetE1EEEvSC_,comdat
.Lfunc_end444:
	.size	_ZN7rocprim17ROCPRIM_400000_NS6detail17trampoline_kernelINS0_13kernel_configILj256ELj4ELj4294967295EEENS1_37radix_sort_block_sort_config_selectorIjyEEZNS1_21radix_sort_block_sortIS4_Lb0EPjS8_PyS9_NS0_19identity_decomposerEEE10hipError_tT1_T2_T3_T4_jRjT5_jjP12ihipStream_tbEUlT_E_NS1_11comp_targetILNS1_3genE0ELNS1_11target_archE4294967295ELNS1_3gpuE0ELNS1_3repE0EEENS1_44radix_sort_block_sort_config_static_selectorELNS0_4arch9wavefront6targetE1EEEvSC_, .Lfunc_end444-_ZN7rocprim17ROCPRIM_400000_NS6detail17trampoline_kernelINS0_13kernel_configILj256ELj4ELj4294967295EEENS1_37radix_sort_block_sort_config_selectorIjyEEZNS1_21radix_sort_block_sortIS4_Lb0EPjS8_PyS9_NS0_19identity_decomposerEEE10hipError_tT1_T2_T3_T4_jRjT5_jjP12ihipStream_tbEUlT_E_NS1_11comp_targetILNS1_3genE0ELNS1_11target_archE4294967295ELNS1_3gpuE0ELNS1_3repE0EEENS1_44radix_sort_block_sort_config_static_selectorELNS0_4arch9wavefront6targetE1EEEvSC_
                                        ; -- End function
	.section	.AMDGPU.csdata,"",@progbits
; Kernel info:
; codeLenInByte = 0
; NumSgprs: 4
; NumVgprs: 0
; NumAgprs: 0
; TotalNumVgprs: 0
; ScratchSize: 0
; MemoryBound: 0
; FloatMode: 240
; IeeeMode: 1
; LDSByteSize: 0 bytes/workgroup (compile time only)
; SGPRBlocks: 0
; VGPRBlocks: 0
; NumSGPRsForWavesPerEU: 4
; NumVGPRsForWavesPerEU: 1
; AccumOffset: 4
; Occupancy: 8
; WaveLimiterHint : 0
; COMPUTE_PGM_RSRC2:SCRATCH_EN: 0
; COMPUTE_PGM_RSRC2:USER_SGPR: 6
; COMPUTE_PGM_RSRC2:TRAP_HANDLER: 0
; COMPUTE_PGM_RSRC2:TGID_X_EN: 1
; COMPUTE_PGM_RSRC2:TGID_Y_EN: 0
; COMPUTE_PGM_RSRC2:TGID_Z_EN: 0
; COMPUTE_PGM_RSRC2:TIDIG_COMP_CNT: 0
; COMPUTE_PGM_RSRC3_GFX90A:ACCUM_OFFSET: 0
; COMPUTE_PGM_RSRC3_GFX90A:TG_SPLIT: 0
	.section	.text._ZN7rocprim17ROCPRIM_400000_NS6detail17trampoline_kernelINS0_13kernel_configILj256ELj4ELj4294967295EEENS1_37radix_sort_block_sort_config_selectorIjyEEZNS1_21radix_sort_block_sortIS4_Lb0EPjS8_PyS9_NS0_19identity_decomposerEEE10hipError_tT1_T2_T3_T4_jRjT5_jjP12ihipStream_tbEUlT_E_NS1_11comp_targetILNS1_3genE5ELNS1_11target_archE942ELNS1_3gpuE9ELNS1_3repE0EEENS1_44radix_sort_block_sort_config_static_selectorELNS0_4arch9wavefront6targetE1EEEvSC_,"axG",@progbits,_ZN7rocprim17ROCPRIM_400000_NS6detail17trampoline_kernelINS0_13kernel_configILj256ELj4ELj4294967295EEENS1_37radix_sort_block_sort_config_selectorIjyEEZNS1_21radix_sort_block_sortIS4_Lb0EPjS8_PyS9_NS0_19identity_decomposerEEE10hipError_tT1_T2_T3_T4_jRjT5_jjP12ihipStream_tbEUlT_E_NS1_11comp_targetILNS1_3genE5ELNS1_11target_archE942ELNS1_3gpuE9ELNS1_3repE0EEENS1_44radix_sort_block_sort_config_static_selectorELNS0_4arch9wavefront6targetE1EEEvSC_,comdat
	.protected	_ZN7rocprim17ROCPRIM_400000_NS6detail17trampoline_kernelINS0_13kernel_configILj256ELj4ELj4294967295EEENS1_37radix_sort_block_sort_config_selectorIjyEEZNS1_21radix_sort_block_sortIS4_Lb0EPjS8_PyS9_NS0_19identity_decomposerEEE10hipError_tT1_T2_T3_T4_jRjT5_jjP12ihipStream_tbEUlT_E_NS1_11comp_targetILNS1_3genE5ELNS1_11target_archE942ELNS1_3gpuE9ELNS1_3repE0EEENS1_44radix_sort_block_sort_config_static_selectorELNS0_4arch9wavefront6targetE1EEEvSC_ ; -- Begin function _ZN7rocprim17ROCPRIM_400000_NS6detail17trampoline_kernelINS0_13kernel_configILj256ELj4ELj4294967295EEENS1_37radix_sort_block_sort_config_selectorIjyEEZNS1_21radix_sort_block_sortIS4_Lb0EPjS8_PyS9_NS0_19identity_decomposerEEE10hipError_tT1_T2_T3_T4_jRjT5_jjP12ihipStream_tbEUlT_E_NS1_11comp_targetILNS1_3genE5ELNS1_11target_archE942ELNS1_3gpuE9ELNS1_3repE0EEENS1_44radix_sort_block_sort_config_static_selectorELNS0_4arch9wavefront6targetE1EEEvSC_
	.globl	_ZN7rocprim17ROCPRIM_400000_NS6detail17trampoline_kernelINS0_13kernel_configILj256ELj4ELj4294967295EEENS1_37radix_sort_block_sort_config_selectorIjyEEZNS1_21radix_sort_block_sortIS4_Lb0EPjS8_PyS9_NS0_19identity_decomposerEEE10hipError_tT1_T2_T3_T4_jRjT5_jjP12ihipStream_tbEUlT_E_NS1_11comp_targetILNS1_3genE5ELNS1_11target_archE942ELNS1_3gpuE9ELNS1_3repE0EEENS1_44radix_sort_block_sort_config_static_selectorELNS0_4arch9wavefront6targetE1EEEvSC_
	.p2align	8
	.type	_ZN7rocprim17ROCPRIM_400000_NS6detail17trampoline_kernelINS0_13kernel_configILj256ELj4ELj4294967295EEENS1_37radix_sort_block_sort_config_selectorIjyEEZNS1_21radix_sort_block_sortIS4_Lb0EPjS8_PyS9_NS0_19identity_decomposerEEE10hipError_tT1_T2_T3_T4_jRjT5_jjP12ihipStream_tbEUlT_E_NS1_11comp_targetILNS1_3genE5ELNS1_11target_archE942ELNS1_3gpuE9ELNS1_3repE0EEENS1_44radix_sort_block_sort_config_static_selectorELNS0_4arch9wavefront6targetE1EEEvSC_,@function
_ZN7rocprim17ROCPRIM_400000_NS6detail17trampoline_kernelINS0_13kernel_configILj256ELj4ELj4294967295EEENS1_37radix_sort_block_sort_config_selectorIjyEEZNS1_21radix_sort_block_sortIS4_Lb0EPjS8_PyS9_NS0_19identity_decomposerEEE10hipError_tT1_T2_T3_T4_jRjT5_jjP12ihipStream_tbEUlT_E_NS1_11comp_targetILNS1_3genE5ELNS1_11target_archE942ELNS1_3gpuE9ELNS1_3repE0EEENS1_44radix_sort_block_sort_config_static_selectorELNS0_4arch9wavefront6targetE1EEEvSC_: ; @_ZN7rocprim17ROCPRIM_400000_NS6detail17trampoline_kernelINS0_13kernel_configILj256ELj4ELj4294967295EEENS1_37radix_sort_block_sort_config_selectorIjyEEZNS1_21radix_sort_block_sortIS4_Lb0EPjS8_PyS9_NS0_19identity_decomposerEEE10hipError_tT1_T2_T3_T4_jRjT5_jjP12ihipStream_tbEUlT_E_NS1_11comp_targetILNS1_3genE5ELNS1_11target_archE942ELNS1_3gpuE9ELNS1_3repE0EEENS1_44radix_sort_block_sort_config_static_selectorELNS0_4arch9wavefront6targetE1EEEvSC_
; %bb.0:
	.section	.rodata,"a",@progbits
	.p2align	6, 0x0
	.amdhsa_kernel _ZN7rocprim17ROCPRIM_400000_NS6detail17trampoline_kernelINS0_13kernel_configILj256ELj4ELj4294967295EEENS1_37radix_sort_block_sort_config_selectorIjyEEZNS1_21radix_sort_block_sortIS4_Lb0EPjS8_PyS9_NS0_19identity_decomposerEEE10hipError_tT1_T2_T3_T4_jRjT5_jjP12ihipStream_tbEUlT_E_NS1_11comp_targetILNS1_3genE5ELNS1_11target_archE942ELNS1_3gpuE9ELNS1_3repE0EEENS1_44radix_sort_block_sort_config_static_selectorELNS0_4arch9wavefront6targetE1EEEvSC_
		.amdhsa_group_segment_fixed_size 0
		.amdhsa_private_segment_fixed_size 0
		.amdhsa_kernarg_size 48
		.amdhsa_user_sgpr_count 6
		.amdhsa_user_sgpr_private_segment_buffer 1
		.amdhsa_user_sgpr_dispatch_ptr 0
		.amdhsa_user_sgpr_queue_ptr 0
		.amdhsa_user_sgpr_kernarg_segment_ptr 1
		.amdhsa_user_sgpr_dispatch_id 0
		.amdhsa_user_sgpr_flat_scratch_init 0
		.amdhsa_user_sgpr_kernarg_preload_length 0
		.amdhsa_user_sgpr_kernarg_preload_offset 0
		.amdhsa_user_sgpr_private_segment_size 0
		.amdhsa_uses_dynamic_stack 0
		.amdhsa_system_sgpr_private_segment_wavefront_offset 0
		.amdhsa_system_sgpr_workgroup_id_x 1
		.amdhsa_system_sgpr_workgroup_id_y 0
		.amdhsa_system_sgpr_workgroup_id_z 0
		.amdhsa_system_sgpr_workgroup_info 0
		.amdhsa_system_vgpr_workitem_id 0
		.amdhsa_next_free_vgpr 1
		.amdhsa_next_free_sgpr 0
		.amdhsa_accum_offset 4
		.amdhsa_reserve_vcc 0
		.amdhsa_reserve_flat_scratch 0
		.amdhsa_float_round_mode_32 0
		.amdhsa_float_round_mode_16_64 0
		.amdhsa_float_denorm_mode_32 3
		.amdhsa_float_denorm_mode_16_64 3
		.amdhsa_dx10_clamp 1
		.amdhsa_ieee_mode 1
		.amdhsa_fp16_overflow 0
		.amdhsa_tg_split 0
		.amdhsa_exception_fp_ieee_invalid_op 0
		.amdhsa_exception_fp_denorm_src 0
		.amdhsa_exception_fp_ieee_div_zero 0
		.amdhsa_exception_fp_ieee_overflow 0
		.amdhsa_exception_fp_ieee_underflow 0
		.amdhsa_exception_fp_ieee_inexact 0
		.amdhsa_exception_int_div_zero 0
	.end_amdhsa_kernel
	.section	.text._ZN7rocprim17ROCPRIM_400000_NS6detail17trampoline_kernelINS0_13kernel_configILj256ELj4ELj4294967295EEENS1_37radix_sort_block_sort_config_selectorIjyEEZNS1_21radix_sort_block_sortIS4_Lb0EPjS8_PyS9_NS0_19identity_decomposerEEE10hipError_tT1_T2_T3_T4_jRjT5_jjP12ihipStream_tbEUlT_E_NS1_11comp_targetILNS1_3genE5ELNS1_11target_archE942ELNS1_3gpuE9ELNS1_3repE0EEENS1_44radix_sort_block_sort_config_static_selectorELNS0_4arch9wavefront6targetE1EEEvSC_,"axG",@progbits,_ZN7rocprim17ROCPRIM_400000_NS6detail17trampoline_kernelINS0_13kernel_configILj256ELj4ELj4294967295EEENS1_37radix_sort_block_sort_config_selectorIjyEEZNS1_21radix_sort_block_sortIS4_Lb0EPjS8_PyS9_NS0_19identity_decomposerEEE10hipError_tT1_T2_T3_T4_jRjT5_jjP12ihipStream_tbEUlT_E_NS1_11comp_targetILNS1_3genE5ELNS1_11target_archE942ELNS1_3gpuE9ELNS1_3repE0EEENS1_44radix_sort_block_sort_config_static_selectorELNS0_4arch9wavefront6targetE1EEEvSC_,comdat
.Lfunc_end445:
	.size	_ZN7rocprim17ROCPRIM_400000_NS6detail17trampoline_kernelINS0_13kernel_configILj256ELj4ELj4294967295EEENS1_37radix_sort_block_sort_config_selectorIjyEEZNS1_21radix_sort_block_sortIS4_Lb0EPjS8_PyS9_NS0_19identity_decomposerEEE10hipError_tT1_T2_T3_T4_jRjT5_jjP12ihipStream_tbEUlT_E_NS1_11comp_targetILNS1_3genE5ELNS1_11target_archE942ELNS1_3gpuE9ELNS1_3repE0EEENS1_44radix_sort_block_sort_config_static_selectorELNS0_4arch9wavefront6targetE1EEEvSC_, .Lfunc_end445-_ZN7rocprim17ROCPRIM_400000_NS6detail17trampoline_kernelINS0_13kernel_configILj256ELj4ELj4294967295EEENS1_37radix_sort_block_sort_config_selectorIjyEEZNS1_21radix_sort_block_sortIS4_Lb0EPjS8_PyS9_NS0_19identity_decomposerEEE10hipError_tT1_T2_T3_T4_jRjT5_jjP12ihipStream_tbEUlT_E_NS1_11comp_targetILNS1_3genE5ELNS1_11target_archE942ELNS1_3gpuE9ELNS1_3repE0EEENS1_44radix_sort_block_sort_config_static_selectorELNS0_4arch9wavefront6targetE1EEEvSC_
                                        ; -- End function
	.section	.AMDGPU.csdata,"",@progbits
; Kernel info:
; codeLenInByte = 0
; NumSgprs: 4
; NumVgprs: 0
; NumAgprs: 0
; TotalNumVgprs: 0
; ScratchSize: 0
; MemoryBound: 0
; FloatMode: 240
; IeeeMode: 1
; LDSByteSize: 0 bytes/workgroup (compile time only)
; SGPRBlocks: 0
; VGPRBlocks: 0
; NumSGPRsForWavesPerEU: 4
; NumVGPRsForWavesPerEU: 1
; AccumOffset: 4
; Occupancy: 8
; WaveLimiterHint : 0
; COMPUTE_PGM_RSRC2:SCRATCH_EN: 0
; COMPUTE_PGM_RSRC2:USER_SGPR: 6
; COMPUTE_PGM_RSRC2:TRAP_HANDLER: 0
; COMPUTE_PGM_RSRC2:TGID_X_EN: 1
; COMPUTE_PGM_RSRC2:TGID_Y_EN: 0
; COMPUTE_PGM_RSRC2:TGID_Z_EN: 0
; COMPUTE_PGM_RSRC2:TIDIG_COMP_CNT: 0
; COMPUTE_PGM_RSRC3_GFX90A:ACCUM_OFFSET: 0
; COMPUTE_PGM_RSRC3_GFX90A:TG_SPLIT: 0
	.section	.text._ZN7rocprim17ROCPRIM_400000_NS6detail17trampoline_kernelINS0_13kernel_configILj256ELj4ELj4294967295EEENS1_37radix_sort_block_sort_config_selectorIjyEEZNS1_21radix_sort_block_sortIS4_Lb0EPjS8_PyS9_NS0_19identity_decomposerEEE10hipError_tT1_T2_T3_T4_jRjT5_jjP12ihipStream_tbEUlT_E_NS1_11comp_targetILNS1_3genE4ELNS1_11target_archE910ELNS1_3gpuE8ELNS1_3repE0EEENS1_44radix_sort_block_sort_config_static_selectorELNS0_4arch9wavefront6targetE1EEEvSC_,"axG",@progbits,_ZN7rocprim17ROCPRIM_400000_NS6detail17trampoline_kernelINS0_13kernel_configILj256ELj4ELj4294967295EEENS1_37radix_sort_block_sort_config_selectorIjyEEZNS1_21radix_sort_block_sortIS4_Lb0EPjS8_PyS9_NS0_19identity_decomposerEEE10hipError_tT1_T2_T3_T4_jRjT5_jjP12ihipStream_tbEUlT_E_NS1_11comp_targetILNS1_3genE4ELNS1_11target_archE910ELNS1_3gpuE8ELNS1_3repE0EEENS1_44radix_sort_block_sort_config_static_selectorELNS0_4arch9wavefront6targetE1EEEvSC_,comdat
	.protected	_ZN7rocprim17ROCPRIM_400000_NS6detail17trampoline_kernelINS0_13kernel_configILj256ELj4ELj4294967295EEENS1_37radix_sort_block_sort_config_selectorIjyEEZNS1_21radix_sort_block_sortIS4_Lb0EPjS8_PyS9_NS0_19identity_decomposerEEE10hipError_tT1_T2_T3_T4_jRjT5_jjP12ihipStream_tbEUlT_E_NS1_11comp_targetILNS1_3genE4ELNS1_11target_archE910ELNS1_3gpuE8ELNS1_3repE0EEENS1_44radix_sort_block_sort_config_static_selectorELNS0_4arch9wavefront6targetE1EEEvSC_ ; -- Begin function _ZN7rocprim17ROCPRIM_400000_NS6detail17trampoline_kernelINS0_13kernel_configILj256ELj4ELj4294967295EEENS1_37radix_sort_block_sort_config_selectorIjyEEZNS1_21radix_sort_block_sortIS4_Lb0EPjS8_PyS9_NS0_19identity_decomposerEEE10hipError_tT1_T2_T3_T4_jRjT5_jjP12ihipStream_tbEUlT_E_NS1_11comp_targetILNS1_3genE4ELNS1_11target_archE910ELNS1_3gpuE8ELNS1_3repE0EEENS1_44radix_sort_block_sort_config_static_selectorELNS0_4arch9wavefront6targetE1EEEvSC_
	.globl	_ZN7rocprim17ROCPRIM_400000_NS6detail17trampoline_kernelINS0_13kernel_configILj256ELj4ELj4294967295EEENS1_37radix_sort_block_sort_config_selectorIjyEEZNS1_21radix_sort_block_sortIS4_Lb0EPjS8_PyS9_NS0_19identity_decomposerEEE10hipError_tT1_T2_T3_T4_jRjT5_jjP12ihipStream_tbEUlT_E_NS1_11comp_targetILNS1_3genE4ELNS1_11target_archE910ELNS1_3gpuE8ELNS1_3repE0EEENS1_44radix_sort_block_sort_config_static_selectorELNS0_4arch9wavefront6targetE1EEEvSC_
	.p2align	8
	.type	_ZN7rocprim17ROCPRIM_400000_NS6detail17trampoline_kernelINS0_13kernel_configILj256ELj4ELj4294967295EEENS1_37radix_sort_block_sort_config_selectorIjyEEZNS1_21radix_sort_block_sortIS4_Lb0EPjS8_PyS9_NS0_19identity_decomposerEEE10hipError_tT1_T2_T3_T4_jRjT5_jjP12ihipStream_tbEUlT_E_NS1_11comp_targetILNS1_3genE4ELNS1_11target_archE910ELNS1_3gpuE8ELNS1_3repE0EEENS1_44radix_sort_block_sort_config_static_selectorELNS0_4arch9wavefront6targetE1EEEvSC_,@function
_ZN7rocprim17ROCPRIM_400000_NS6detail17trampoline_kernelINS0_13kernel_configILj256ELj4ELj4294967295EEENS1_37radix_sort_block_sort_config_selectorIjyEEZNS1_21radix_sort_block_sortIS4_Lb0EPjS8_PyS9_NS0_19identity_decomposerEEE10hipError_tT1_T2_T3_T4_jRjT5_jjP12ihipStream_tbEUlT_E_NS1_11comp_targetILNS1_3genE4ELNS1_11target_archE910ELNS1_3gpuE8ELNS1_3repE0EEENS1_44radix_sort_block_sort_config_static_selectorELNS0_4arch9wavefront6targetE1EEEvSC_: ; @_ZN7rocprim17ROCPRIM_400000_NS6detail17trampoline_kernelINS0_13kernel_configILj256ELj4ELj4294967295EEENS1_37radix_sort_block_sort_config_selectorIjyEEZNS1_21radix_sort_block_sortIS4_Lb0EPjS8_PyS9_NS0_19identity_decomposerEEE10hipError_tT1_T2_T3_T4_jRjT5_jjP12ihipStream_tbEUlT_E_NS1_11comp_targetILNS1_3genE4ELNS1_11target_archE910ELNS1_3gpuE8ELNS1_3repE0EEENS1_44radix_sort_block_sort_config_static_selectorELNS0_4arch9wavefront6targetE1EEEvSC_
; %bb.0:
	s_load_dword s2, s[4:5], 0x20
	s_load_dwordx8 s[36:43], s[4:5], 0x0
	s_lshl_b32 s28, s6, 10
	s_mov_b32 s29, 0
	v_mbcnt_lo_u32_b32 v1, -1, 0
	s_waitcnt lgkmcnt(0)
	s_lshr_b32 s0, s2, 10
	s_cmp_lg_u32 s6, s0
	s_cselect_b64 s[30:31], -1, 0
	s_lshl_b64 s[34:35], s[28:29], 2
	v_mbcnt_hi_u32_b32 v1, -1, v1
	v_and_b32_e32 v8, 0x3ff, v0
	s_add_u32 s1, s36, s34
	v_and_b32_e32 v10, 63, v1
	s_addc_u32 s3, s37, s35
	v_lshlrev_b32_e32 v9, 2, v8
	v_lshlrev_b32_e32 v2, 2, v10
	v_and_b32_e32 v12, 0x300, v9
	v_mov_b32_e32 v3, s3
	v_add_co_u32_e32 v2, vcc, s1, v2
	v_addc_co_u32_e32 v3, vcc, 0, v3, vcc
	v_lshlrev_b32_e32 v4, 2, v12
	v_add_co_u32_e32 v2, vcc, v2, v4
	s_cmp_eq_u32 s6, s0
	v_addc_co_u32_e32 v3, vcc, 0, v3, vcc
	v_lshlrev_b32_e32 v15, 3, v10
	v_lshlrev_b32_e32 v14, 3, v12
	v_or_b32_e32 v11, v10, v12
	s_cbranch_scc1 .LBB446_2
; %bb.1:
	s_lshl_b64 s[0:1], s[28:29], 3
	s_add_u32 s0, s40, s0
	s_addc_u32 s1, s41, s1
	v_mov_b32_e32 v13, s1
	v_add_co_u32_e32 v16, vcc, s0, v15
	v_addc_co_u32_e32 v13, vcc, 0, v13, vcc
	v_add_co_u32_e32 v16, vcc, v16, v14
	v_addc_co_u32_e32 v17, vcc, 0, v13, vcc
	global_load_dword v4, v[2:3], off
	global_load_dword v5, v[2:3], off offset:256
	global_load_dword v6, v[2:3], off offset:512
	;; [unrolled: 1-line block ×3, first 2 shown]
	global_load_dwordx2 v[24:25], v[16:17], off
	global_load_dwordx2 v[26:27], v[16:17], off offset:512
	global_load_dwordx2 v[28:29], v[16:17], off offset:1024
	;; [unrolled: 1-line block ×3, first 2 shown]
	v_or_b32_e32 v16, v10, v12
	v_or_b32_e32 v10, 64, v16
	;; [unrolled: 1-line block ×4, first 2 shown]
	s_load_dwordx2 s[36:37], s[4:5], 0x28
	s_sub_i32 s33, s2, s28
	s_cbranch_execz .LBB446_3
	s_branch .LBB446_17
.LBB446_2:
                                        ; implicit-def: $vgpr4_vgpr5_vgpr6_vgpr7
                                        ; implicit-def: $vgpr24_vgpr25
                                        ; implicit-def: $vgpr26_vgpr27
                                        ; implicit-def: $vgpr28_vgpr29
                                        ; implicit-def: $vgpr30_vgpr31
                                        ; implicit-def: $vgpr16
                                        ; implicit-def: $vgpr10
                                        ; implicit-def: $vgpr12
                                        ; implicit-def: $vgpr13
	s_load_dwordx2 s[36:37], s[4:5], 0x28
	s_sub_i32 s33, s2, s28
.LBB446_3:
	s_mov_b32 s0, -1
	s_mov_b32 s2, s0
	s_mov_b32 s3, s0
	;; [unrolled: 1-line block ×3, first 2 shown]
	s_waitcnt vmcnt(4)
	v_pk_mov_b32 v[6:7], s[2:3], s[2:3] op_sel:[0,1]
	v_cmp_gt_u32_e32 vcc, s33, v11
	v_pk_mov_b32 v[4:5], s[0:1], s[0:1] op_sel:[0,1]
	s_and_saveexec_b64 s[0:1], vcc
	s_cbranch_execz .LBB446_5
; %bb.4:
	global_load_dword v4, v[2:3], off
	v_mov_b32_e32 v5, -1
	v_mov_b32_e32 v6, v5
	v_mov_b32_e32 v7, v5
.LBB446_5:
	s_or_b64 exec, exec, s[0:1]
	v_or_b32_e32 v10, 64, v11
	v_cmp_gt_u32_e64 s[0:1], s33, v10
	s_and_saveexec_b64 s[2:3], s[0:1]
	s_cbranch_execz .LBB446_7
; %bb.6:
	global_load_dword v5, v[2:3], off offset:256
.LBB446_7:
	s_or_b64 exec, exec, s[2:3]
	v_or_b32_e32 v12, 0x80, v11
	v_cmp_gt_u32_e64 s[2:3], s33, v12
	s_and_saveexec_b64 s[6:7], s[2:3]
	s_cbranch_execz .LBB446_9
; %bb.8:
	global_load_dword v6, v[2:3], off offset:512
.LBB446_9:
	;; [unrolled: 8-line block ×3, first 2 shown]
	s_or_b64 exec, exec, s[8:9]
	s_lshl_b64 s[8:9], s[28:29], 3
	s_add_u32 s8, s40, s8
	s_addc_u32 s9, s41, s9
	v_mov_b32_e32 v2, s9
	v_add_co_u32_e64 v3, s[8:9], s8, v15
	v_addc_co_u32_e64 v15, s[8:9], 0, v2, s[8:9]
	v_add_co_u32_e64 v2, s[8:9], v3, v14
	v_addc_co_u32_e64 v3, s[8:9], 0, v15, s[8:9]
                                        ; implicit-def: $vgpr24_vgpr25
	s_and_saveexec_b64 s[8:9], vcc
	s_cbranch_execnz .LBB446_54
; %bb.12:
	s_or_b64 exec, exec, s[8:9]
                                        ; implicit-def: $vgpr26_vgpr27
	s_and_saveexec_b64 s[8:9], s[0:1]
	s_cbranch_execnz .LBB446_55
.LBB446_13:
	s_or_b64 exec, exec, s[8:9]
                                        ; implicit-def: $vgpr28_vgpr29
	s_and_saveexec_b64 s[0:1], s[2:3]
	s_cbranch_execnz .LBB446_56
.LBB446_14:
	s_or_b64 exec, exec, s[0:1]
                                        ; implicit-def: $vgpr30_vgpr31
	s_and_saveexec_b64 s[0:1], s[6:7]
	s_cbranch_execz .LBB446_16
.LBB446_15:
	global_load_dwordx2 v[30:31], v[2:3], off offset:1536
.LBB446_16:
	s_or_b64 exec, exec, s[0:1]
	v_mov_b32_e32 v16, v11
.LBB446_17:
	s_load_dword s2, s[4:5], 0x3c
	s_waitcnt lgkmcnt(0)
	s_add_i32 s40, s37, s36
	s_getpc_b64 s[0:1]
	s_add_u32 s0, s0, _ZN7rocprim17ROCPRIM_400000_NS16block_radix_sortIjLj256ELj4EyLj1ELj1ELj0ELNS0_26block_radix_rank_algorithmE1ELNS0_18block_padding_hintE2ELNS0_4arch9wavefront6targetE1EE19radix_bits_per_passE@rel32@lo+4
	s_addc_u32 s1, s1, _ZN7rocprim17ROCPRIM_400000_NS16block_radix_sortIjLj256ELj4EyLj1ELj1ELj0ELNS0_26block_radix_rank_algorithmE1ELNS0_18block_padding_hintE2ELNS0_4arch9wavefront6targetE1EE19radix_bits_per_passE@rel32@hi+12
	s_load_dword s41, s[0:1], 0x0
	v_bfe_u32 v2, v0, 10, 10
	s_lshr_b32 s0, s2, 16
	v_bfe_u32 v0, v0, 20, 10
	s_and_b32 s1, s2, 0xffff
	v_mad_u32_u24 v0, v0, s0, v2
	v_mad_u64_u32 v[2:3], s[0:1], v0, s1, v[8:9]
	v_and_b32_e32 v0, 15, v1
	v_cmp_eq_u32_e64 s[0:1], 0, v0
	v_cmp_lt_u32_e64 s[2:3], 1, v0
	v_cmp_lt_u32_e64 s[4:5], 3, v0
	;; [unrolled: 1-line block ×3, first 2 shown]
	v_and_b32_e32 v0, 16, v1
	v_cmp_eq_u32_e64 s[8:9], 0, v0
	v_and_b32_e32 v0, 0x3c0, v8
	v_min_u32_e32 v0, 0xc0, v0
	v_or_b32_e32 v0, 63, v0
	v_lshrrev_b32_e32 v33, 6, v2
	v_cmp_eq_u32_e64 s[12:13], v0, v8
	v_add_u32_e32 v0, -1, v1
	v_and_b32_e32 v2, 64, v1
	v_cmp_lt_i32_e32 vcc, v0, v2
	v_cndmask_b32_e32 v0, v0, v1, vcc
	s_mov_b32 s26, 0
	v_lshlrev_b32_e32 v35, 2, v0
	v_lshrrev_b32_e32 v0, 4, v8
	v_and_b32_e32 v36, 60, v0
	v_and_b32_e32 v0, 3, v1
	v_lshlrev_b32_e32 v38, 2, v16
	v_lshlrev_b32_e32 v39, 2, v10
	;; [unrolled: 1-line block ×4, first 2 shown]
	s_mov_b32 s27, s26
	s_mov_b32 s44, s26
	;; [unrolled: 1-line block ×3, first 2 shown]
	v_lshlrev_b32_e32 v32, 2, v9
	v_cmp_lt_u32_e64 s[10:11], 31, v1
	v_cmp_gt_u32_e64 s[14:15], 4, v8
	v_cmp_lt_u32_e64 s[16:17], 63, v8
	v_cmp_eq_u32_e64 s[18:19], 0, v1
	v_cmp_eq_u32_e64 s[20:21], 0, v8
	v_mul_i32_i24_e32 v34, -12, v8
	v_cmp_eq_u32_e64 s[22:23], 0, v0
	v_cmp_lt_u32_e64 s[24:25], 1, v0
	v_add_u32_e32 v37, -4, v36
	v_pk_mov_b32 v[18:19], s[26:27], s[26:27] op_sel:[0,1]
	v_pk_mov_b32 v[20:21], s[44:45], s[44:45] op_sel:[0,1]
	v_add_u32_e32 v42, v38, v38
	v_add_u32_e32 v43, v39, v39
	;; [unrolled: 1-line block ×4, first 2 shown]
	v_mov_b32_e32 v22, 0
	s_branch .LBB446_19
.LBB446_18:                             ;   in Loop: Header=BB446_19 Depth=1
	v_lshl_add_u32 v24, v49, 2, v52
	s_barrier
	ds_write_b32 v52, v0
	ds_write_b32 v51, v1
	;; [unrolled: 1-line block ×4, first 2 shown]
	s_waitcnt lgkmcnt(0)
	s_barrier
	ds_read_b32 v4, v38
	ds_read_b32 v5, v39
	;; [unrolled: 1-line block ×4, first 2 shown]
	s_waitcnt lgkmcnt(0)
	s_barrier
	ds_write_b64 v24, v[16:17]
	v_lshl_add_u32 v24, v48, 2, v51
	ds_write_b64 v24, v[14:15]
	v_lshl_add_u32 v24, v47, 2, v50
	;; [unrolled: 2-line block ×3, first 2 shown]
	ds_write_b64 v24, v[10:11]
	s_waitcnt lgkmcnt(0)
	s_barrier
	ds_read_b64 v[24:25], v42
	ds_read_b64 v[26:27], v43
	;; [unrolled: 1-line block ×4, first 2 shown]
	s_add_i32 s37, s37, -8
	s_waitcnt lgkmcnt(0)
	s_barrier
	s_cbranch_execz .LBB446_35
.LBB446_19:                             ; =>This Inner Loop Header: Depth=1
	s_waitcnt lgkmcnt(0)
	s_min_u32 s26, s41, s37
	s_waitcnt vmcnt(0)
	v_pk_mov_b32 v[0:1], v[4:5], v[4:5] op_sel:[0,1]
	s_lshl_b32 s26, -1, s26
	v_pk_mov_b32 v[2:3], v[6:7], v[6:7] op_sel:[0,1]
	s_not_b32 s44, s26
	v_lshrrev_b32_e32 v4, s36, v0
	v_and_b32_e32 v4, s44, v4
	v_lshl_add_u32 v5, v4, 2, v33
	v_pk_mov_b32 v[16:17], v[24:25], v[24:25] op_sel:[0,1]
	v_lshl_add_u32 v24, v5, 2, 16
	v_and_b32_e32 v5, 1, v4
	v_add_co_u32_e32 v6, vcc, -1, v5
	v_addc_co_u32_e64 v7, s[26:27], 0, -1, vcc
	v_cmp_ne_u32_e32 vcc, 0, v5
	v_lshlrev_b32_e32 v23, 30, v4
	v_xor_b32_e32 v5, vcc_hi, v7
	v_not_b32_e32 v7, v23
	v_xor_b32_e32 v6, vcc_lo, v6
	v_cmp_gt_i64_e32 vcc, 0, v[22:23]
	v_ashrrev_i32_e32 v7, 31, v7
	v_and_b32_e32 v5, exec_hi, v5
	v_xor_b32_e32 v23, vcc_hi, v7
	v_and_b32_e32 v6, exec_lo, v6
	v_xor_b32_e32 v7, vcc_lo, v7
	v_and_b32_e32 v5, v5, v23
	v_lshlrev_b32_e32 v23, 29, v4
	v_and_b32_e32 v6, v6, v7
	v_not_b32_e32 v7, v23
	v_cmp_gt_i64_e32 vcc, 0, v[22:23]
	v_ashrrev_i32_e32 v7, 31, v7
	v_xor_b32_e32 v23, vcc_hi, v7
	v_xor_b32_e32 v7, vcc_lo, v7
	v_and_b32_e32 v5, v5, v23
	v_lshlrev_b32_e32 v23, 28, v4
	v_and_b32_e32 v6, v6, v7
	v_not_b32_e32 v7, v23
	v_cmp_gt_i64_e32 vcc, 0, v[22:23]
	v_ashrrev_i32_e32 v7, 31, v7
	v_xor_b32_e32 v23, vcc_hi, v7
	;; [unrolled: 8-line block ×5, first 2 shown]
	v_and_b32_e32 v5, v5, v23
	v_lshlrev_b32_e32 v23, 24, v4
	v_not_b32_e32 v4, v23
	v_xor_b32_e32 v7, vcc_lo, v7
	v_cmp_gt_i64_e32 vcc, 0, v[22:23]
	v_ashrrev_i32_e32 v4, 31, v4
	v_and_b32_e32 v6, v6, v7
	v_xor_b32_e32 v7, vcc_hi, v4
	v_xor_b32_e32 v4, vcc_lo, v4
	v_and_b32_e32 v4, v6, v4
	v_and_b32_e32 v5, v5, v7
	v_mbcnt_lo_u32_b32 v6, v4, 0
	v_mbcnt_hi_u32_b32 v25, v5, v6
	v_cmp_eq_u32_e32 vcc, 0, v25
	v_cmp_ne_u64_e64 s[26:27], 0, v[4:5]
	v_pk_mov_b32 v[14:15], v[26:27], v[26:27] op_sel:[0,1]
	v_pk_mov_b32 v[12:13], v[28:29], v[28:29] op_sel:[0,1]
	;; [unrolled: 1-line block ×3, first 2 shown]
	s_and_b64 s[46:47], s[26:27], vcc
	ds_write2_b64 v32, v[18:19], v[20:21] offset0:2 offset1:3
	s_waitcnt lgkmcnt(0)
	s_barrier
	s_waitcnt lgkmcnt(0)
	; wave barrier
	s_and_saveexec_b64 s[26:27], s[46:47]
	s_cbranch_execz .LBB446_21
; %bb.20:                               ;   in Loop: Header=BB446_19 Depth=1
	v_bcnt_u32_b32 v4, v4, 0
	v_bcnt_u32_b32 v4, v5, v4
	ds_write_b32 v24, v4
.LBB446_21:                             ;   in Loop: Header=BB446_19 Depth=1
	s_or_b64 exec, exec, s[26:27]
	v_lshrrev_b32_e32 v4, s36, v1
	v_and_b32_e32 v4, s44, v4
	v_lshlrev_b32_e32 v5, 2, v4
	v_add_lshl_u32 v5, v5, v33, 2
	; wave barrier
	v_add_u32_e32 v27, 16, v5
	ds_read_b32 v26, v5 offset:16
	v_and_b32_e32 v5, 1, v4
	v_add_co_u32_e32 v6, vcc, -1, v5
	v_addc_co_u32_e64 v7, s[26:27], 0, -1, vcc
	v_cmp_ne_u32_e32 vcc, 0, v5
	v_lshlrev_b32_e32 v23, 30, v4
	v_xor_b32_e32 v5, vcc_hi, v7
	v_not_b32_e32 v7, v23
	v_xor_b32_e32 v6, vcc_lo, v6
	v_cmp_gt_i64_e32 vcc, 0, v[22:23]
	v_ashrrev_i32_e32 v7, 31, v7
	v_and_b32_e32 v5, exec_hi, v5
	v_xor_b32_e32 v23, vcc_hi, v7
	v_and_b32_e32 v6, exec_lo, v6
	v_xor_b32_e32 v7, vcc_lo, v7
	v_and_b32_e32 v5, v5, v23
	v_lshlrev_b32_e32 v23, 29, v4
	v_and_b32_e32 v6, v6, v7
	v_not_b32_e32 v7, v23
	v_cmp_gt_i64_e32 vcc, 0, v[22:23]
	v_ashrrev_i32_e32 v7, 31, v7
	v_xor_b32_e32 v23, vcc_hi, v7
	v_xor_b32_e32 v7, vcc_lo, v7
	v_and_b32_e32 v5, v5, v23
	v_lshlrev_b32_e32 v23, 28, v4
	v_and_b32_e32 v6, v6, v7
	v_not_b32_e32 v7, v23
	v_cmp_gt_i64_e32 vcc, 0, v[22:23]
	v_ashrrev_i32_e32 v7, 31, v7
	v_xor_b32_e32 v23, vcc_hi, v7
	;; [unrolled: 8-line block ×5, first 2 shown]
	v_and_b32_e32 v5, v5, v23
	v_lshlrev_b32_e32 v23, 24, v4
	v_not_b32_e32 v4, v23
	v_xor_b32_e32 v7, vcc_lo, v7
	v_cmp_gt_i64_e32 vcc, 0, v[22:23]
	v_ashrrev_i32_e32 v4, 31, v4
	v_and_b32_e32 v6, v6, v7
	v_xor_b32_e32 v7, vcc_hi, v4
	v_xor_b32_e32 v4, vcc_lo, v4
	v_and_b32_e32 v4, v6, v4
	v_and_b32_e32 v5, v5, v7
	v_mbcnt_lo_u32_b32 v6, v4, 0
	v_mbcnt_hi_u32_b32 v28, v5, v6
	v_cmp_eq_u32_e32 vcc, 0, v28
	v_cmp_ne_u64_e64 s[26:27], 0, v[4:5]
	s_and_b64 s[46:47], s[26:27], vcc
	; wave barrier
	s_and_saveexec_b64 s[26:27], s[46:47]
	s_cbranch_execz .LBB446_23
; %bb.22:                               ;   in Loop: Header=BB446_19 Depth=1
	v_bcnt_u32_b32 v4, v4, 0
	v_bcnt_u32_b32 v4, v5, v4
	s_waitcnt lgkmcnt(0)
	v_add_u32_e32 v4, v26, v4
	ds_write_b32 v27, v4
.LBB446_23:                             ;   in Loop: Header=BB446_19 Depth=1
	s_or_b64 exec, exec, s[26:27]
	v_lshrrev_b32_e32 v4, s36, v2
	v_and_b32_e32 v4, s44, v4
	v_lshlrev_b32_e32 v5, 2, v4
	v_add_lshl_u32 v5, v5, v33, 2
	; wave barrier
	v_add_u32_e32 v30, 16, v5
	ds_read_b32 v29, v5 offset:16
	v_and_b32_e32 v5, 1, v4
	v_add_co_u32_e32 v6, vcc, -1, v5
	v_addc_co_u32_e64 v7, s[26:27], 0, -1, vcc
	v_cmp_ne_u32_e32 vcc, 0, v5
	v_lshlrev_b32_e32 v23, 30, v4
	v_xor_b32_e32 v5, vcc_hi, v7
	v_not_b32_e32 v7, v23
	v_xor_b32_e32 v6, vcc_lo, v6
	v_cmp_gt_i64_e32 vcc, 0, v[22:23]
	v_ashrrev_i32_e32 v7, 31, v7
	v_and_b32_e32 v5, exec_hi, v5
	v_xor_b32_e32 v23, vcc_hi, v7
	v_and_b32_e32 v6, exec_lo, v6
	v_xor_b32_e32 v7, vcc_lo, v7
	v_and_b32_e32 v5, v5, v23
	v_lshlrev_b32_e32 v23, 29, v4
	v_and_b32_e32 v6, v6, v7
	v_not_b32_e32 v7, v23
	v_cmp_gt_i64_e32 vcc, 0, v[22:23]
	v_ashrrev_i32_e32 v7, 31, v7
	v_xor_b32_e32 v23, vcc_hi, v7
	v_xor_b32_e32 v7, vcc_lo, v7
	v_and_b32_e32 v5, v5, v23
	v_lshlrev_b32_e32 v23, 28, v4
	v_and_b32_e32 v6, v6, v7
	v_not_b32_e32 v7, v23
	v_cmp_gt_i64_e32 vcc, 0, v[22:23]
	v_ashrrev_i32_e32 v7, 31, v7
	v_xor_b32_e32 v23, vcc_hi, v7
	;; [unrolled: 8-line block ×5, first 2 shown]
	v_and_b32_e32 v5, v5, v23
	v_lshlrev_b32_e32 v23, 24, v4
	v_not_b32_e32 v4, v23
	v_xor_b32_e32 v7, vcc_lo, v7
	v_cmp_gt_i64_e32 vcc, 0, v[22:23]
	v_ashrrev_i32_e32 v4, 31, v4
	v_and_b32_e32 v6, v6, v7
	v_xor_b32_e32 v7, vcc_hi, v4
	v_xor_b32_e32 v4, vcc_lo, v4
	v_and_b32_e32 v4, v6, v4
	v_and_b32_e32 v5, v5, v7
	v_mbcnt_lo_u32_b32 v6, v4, 0
	v_mbcnt_hi_u32_b32 v31, v5, v6
	v_cmp_eq_u32_e32 vcc, 0, v31
	v_cmp_ne_u64_e64 s[26:27], 0, v[4:5]
	s_and_b64 s[46:47], s[26:27], vcc
	; wave barrier
	s_and_saveexec_b64 s[26:27], s[46:47]
	s_cbranch_execz .LBB446_25
; %bb.24:                               ;   in Loop: Header=BB446_19 Depth=1
	v_bcnt_u32_b32 v4, v4, 0
	v_bcnt_u32_b32 v4, v5, v4
	s_waitcnt lgkmcnt(0)
	v_add_u32_e32 v4, v29, v4
	ds_write_b32 v30, v4
.LBB446_25:                             ;   in Loop: Header=BB446_19 Depth=1
	s_or_b64 exec, exec, s[26:27]
	v_lshrrev_b32_e32 v4, s36, v3
	v_and_b32_e32 v4, s44, v4
	v_lshlrev_b32_e32 v5, 2, v4
	v_add_lshl_u32 v5, v5, v33, 2
	; wave barrier
	v_add_u32_e32 v47, 16, v5
	ds_read_b32 v46, v5 offset:16
	v_and_b32_e32 v5, 1, v4
	v_add_co_u32_e32 v6, vcc, -1, v5
	v_addc_co_u32_e64 v7, s[26:27], 0, -1, vcc
	v_cmp_ne_u32_e32 vcc, 0, v5
	v_lshlrev_b32_e32 v23, 30, v4
	v_xor_b32_e32 v5, vcc_hi, v7
	v_not_b32_e32 v7, v23
	v_xor_b32_e32 v6, vcc_lo, v6
	v_cmp_gt_i64_e32 vcc, 0, v[22:23]
	v_ashrrev_i32_e32 v7, 31, v7
	v_and_b32_e32 v5, exec_hi, v5
	v_xor_b32_e32 v23, vcc_hi, v7
	v_and_b32_e32 v6, exec_lo, v6
	v_xor_b32_e32 v7, vcc_lo, v7
	v_and_b32_e32 v5, v5, v23
	v_lshlrev_b32_e32 v23, 29, v4
	v_and_b32_e32 v6, v6, v7
	v_not_b32_e32 v7, v23
	v_cmp_gt_i64_e32 vcc, 0, v[22:23]
	v_ashrrev_i32_e32 v7, 31, v7
	v_xor_b32_e32 v23, vcc_hi, v7
	v_xor_b32_e32 v7, vcc_lo, v7
	v_and_b32_e32 v5, v5, v23
	v_lshlrev_b32_e32 v23, 28, v4
	v_and_b32_e32 v6, v6, v7
	v_not_b32_e32 v7, v23
	v_cmp_gt_i64_e32 vcc, 0, v[22:23]
	v_ashrrev_i32_e32 v7, 31, v7
	v_xor_b32_e32 v23, vcc_hi, v7
	;; [unrolled: 8-line block ×5, first 2 shown]
	v_and_b32_e32 v5, v5, v23
	v_lshlrev_b32_e32 v23, 24, v4
	v_not_b32_e32 v4, v23
	v_xor_b32_e32 v7, vcc_lo, v7
	v_cmp_gt_i64_e32 vcc, 0, v[22:23]
	v_ashrrev_i32_e32 v4, 31, v4
	v_and_b32_e32 v6, v6, v7
	v_xor_b32_e32 v7, vcc_hi, v4
	v_xor_b32_e32 v4, vcc_lo, v4
	v_and_b32_e32 v4, v6, v4
	v_and_b32_e32 v5, v5, v7
	v_mbcnt_lo_u32_b32 v6, v4, 0
	v_mbcnt_hi_u32_b32 v23, v5, v6
	v_cmp_eq_u32_e32 vcc, 0, v23
	v_cmp_ne_u64_e64 s[26:27], 0, v[4:5]
	s_and_b64 s[44:45], s[26:27], vcc
	; wave barrier
	s_and_saveexec_b64 s[26:27], s[44:45]
	s_cbranch_execz .LBB446_27
; %bb.26:                               ;   in Loop: Header=BB446_19 Depth=1
	v_bcnt_u32_b32 v4, v4, 0
	v_bcnt_u32_b32 v4, v5, v4
	s_waitcnt lgkmcnt(0)
	v_add_u32_e32 v4, v46, v4
	ds_write_b32 v47, v4
.LBB446_27:                             ;   in Loop: Header=BB446_19 Depth=1
	s_or_b64 exec, exec, s[26:27]
	; wave barrier
	s_waitcnt lgkmcnt(0)
	s_barrier
	ds_read2_b64 v[4:7], v32 offset0:2 offset1:3
	s_waitcnt lgkmcnt(0)
	v_add_u32_e32 v48, v5, v4
	v_add3_u32 v7, v48, v6, v7
	s_nop 1
	v_mov_b32_dpp v48, v7 row_shr:1 row_mask:0xf bank_mask:0xf
	v_cndmask_b32_e64 v48, v48, 0, s[0:1]
	v_add_u32_e32 v7, v48, v7
	s_nop 1
	v_mov_b32_dpp v48, v7 row_shr:2 row_mask:0xf bank_mask:0xf
	v_cndmask_b32_e64 v48, 0, v48, s[2:3]
	v_add_u32_e32 v7, v7, v48
	;; [unrolled: 4-line block ×4, first 2 shown]
	s_nop 1
	v_mov_b32_dpp v48, v7 row_bcast:15 row_mask:0xf bank_mask:0xf
	v_cndmask_b32_e64 v48, v48, 0, s[8:9]
	v_add_u32_e32 v7, v7, v48
	s_nop 1
	v_mov_b32_dpp v48, v7 row_bcast:31 row_mask:0xf bank_mask:0xf
	v_cndmask_b32_e64 v48, 0, v48, s[10:11]
	v_add_u32_e32 v7, v7, v48
	s_and_saveexec_b64 s[26:27], s[12:13]
	s_cbranch_execz .LBB446_29
; %bb.28:                               ;   in Loop: Header=BB446_19 Depth=1
	ds_write_b32 v36, v7
.LBB446_29:                             ;   in Loop: Header=BB446_19 Depth=1
	s_or_b64 exec, exec, s[26:27]
	s_waitcnt lgkmcnt(0)
	s_barrier
	s_and_saveexec_b64 s[26:27], s[14:15]
	s_cbranch_execz .LBB446_31
; %bb.30:                               ;   in Loop: Header=BB446_19 Depth=1
	v_add_u32_e32 v48, v32, v34
	ds_read_b32 v49, v48
	s_waitcnt lgkmcnt(0)
	s_nop 0
	v_mov_b32_dpp v50, v49 row_shr:1 row_mask:0xf bank_mask:0xf
	v_cndmask_b32_e64 v50, v50, 0, s[22:23]
	v_add_u32_e32 v49, v50, v49
	s_nop 1
	v_mov_b32_dpp v50, v49 row_shr:2 row_mask:0xf bank_mask:0xf
	v_cndmask_b32_e64 v50, 0, v50, s[24:25]
	v_add_u32_e32 v49, v49, v50
	ds_write_b32 v48, v49
.LBB446_31:                             ;   in Loop: Header=BB446_19 Depth=1
	s_or_b64 exec, exec, s[26:27]
	v_mov_b32_e32 v48, 0
	s_waitcnt lgkmcnt(0)
	s_barrier
	s_and_saveexec_b64 s[26:27], s[16:17]
	s_cbranch_execz .LBB446_33
; %bb.32:                               ;   in Loop: Header=BB446_19 Depth=1
	ds_read_b32 v48, v37
.LBB446_33:                             ;   in Loop: Header=BB446_19 Depth=1
	s_or_b64 exec, exec, s[26:27]
	s_waitcnt lgkmcnt(0)
	v_add_u32_e32 v7, v48, v7
	ds_bpermute_b32 v7, v35, v7
	s_add_i32 s36, s36, 8
	s_cmp_ge_u32 s36, s40
	s_waitcnt lgkmcnt(0)
	v_cndmask_b32_e64 v7, v7, v48, s[18:19]
	v_cndmask_b32_e64 v48, v7, 0, s[20:21]
	v_add_u32_e32 v49, v48, v4
	v_add_u32_e32 v4, v49, v5
	;; [unrolled: 1-line block ×3, first 2 shown]
	ds_write2_b64 v32, v[48:49], v[4:5] offset0:2 offset1:3
	s_waitcnt lgkmcnt(0)
	s_barrier
	ds_read_b32 v4, v24
	ds_read_b32 v5, v27
	;; [unrolled: 1-line block ×4, first 2 shown]
	s_waitcnt lgkmcnt(0)
	v_add_u32_e32 v49, v4, v25
	v_add3_u32 v48, v28, v26, v5
	v_add3_u32 v47, v31, v29, v6
	;; [unrolled: 1-line block ×3, first 2 shown]
	v_lshlrev_b32_e32 v52, 2, v49
	v_lshlrev_b32_e32 v51, 2, v48
	;; [unrolled: 1-line block ×4, first 2 shown]
	s_cbranch_scc0 .LBB446_18
; %bb.34:
                                        ; implicit-def: $sgpr36
                                        ; implicit-def: $vgpr4_vgpr5_vgpr6_vgpr7
                                        ; implicit-def: $vgpr24_vgpr25
                                        ; implicit-def: $vgpr26_vgpr27
                                        ; implicit-def: $vgpr28_vgpr29
                                        ; implicit-def: $vgpr30_vgpr31
.LBB446_35:
	s_barrier
	ds_write_b32 v52, v0
	ds_write_b32 v51, v1
	;; [unrolled: 1-line block ×4, first 2 shown]
	v_add_u32_e32 v0, v32, v34
	s_waitcnt lgkmcnt(0)
	s_barrier
	ds_read2st64_b32 v[18:19], v9 offset0:4 offset1:8
	ds_read_b32 v21, v0
	ds_read_b32 v20, v9 offset:3072
	v_lshl_add_u32 v0, v49, 2, v52
	s_waitcnt lgkmcnt(0)
	s_barrier
	ds_write_b64 v0, v[16:17]
	v_lshl_add_u32 v0, v48, 2, v51
	ds_write_b64 v0, v[14:15]
	v_lshl_add_u32 v0, v47, 2, v50
	;; [unrolled: 2-line block ×3, first 2 shown]
	ds_write_b64 v0, v[10:11]
	v_add_u32_e32 v0, v9, v9
	s_waitcnt lgkmcnt(0)
	s_barrier
	ds_read2st64_b64 v[4:7], v0 offset1:4
	ds_read2st64_b64 v[0:3], v0 offset0:8 offset1:12
	s_add_u32 s0, s38, s34
	s_addc_u32 s1, s39, s35
	v_mov_b32_e32 v11, s1
	v_add_co_u32_e32 v10, vcc, s0, v9
	v_addc_co_u32_e32 v11, vcc, 0, v11, vcc
	s_andn2_b64 vcc, exec, s[30:31]
	v_lshlrev_b32_e32 v12, 3, v8
	s_cbranch_vccnz .LBB446_37
; %bb.36:
	s_lshl_b64 s[0:1], s[28:29], 3
	s_add_u32 s0, s42, s0
	s_addc_u32 s1, s43, s1
	v_mov_b32_e32 v9, s1
	v_add_co_u32_e32 v13, vcc, s0, v12
	v_addc_co_u32_e32 v9, vcc, 0, v9, vcc
	v_add_co_u32_e32 v14, vcc, 0x1000, v13
	global_store_dword v[10:11], v21, off
	global_store_dword v[10:11], v18, off offset:1024
	global_store_dword v[10:11], v19, off offset:2048
	global_store_dword v[10:11], v20, off offset:3072
	s_waitcnt lgkmcnt(1)
	global_store_dwordx2 v12, v[4:5], s[0:1]
	global_store_dwordx2 v12, v[6:7], s[0:1] offset:2048
	v_addc_co_u32_e32 v15, vcc, 0, v9, vcc
	s_mov_b64 s[6:7], -1
	s_waitcnt lgkmcnt(0)
	global_store_dwordx2 v[14:15], v[0:1], off
	s_cbranch_execz .LBB446_38
	s_branch .LBB446_51
.LBB446_37:
	s_mov_b64 s[6:7], 0
.LBB446_38:
	v_cmp_gt_u32_e32 vcc, s33, v8
	s_and_saveexec_b64 s[0:1], vcc
	s_cbranch_execz .LBB446_40
; %bb.39:
	global_store_dword v[10:11], v21, off
.LBB446_40:
	s_or_b64 exec, exec, s[0:1]
	v_add_u32_e32 v9, 0x100, v8
	v_cmp_gt_u32_e64 s[0:1], s33, v9
	s_and_saveexec_b64 s[2:3], s[0:1]
	s_cbranch_execz .LBB446_42
; %bb.41:
	global_store_dword v[10:11], v18, off offset:1024
.LBB446_42:
	s_or_b64 exec, exec, s[2:3]
	v_add_u32_e32 v9, 0x200, v8
	v_cmp_gt_u32_e64 s[2:3], s33, v9
	s_and_saveexec_b64 s[4:5], s[2:3]
	s_cbranch_execz .LBB446_44
; %bb.43:
	global_store_dword v[10:11], v19, off offset:2048
.LBB446_44:
	;; [unrolled: 8-line block ×3, first 2 shown]
	s_or_b64 exec, exec, s[4:5]
	s_lshl_b64 s[4:5], s[28:29], 3
	s_add_u32 s4, s42, s4
	s_addc_u32 s5, s43, s5
	v_mov_b32_e32 v9, s5
	v_add_co_u32_e64 v8, s[4:5], s4, v12
	v_addc_co_u32_e64 v9, s[4:5], 0, v9, s[4:5]
	s_and_saveexec_b64 s[4:5], vcc
	s_cbranch_execnz .LBB446_57
; %bb.47:
	s_or_b64 exec, exec, s[4:5]
	s_and_saveexec_b64 s[4:5], s[0:1]
	s_cbranch_execnz .LBB446_58
.LBB446_48:
	s_or_b64 exec, exec, s[4:5]
	s_and_saveexec_b64 s[0:1], s[2:3]
	s_cbranch_execz .LBB446_50
.LBB446_49:
	s_waitcnt lgkmcnt(1)
	v_add_co_u32_e32 v4, vcc, 0x1000, v8
	v_addc_co_u32_e32 v5, vcc, 0, v9, vcc
	s_waitcnt lgkmcnt(0)
	global_store_dwordx2 v[4:5], v[0:1], off
.LBB446_50:
	s_or_b64 exec, exec, s[0:1]
.LBB446_51:
	s_and_saveexec_b64 s[0:1], s[6:7]
	s_cbranch_execnz .LBB446_53
; %bb.52:
	s_endpgm
.LBB446_53:
	s_lshl_b64 s[0:1], s[28:29], 3
	s_add_u32 s0, s42, s0
	s_addc_u32 s1, s43, s1
	s_waitcnt lgkmcnt(0)
	v_mov_b32_e32 v0, s1
	v_add_co_u32_e32 v1, vcc, s0, v12
	v_addc_co_u32_e32 v4, vcc, 0, v0, vcc
	v_add_co_u32_e32 v0, vcc, 0x1000, v1
	v_addc_co_u32_e32 v1, vcc, 0, v4, vcc
	global_store_dwordx2 v[0:1], v[2:3], off offset:2048
	s_endpgm
.LBB446_54:
	global_load_dwordx2 v[24:25], v[2:3], off
	s_or_b64 exec, exec, s[8:9]
                                        ; implicit-def: $vgpr26_vgpr27
	s_and_saveexec_b64 s[8:9], s[0:1]
	s_cbranch_execz .LBB446_13
.LBB446_55:
	global_load_dwordx2 v[26:27], v[2:3], off offset:512
	s_or_b64 exec, exec, s[8:9]
                                        ; implicit-def: $vgpr28_vgpr29
	s_and_saveexec_b64 s[0:1], s[2:3]
	s_cbranch_execz .LBB446_14
.LBB446_56:
	global_load_dwordx2 v[28:29], v[2:3], off offset:1024
	s_or_b64 exec, exec, s[0:1]
                                        ; implicit-def: $vgpr30_vgpr31
	s_and_saveexec_b64 s[0:1], s[6:7]
	s_cbranch_execnz .LBB446_15
	s_branch .LBB446_16
.LBB446_57:
	s_waitcnt lgkmcnt(1)
	global_store_dwordx2 v[8:9], v[4:5], off
	s_or_b64 exec, exec, s[4:5]
	s_and_saveexec_b64 s[4:5], s[0:1]
	s_cbranch_execz .LBB446_48
.LBB446_58:
	s_waitcnt lgkmcnt(1)
	global_store_dwordx2 v[8:9], v[6:7], off offset:2048
	s_or_b64 exec, exec, s[4:5]
	s_and_saveexec_b64 s[0:1], s[2:3]
	s_cbranch_execnz .LBB446_49
	s_branch .LBB446_50
	.section	.rodata,"a",@progbits
	.p2align	6, 0x0
	.amdhsa_kernel _ZN7rocprim17ROCPRIM_400000_NS6detail17trampoline_kernelINS0_13kernel_configILj256ELj4ELj4294967295EEENS1_37radix_sort_block_sort_config_selectorIjyEEZNS1_21radix_sort_block_sortIS4_Lb0EPjS8_PyS9_NS0_19identity_decomposerEEE10hipError_tT1_T2_T3_T4_jRjT5_jjP12ihipStream_tbEUlT_E_NS1_11comp_targetILNS1_3genE4ELNS1_11target_archE910ELNS1_3gpuE8ELNS1_3repE0EEENS1_44radix_sort_block_sort_config_static_selectorELNS0_4arch9wavefront6targetE1EEEvSC_
		.amdhsa_group_segment_fixed_size 8192
		.amdhsa_private_segment_fixed_size 0
		.amdhsa_kernarg_size 304
		.amdhsa_user_sgpr_count 6
		.amdhsa_user_sgpr_private_segment_buffer 1
		.amdhsa_user_sgpr_dispatch_ptr 0
		.amdhsa_user_sgpr_queue_ptr 0
		.amdhsa_user_sgpr_kernarg_segment_ptr 1
		.amdhsa_user_sgpr_dispatch_id 0
		.amdhsa_user_sgpr_flat_scratch_init 0
		.amdhsa_user_sgpr_kernarg_preload_length 0
		.amdhsa_user_sgpr_kernarg_preload_offset 0
		.amdhsa_user_sgpr_private_segment_size 0
		.amdhsa_uses_dynamic_stack 0
		.amdhsa_system_sgpr_private_segment_wavefront_offset 0
		.amdhsa_system_sgpr_workgroup_id_x 1
		.amdhsa_system_sgpr_workgroup_id_y 0
		.amdhsa_system_sgpr_workgroup_id_z 0
		.amdhsa_system_sgpr_workgroup_info 0
		.amdhsa_system_vgpr_workitem_id 2
		.amdhsa_next_free_vgpr 53
		.amdhsa_next_free_sgpr 48
		.amdhsa_accum_offset 56
		.amdhsa_reserve_vcc 1
		.amdhsa_reserve_flat_scratch 0
		.amdhsa_float_round_mode_32 0
		.amdhsa_float_round_mode_16_64 0
		.amdhsa_float_denorm_mode_32 3
		.amdhsa_float_denorm_mode_16_64 3
		.amdhsa_dx10_clamp 1
		.amdhsa_ieee_mode 1
		.amdhsa_fp16_overflow 0
		.amdhsa_tg_split 0
		.amdhsa_exception_fp_ieee_invalid_op 0
		.amdhsa_exception_fp_denorm_src 0
		.amdhsa_exception_fp_ieee_div_zero 0
		.amdhsa_exception_fp_ieee_overflow 0
		.amdhsa_exception_fp_ieee_underflow 0
		.amdhsa_exception_fp_ieee_inexact 0
		.amdhsa_exception_int_div_zero 0
	.end_amdhsa_kernel
	.section	.text._ZN7rocprim17ROCPRIM_400000_NS6detail17trampoline_kernelINS0_13kernel_configILj256ELj4ELj4294967295EEENS1_37radix_sort_block_sort_config_selectorIjyEEZNS1_21radix_sort_block_sortIS4_Lb0EPjS8_PyS9_NS0_19identity_decomposerEEE10hipError_tT1_T2_T3_T4_jRjT5_jjP12ihipStream_tbEUlT_E_NS1_11comp_targetILNS1_3genE4ELNS1_11target_archE910ELNS1_3gpuE8ELNS1_3repE0EEENS1_44radix_sort_block_sort_config_static_selectorELNS0_4arch9wavefront6targetE1EEEvSC_,"axG",@progbits,_ZN7rocprim17ROCPRIM_400000_NS6detail17trampoline_kernelINS0_13kernel_configILj256ELj4ELj4294967295EEENS1_37radix_sort_block_sort_config_selectorIjyEEZNS1_21radix_sort_block_sortIS4_Lb0EPjS8_PyS9_NS0_19identity_decomposerEEE10hipError_tT1_T2_T3_T4_jRjT5_jjP12ihipStream_tbEUlT_E_NS1_11comp_targetILNS1_3genE4ELNS1_11target_archE910ELNS1_3gpuE8ELNS1_3repE0EEENS1_44radix_sort_block_sort_config_static_selectorELNS0_4arch9wavefront6targetE1EEEvSC_,comdat
.Lfunc_end446:
	.size	_ZN7rocprim17ROCPRIM_400000_NS6detail17trampoline_kernelINS0_13kernel_configILj256ELj4ELj4294967295EEENS1_37radix_sort_block_sort_config_selectorIjyEEZNS1_21radix_sort_block_sortIS4_Lb0EPjS8_PyS9_NS0_19identity_decomposerEEE10hipError_tT1_T2_T3_T4_jRjT5_jjP12ihipStream_tbEUlT_E_NS1_11comp_targetILNS1_3genE4ELNS1_11target_archE910ELNS1_3gpuE8ELNS1_3repE0EEENS1_44radix_sort_block_sort_config_static_selectorELNS0_4arch9wavefront6targetE1EEEvSC_, .Lfunc_end446-_ZN7rocprim17ROCPRIM_400000_NS6detail17trampoline_kernelINS0_13kernel_configILj256ELj4ELj4294967295EEENS1_37radix_sort_block_sort_config_selectorIjyEEZNS1_21radix_sort_block_sortIS4_Lb0EPjS8_PyS9_NS0_19identity_decomposerEEE10hipError_tT1_T2_T3_T4_jRjT5_jjP12ihipStream_tbEUlT_E_NS1_11comp_targetILNS1_3genE4ELNS1_11target_archE910ELNS1_3gpuE8ELNS1_3repE0EEENS1_44radix_sort_block_sort_config_static_selectorELNS0_4arch9wavefront6targetE1EEEvSC_
                                        ; -- End function
	.section	.AMDGPU.csdata,"",@progbits
; Kernel info:
; codeLenInByte = 3868
; NumSgprs: 52
; NumVgprs: 53
; NumAgprs: 0
; TotalNumVgprs: 53
; ScratchSize: 0
; MemoryBound: 0
; FloatMode: 240
; IeeeMode: 1
; LDSByteSize: 8192 bytes/workgroup (compile time only)
; SGPRBlocks: 6
; VGPRBlocks: 6
; NumSGPRsForWavesPerEU: 52
; NumVGPRsForWavesPerEU: 53
; AccumOffset: 56
; Occupancy: 8
; WaveLimiterHint : 1
; COMPUTE_PGM_RSRC2:SCRATCH_EN: 0
; COMPUTE_PGM_RSRC2:USER_SGPR: 6
; COMPUTE_PGM_RSRC2:TRAP_HANDLER: 0
; COMPUTE_PGM_RSRC2:TGID_X_EN: 1
; COMPUTE_PGM_RSRC2:TGID_Y_EN: 0
; COMPUTE_PGM_RSRC2:TGID_Z_EN: 0
; COMPUTE_PGM_RSRC2:TIDIG_COMP_CNT: 2
; COMPUTE_PGM_RSRC3_GFX90A:ACCUM_OFFSET: 13
; COMPUTE_PGM_RSRC3_GFX90A:TG_SPLIT: 0
	.section	.text._ZN7rocprim17ROCPRIM_400000_NS6detail17trampoline_kernelINS0_13kernel_configILj256ELj4ELj4294967295EEENS1_37radix_sort_block_sort_config_selectorIjyEEZNS1_21radix_sort_block_sortIS4_Lb0EPjS8_PyS9_NS0_19identity_decomposerEEE10hipError_tT1_T2_T3_T4_jRjT5_jjP12ihipStream_tbEUlT_E_NS1_11comp_targetILNS1_3genE3ELNS1_11target_archE908ELNS1_3gpuE7ELNS1_3repE0EEENS1_44radix_sort_block_sort_config_static_selectorELNS0_4arch9wavefront6targetE1EEEvSC_,"axG",@progbits,_ZN7rocprim17ROCPRIM_400000_NS6detail17trampoline_kernelINS0_13kernel_configILj256ELj4ELj4294967295EEENS1_37radix_sort_block_sort_config_selectorIjyEEZNS1_21radix_sort_block_sortIS4_Lb0EPjS8_PyS9_NS0_19identity_decomposerEEE10hipError_tT1_T2_T3_T4_jRjT5_jjP12ihipStream_tbEUlT_E_NS1_11comp_targetILNS1_3genE3ELNS1_11target_archE908ELNS1_3gpuE7ELNS1_3repE0EEENS1_44radix_sort_block_sort_config_static_selectorELNS0_4arch9wavefront6targetE1EEEvSC_,comdat
	.protected	_ZN7rocprim17ROCPRIM_400000_NS6detail17trampoline_kernelINS0_13kernel_configILj256ELj4ELj4294967295EEENS1_37radix_sort_block_sort_config_selectorIjyEEZNS1_21radix_sort_block_sortIS4_Lb0EPjS8_PyS9_NS0_19identity_decomposerEEE10hipError_tT1_T2_T3_T4_jRjT5_jjP12ihipStream_tbEUlT_E_NS1_11comp_targetILNS1_3genE3ELNS1_11target_archE908ELNS1_3gpuE7ELNS1_3repE0EEENS1_44radix_sort_block_sort_config_static_selectorELNS0_4arch9wavefront6targetE1EEEvSC_ ; -- Begin function _ZN7rocprim17ROCPRIM_400000_NS6detail17trampoline_kernelINS0_13kernel_configILj256ELj4ELj4294967295EEENS1_37radix_sort_block_sort_config_selectorIjyEEZNS1_21radix_sort_block_sortIS4_Lb0EPjS8_PyS9_NS0_19identity_decomposerEEE10hipError_tT1_T2_T3_T4_jRjT5_jjP12ihipStream_tbEUlT_E_NS1_11comp_targetILNS1_3genE3ELNS1_11target_archE908ELNS1_3gpuE7ELNS1_3repE0EEENS1_44radix_sort_block_sort_config_static_selectorELNS0_4arch9wavefront6targetE1EEEvSC_
	.globl	_ZN7rocprim17ROCPRIM_400000_NS6detail17trampoline_kernelINS0_13kernel_configILj256ELj4ELj4294967295EEENS1_37radix_sort_block_sort_config_selectorIjyEEZNS1_21radix_sort_block_sortIS4_Lb0EPjS8_PyS9_NS0_19identity_decomposerEEE10hipError_tT1_T2_T3_T4_jRjT5_jjP12ihipStream_tbEUlT_E_NS1_11comp_targetILNS1_3genE3ELNS1_11target_archE908ELNS1_3gpuE7ELNS1_3repE0EEENS1_44radix_sort_block_sort_config_static_selectorELNS0_4arch9wavefront6targetE1EEEvSC_
	.p2align	8
	.type	_ZN7rocprim17ROCPRIM_400000_NS6detail17trampoline_kernelINS0_13kernel_configILj256ELj4ELj4294967295EEENS1_37radix_sort_block_sort_config_selectorIjyEEZNS1_21radix_sort_block_sortIS4_Lb0EPjS8_PyS9_NS0_19identity_decomposerEEE10hipError_tT1_T2_T3_T4_jRjT5_jjP12ihipStream_tbEUlT_E_NS1_11comp_targetILNS1_3genE3ELNS1_11target_archE908ELNS1_3gpuE7ELNS1_3repE0EEENS1_44radix_sort_block_sort_config_static_selectorELNS0_4arch9wavefront6targetE1EEEvSC_,@function
_ZN7rocprim17ROCPRIM_400000_NS6detail17trampoline_kernelINS0_13kernel_configILj256ELj4ELj4294967295EEENS1_37radix_sort_block_sort_config_selectorIjyEEZNS1_21radix_sort_block_sortIS4_Lb0EPjS8_PyS9_NS0_19identity_decomposerEEE10hipError_tT1_T2_T3_T4_jRjT5_jjP12ihipStream_tbEUlT_E_NS1_11comp_targetILNS1_3genE3ELNS1_11target_archE908ELNS1_3gpuE7ELNS1_3repE0EEENS1_44radix_sort_block_sort_config_static_selectorELNS0_4arch9wavefront6targetE1EEEvSC_: ; @_ZN7rocprim17ROCPRIM_400000_NS6detail17trampoline_kernelINS0_13kernel_configILj256ELj4ELj4294967295EEENS1_37radix_sort_block_sort_config_selectorIjyEEZNS1_21radix_sort_block_sortIS4_Lb0EPjS8_PyS9_NS0_19identity_decomposerEEE10hipError_tT1_T2_T3_T4_jRjT5_jjP12ihipStream_tbEUlT_E_NS1_11comp_targetILNS1_3genE3ELNS1_11target_archE908ELNS1_3gpuE7ELNS1_3repE0EEENS1_44radix_sort_block_sort_config_static_selectorELNS0_4arch9wavefront6targetE1EEEvSC_
; %bb.0:
	.section	.rodata,"a",@progbits
	.p2align	6, 0x0
	.amdhsa_kernel _ZN7rocprim17ROCPRIM_400000_NS6detail17trampoline_kernelINS0_13kernel_configILj256ELj4ELj4294967295EEENS1_37radix_sort_block_sort_config_selectorIjyEEZNS1_21radix_sort_block_sortIS4_Lb0EPjS8_PyS9_NS0_19identity_decomposerEEE10hipError_tT1_T2_T3_T4_jRjT5_jjP12ihipStream_tbEUlT_E_NS1_11comp_targetILNS1_3genE3ELNS1_11target_archE908ELNS1_3gpuE7ELNS1_3repE0EEENS1_44radix_sort_block_sort_config_static_selectorELNS0_4arch9wavefront6targetE1EEEvSC_
		.amdhsa_group_segment_fixed_size 0
		.amdhsa_private_segment_fixed_size 0
		.amdhsa_kernarg_size 48
		.amdhsa_user_sgpr_count 6
		.amdhsa_user_sgpr_private_segment_buffer 1
		.amdhsa_user_sgpr_dispatch_ptr 0
		.amdhsa_user_sgpr_queue_ptr 0
		.amdhsa_user_sgpr_kernarg_segment_ptr 1
		.amdhsa_user_sgpr_dispatch_id 0
		.amdhsa_user_sgpr_flat_scratch_init 0
		.amdhsa_user_sgpr_kernarg_preload_length 0
		.amdhsa_user_sgpr_kernarg_preload_offset 0
		.amdhsa_user_sgpr_private_segment_size 0
		.amdhsa_uses_dynamic_stack 0
		.amdhsa_system_sgpr_private_segment_wavefront_offset 0
		.amdhsa_system_sgpr_workgroup_id_x 1
		.amdhsa_system_sgpr_workgroup_id_y 0
		.amdhsa_system_sgpr_workgroup_id_z 0
		.amdhsa_system_sgpr_workgroup_info 0
		.amdhsa_system_vgpr_workitem_id 0
		.amdhsa_next_free_vgpr 1
		.amdhsa_next_free_sgpr 0
		.amdhsa_accum_offset 4
		.amdhsa_reserve_vcc 0
		.amdhsa_reserve_flat_scratch 0
		.amdhsa_float_round_mode_32 0
		.amdhsa_float_round_mode_16_64 0
		.amdhsa_float_denorm_mode_32 3
		.amdhsa_float_denorm_mode_16_64 3
		.amdhsa_dx10_clamp 1
		.amdhsa_ieee_mode 1
		.amdhsa_fp16_overflow 0
		.amdhsa_tg_split 0
		.amdhsa_exception_fp_ieee_invalid_op 0
		.amdhsa_exception_fp_denorm_src 0
		.amdhsa_exception_fp_ieee_div_zero 0
		.amdhsa_exception_fp_ieee_overflow 0
		.amdhsa_exception_fp_ieee_underflow 0
		.amdhsa_exception_fp_ieee_inexact 0
		.amdhsa_exception_int_div_zero 0
	.end_amdhsa_kernel
	.section	.text._ZN7rocprim17ROCPRIM_400000_NS6detail17trampoline_kernelINS0_13kernel_configILj256ELj4ELj4294967295EEENS1_37radix_sort_block_sort_config_selectorIjyEEZNS1_21radix_sort_block_sortIS4_Lb0EPjS8_PyS9_NS0_19identity_decomposerEEE10hipError_tT1_T2_T3_T4_jRjT5_jjP12ihipStream_tbEUlT_E_NS1_11comp_targetILNS1_3genE3ELNS1_11target_archE908ELNS1_3gpuE7ELNS1_3repE0EEENS1_44radix_sort_block_sort_config_static_selectorELNS0_4arch9wavefront6targetE1EEEvSC_,"axG",@progbits,_ZN7rocprim17ROCPRIM_400000_NS6detail17trampoline_kernelINS0_13kernel_configILj256ELj4ELj4294967295EEENS1_37radix_sort_block_sort_config_selectorIjyEEZNS1_21radix_sort_block_sortIS4_Lb0EPjS8_PyS9_NS0_19identity_decomposerEEE10hipError_tT1_T2_T3_T4_jRjT5_jjP12ihipStream_tbEUlT_E_NS1_11comp_targetILNS1_3genE3ELNS1_11target_archE908ELNS1_3gpuE7ELNS1_3repE0EEENS1_44radix_sort_block_sort_config_static_selectorELNS0_4arch9wavefront6targetE1EEEvSC_,comdat
.Lfunc_end447:
	.size	_ZN7rocprim17ROCPRIM_400000_NS6detail17trampoline_kernelINS0_13kernel_configILj256ELj4ELj4294967295EEENS1_37radix_sort_block_sort_config_selectorIjyEEZNS1_21radix_sort_block_sortIS4_Lb0EPjS8_PyS9_NS0_19identity_decomposerEEE10hipError_tT1_T2_T3_T4_jRjT5_jjP12ihipStream_tbEUlT_E_NS1_11comp_targetILNS1_3genE3ELNS1_11target_archE908ELNS1_3gpuE7ELNS1_3repE0EEENS1_44radix_sort_block_sort_config_static_selectorELNS0_4arch9wavefront6targetE1EEEvSC_, .Lfunc_end447-_ZN7rocprim17ROCPRIM_400000_NS6detail17trampoline_kernelINS0_13kernel_configILj256ELj4ELj4294967295EEENS1_37radix_sort_block_sort_config_selectorIjyEEZNS1_21radix_sort_block_sortIS4_Lb0EPjS8_PyS9_NS0_19identity_decomposerEEE10hipError_tT1_T2_T3_T4_jRjT5_jjP12ihipStream_tbEUlT_E_NS1_11comp_targetILNS1_3genE3ELNS1_11target_archE908ELNS1_3gpuE7ELNS1_3repE0EEENS1_44radix_sort_block_sort_config_static_selectorELNS0_4arch9wavefront6targetE1EEEvSC_
                                        ; -- End function
	.section	.AMDGPU.csdata,"",@progbits
; Kernel info:
; codeLenInByte = 0
; NumSgprs: 4
; NumVgprs: 0
; NumAgprs: 0
; TotalNumVgprs: 0
; ScratchSize: 0
; MemoryBound: 0
; FloatMode: 240
; IeeeMode: 1
; LDSByteSize: 0 bytes/workgroup (compile time only)
; SGPRBlocks: 0
; VGPRBlocks: 0
; NumSGPRsForWavesPerEU: 4
; NumVGPRsForWavesPerEU: 1
; AccumOffset: 4
; Occupancy: 8
; WaveLimiterHint : 0
; COMPUTE_PGM_RSRC2:SCRATCH_EN: 0
; COMPUTE_PGM_RSRC2:USER_SGPR: 6
; COMPUTE_PGM_RSRC2:TRAP_HANDLER: 0
; COMPUTE_PGM_RSRC2:TGID_X_EN: 1
; COMPUTE_PGM_RSRC2:TGID_Y_EN: 0
; COMPUTE_PGM_RSRC2:TGID_Z_EN: 0
; COMPUTE_PGM_RSRC2:TIDIG_COMP_CNT: 0
; COMPUTE_PGM_RSRC3_GFX90A:ACCUM_OFFSET: 0
; COMPUTE_PGM_RSRC3_GFX90A:TG_SPLIT: 0
	.section	.text._ZN7rocprim17ROCPRIM_400000_NS6detail17trampoline_kernelINS0_13kernel_configILj256ELj4ELj4294967295EEENS1_37radix_sort_block_sort_config_selectorIjyEEZNS1_21radix_sort_block_sortIS4_Lb0EPjS8_PyS9_NS0_19identity_decomposerEEE10hipError_tT1_T2_T3_T4_jRjT5_jjP12ihipStream_tbEUlT_E_NS1_11comp_targetILNS1_3genE2ELNS1_11target_archE906ELNS1_3gpuE6ELNS1_3repE0EEENS1_44radix_sort_block_sort_config_static_selectorELNS0_4arch9wavefront6targetE1EEEvSC_,"axG",@progbits,_ZN7rocprim17ROCPRIM_400000_NS6detail17trampoline_kernelINS0_13kernel_configILj256ELj4ELj4294967295EEENS1_37radix_sort_block_sort_config_selectorIjyEEZNS1_21radix_sort_block_sortIS4_Lb0EPjS8_PyS9_NS0_19identity_decomposerEEE10hipError_tT1_T2_T3_T4_jRjT5_jjP12ihipStream_tbEUlT_E_NS1_11comp_targetILNS1_3genE2ELNS1_11target_archE906ELNS1_3gpuE6ELNS1_3repE0EEENS1_44radix_sort_block_sort_config_static_selectorELNS0_4arch9wavefront6targetE1EEEvSC_,comdat
	.protected	_ZN7rocprim17ROCPRIM_400000_NS6detail17trampoline_kernelINS0_13kernel_configILj256ELj4ELj4294967295EEENS1_37radix_sort_block_sort_config_selectorIjyEEZNS1_21radix_sort_block_sortIS4_Lb0EPjS8_PyS9_NS0_19identity_decomposerEEE10hipError_tT1_T2_T3_T4_jRjT5_jjP12ihipStream_tbEUlT_E_NS1_11comp_targetILNS1_3genE2ELNS1_11target_archE906ELNS1_3gpuE6ELNS1_3repE0EEENS1_44radix_sort_block_sort_config_static_selectorELNS0_4arch9wavefront6targetE1EEEvSC_ ; -- Begin function _ZN7rocprim17ROCPRIM_400000_NS6detail17trampoline_kernelINS0_13kernel_configILj256ELj4ELj4294967295EEENS1_37radix_sort_block_sort_config_selectorIjyEEZNS1_21radix_sort_block_sortIS4_Lb0EPjS8_PyS9_NS0_19identity_decomposerEEE10hipError_tT1_T2_T3_T4_jRjT5_jjP12ihipStream_tbEUlT_E_NS1_11comp_targetILNS1_3genE2ELNS1_11target_archE906ELNS1_3gpuE6ELNS1_3repE0EEENS1_44radix_sort_block_sort_config_static_selectorELNS0_4arch9wavefront6targetE1EEEvSC_
	.globl	_ZN7rocprim17ROCPRIM_400000_NS6detail17trampoline_kernelINS0_13kernel_configILj256ELj4ELj4294967295EEENS1_37radix_sort_block_sort_config_selectorIjyEEZNS1_21radix_sort_block_sortIS4_Lb0EPjS8_PyS9_NS0_19identity_decomposerEEE10hipError_tT1_T2_T3_T4_jRjT5_jjP12ihipStream_tbEUlT_E_NS1_11comp_targetILNS1_3genE2ELNS1_11target_archE906ELNS1_3gpuE6ELNS1_3repE0EEENS1_44radix_sort_block_sort_config_static_selectorELNS0_4arch9wavefront6targetE1EEEvSC_
	.p2align	8
	.type	_ZN7rocprim17ROCPRIM_400000_NS6detail17trampoline_kernelINS0_13kernel_configILj256ELj4ELj4294967295EEENS1_37radix_sort_block_sort_config_selectorIjyEEZNS1_21radix_sort_block_sortIS4_Lb0EPjS8_PyS9_NS0_19identity_decomposerEEE10hipError_tT1_T2_T3_T4_jRjT5_jjP12ihipStream_tbEUlT_E_NS1_11comp_targetILNS1_3genE2ELNS1_11target_archE906ELNS1_3gpuE6ELNS1_3repE0EEENS1_44radix_sort_block_sort_config_static_selectorELNS0_4arch9wavefront6targetE1EEEvSC_,@function
_ZN7rocprim17ROCPRIM_400000_NS6detail17trampoline_kernelINS0_13kernel_configILj256ELj4ELj4294967295EEENS1_37radix_sort_block_sort_config_selectorIjyEEZNS1_21radix_sort_block_sortIS4_Lb0EPjS8_PyS9_NS0_19identity_decomposerEEE10hipError_tT1_T2_T3_T4_jRjT5_jjP12ihipStream_tbEUlT_E_NS1_11comp_targetILNS1_3genE2ELNS1_11target_archE906ELNS1_3gpuE6ELNS1_3repE0EEENS1_44radix_sort_block_sort_config_static_selectorELNS0_4arch9wavefront6targetE1EEEvSC_: ; @_ZN7rocprim17ROCPRIM_400000_NS6detail17trampoline_kernelINS0_13kernel_configILj256ELj4ELj4294967295EEENS1_37radix_sort_block_sort_config_selectorIjyEEZNS1_21radix_sort_block_sortIS4_Lb0EPjS8_PyS9_NS0_19identity_decomposerEEE10hipError_tT1_T2_T3_T4_jRjT5_jjP12ihipStream_tbEUlT_E_NS1_11comp_targetILNS1_3genE2ELNS1_11target_archE906ELNS1_3gpuE6ELNS1_3repE0EEENS1_44radix_sort_block_sort_config_static_selectorELNS0_4arch9wavefront6targetE1EEEvSC_
; %bb.0:
	.section	.rodata,"a",@progbits
	.p2align	6, 0x0
	.amdhsa_kernel _ZN7rocprim17ROCPRIM_400000_NS6detail17trampoline_kernelINS0_13kernel_configILj256ELj4ELj4294967295EEENS1_37radix_sort_block_sort_config_selectorIjyEEZNS1_21radix_sort_block_sortIS4_Lb0EPjS8_PyS9_NS0_19identity_decomposerEEE10hipError_tT1_T2_T3_T4_jRjT5_jjP12ihipStream_tbEUlT_E_NS1_11comp_targetILNS1_3genE2ELNS1_11target_archE906ELNS1_3gpuE6ELNS1_3repE0EEENS1_44radix_sort_block_sort_config_static_selectorELNS0_4arch9wavefront6targetE1EEEvSC_
		.amdhsa_group_segment_fixed_size 0
		.amdhsa_private_segment_fixed_size 0
		.amdhsa_kernarg_size 48
		.amdhsa_user_sgpr_count 6
		.amdhsa_user_sgpr_private_segment_buffer 1
		.amdhsa_user_sgpr_dispatch_ptr 0
		.amdhsa_user_sgpr_queue_ptr 0
		.amdhsa_user_sgpr_kernarg_segment_ptr 1
		.amdhsa_user_sgpr_dispatch_id 0
		.amdhsa_user_sgpr_flat_scratch_init 0
		.amdhsa_user_sgpr_kernarg_preload_length 0
		.amdhsa_user_sgpr_kernarg_preload_offset 0
		.amdhsa_user_sgpr_private_segment_size 0
		.amdhsa_uses_dynamic_stack 0
		.amdhsa_system_sgpr_private_segment_wavefront_offset 0
		.amdhsa_system_sgpr_workgroup_id_x 1
		.amdhsa_system_sgpr_workgroup_id_y 0
		.amdhsa_system_sgpr_workgroup_id_z 0
		.amdhsa_system_sgpr_workgroup_info 0
		.amdhsa_system_vgpr_workitem_id 0
		.amdhsa_next_free_vgpr 1
		.amdhsa_next_free_sgpr 0
		.amdhsa_accum_offset 4
		.amdhsa_reserve_vcc 0
		.amdhsa_reserve_flat_scratch 0
		.amdhsa_float_round_mode_32 0
		.amdhsa_float_round_mode_16_64 0
		.amdhsa_float_denorm_mode_32 3
		.amdhsa_float_denorm_mode_16_64 3
		.amdhsa_dx10_clamp 1
		.amdhsa_ieee_mode 1
		.amdhsa_fp16_overflow 0
		.amdhsa_tg_split 0
		.amdhsa_exception_fp_ieee_invalid_op 0
		.amdhsa_exception_fp_denorm_src 0
		.amdhsa_exception_fp_ieee_div_zero 0
		.amdhsa_exception_fp_ieee_overflow 0
		.amdhsa_exception_fp_ieee_underflow 0
		.amdhsa_exception_fp_ieee_inexact 0
		.amdhsa_exception_int_div_zero 0
	.end_amdhsa_kernel
	.section	.text._ZN7rocprim17ROCPRIM_400000_NS6detail17trampoline_kernelINS0_13kernel_configILj256ELj4ELj4294967295EEENS1_37radix_sort_block_sort_config_selectorIjyEEZNS1_21radix_sort_block_sortIS4_Lb0EPjS8_PyS9_NS0_19identity_decomposerEEE10hipError_tT1_T2_T3_T4_jRjT5_jjP12ihipStream_tbEUlT_E_NS1_11comp_targetILNS1_3genE2ELNS1_11target_archE906ELNS1_3gpuE6ELNS1_3repE0EEENS1_44radix_sort_block_sort_config_static_selectorELNS0_4arch9wavefront6targetE1EEEvSC_,"axG",@progbits,_ZN7rocprim17ROCPRIM_400000_NS6detail17trampoline_kernelINS0_13kernel_configILj256ELj4ELj4294967295EEENS1_37radix_sort_block_sort_config_selectorIjyEEZNS1_21radix_sort_block_sortIS4_Lb0EPjS8_PyS9_NS0_19identity_decomposerEEE10hipError_tT1_T2_T3_T4_jRjT5_jjP12ihipStream_tbEUlT_E_NS1_11comp_targetILNS1_3genE2ELNS1_11target_archE906ELNS1_3gpuE6ELNS1_3repE0EEENS1_44radix_sort_block_sort_config_static_selectorELNS0_4arch9wavefront6targetE1EEEvSC_,comdat
.Lfunc_end448:
	.size	_ZN7rocprim17ROCPRIM_400000_NS6detail17trampoline_kernelINS0_13kernel_configILj256ELj4ELj4294967295EEENS1_37radix_sort_block_sort_config_selectorIjyEEZNS1_21radix_sort_block_sortIS4_Lb0EPjS8_PyS9_NS0_19identity_decomposerEEE10hipError_tT1_T2_T3_T4_jRjT5_jjP12ihipStream_tbEUlT_E_NS1_11comp_targetILNS1_3genE2ELNS1_11target_archE906ELNS1_3gpuE6ELNS1_3repE0EEENS1_44radix_sort_block_sort_config_static_selectorELNS0_4arch9wavefront6targetE1EEEvSC_, .Lfunc_end448-_ZN7rocprim17ROCPRIM_400000_NS6detail17trampoline_kernelINS0_13kernel_configILj256ELj4ELj4294967295EEENS1_37radix_sort_block_sort_config_selectorIjyEEZNS1_21radix_sort_block_sortIS4_Lb0EPjS8_PyS9_NS0_19identity_decomposerEEE10hipError_tT1_T2_T3_T4_jRjT5_jjP12ihipStream_tbEUlT_E_NS1_11comp_targetILNS1_3genE2ELNS1_11target_archE906ELNS1_3gpuE6ELNS1_3repE0EEENS1_44radix_sort_block_sort_config_static_selectorELNS0_4arch9wavefront6targetE1EEEvSC_
                                        ; -- End function
	.section	.AMDGPU.csdata,"",@progbits
; Kernel info:
; codeLenInByte = 0
; NumSgprs: 4
; NumVgprs: 0
; NumAgprs: 0
; TotalNumVgprs: 0
; ScratchSize: 0
; MemoryBound: 0
; FloatMode: 240
; IeeeMode: 1
; LDSByteSize: 0 bytes/workgroup (compile time only)
; SGPRBlocks: 0
; VGPRBlocks: 0
; NumSGPRsForWavesPerEU: 4
; NumVGPRsForWavesPerEU: 1
; AccumOffset: 4
; Occupancy: 8
; WaveLimiterHint : 0
; COMPUTE_PGM_RSRC2:SCRATCH_EN: 0
; COMPUTE_PGM_RSRC2:USER_SGPR: 6
; COMPUTE_PGM_RSRC2:TRAP_HANDLER: 0
; COMPUTE_PGM_RSRC2:TGID_X_EN: 1
; COMPUTE_PGM_RSRC2:TGID_Y_EN: 0
; COMPUTE_PGM_RSRC2:TGID_Z_EN: 0
; COMPUTE_PGM_RSRC2:TIDIG_COMP_CNT: 0
; COMPUTE_PGM_RSRC3_GFX90A:ACCUM_OFFSET: 0
; COMPUTE_PGM_RSRC3_GFX90A:TG_SPLIT: 0
	.section	.text._ZN7rocprim17ROCPRIM_400000_NS6detail17trampoline_kernelINS0_13kernel_configILj256ELj4ELj4294967295EEENS1_37radix_sort_block_sort_config_selectorIjyEEZNS1_21radix_sort_block_sortIS4_Lb0EPjS8_PyS9_NS0_19identity_decomposerEEE10hipError_tT1_T2_T3_T4_jRjT5_jjP12ihipStream_tbEUlT_E_NS1_11comp_targetILNS1_3genE10ELNS1_11target_archE1201ELNS1_3gpuE5ELNS1_3repE0EEENS1_44radix_sort_block_sort_config_static_selectorELNS0_4arch9wavefront6targetE1EEEvSC_,"axG",@progbits,_ZN7rocprim17ROCPRIM_400000_NS6detail17trampoline_kernelINS0_13kernel_configILj256ELj4ELj4294967295EEENS1_37radix_sort_block_sort_config_selectorIjyEEZNS1_21radix_sort_block_sortIS4_Lb0EPjS8_PyS9_NS0_19identity_decomposerEEE10hipError_tT1_T2_T3_T4_jRjT5_jjP12ihipStream_tbEUlT_E_NS1_11comp_targetILNS1_3genE10ELNS1_11target_archE1201ELNS1_3gpuE5ELNS1_3repE0EEENS1_44radix_sort_block_sort_config_static_selectorELNS0_4arch9wavefront6targetE1EEEvSC_,comdat
	.protected	_ZN7rocprim17ROCPRIM_400000_NS6detail17trampoline_kernelINS0_13kernel_configILj256ELj4ELj4294967295EEENS1_37radix_sort_block_sort_config_selectorIjyEEZNS1_21radix_sort_block_sortIS4_Lb0EPjS8_PyS9_NS0_19identity_decomposerEEE10hipError_tT1_T2_T3_T4_jRjT5_jjP12ihipStream_tbEUlT_E_NS1_11comp_targetILNS1_3genE10ELNS1_11target_archE1201ELNS1_3gpuE5ELNS1_3repE0EEENS1_44radix_sort_block_sort_config_static_selectorELNS0_4arch9wavefront6targetE1EEEvSC_ ; -- Begin function _ZN7rocprim17ROCPRIM_400000_NS6detail17trampoline_kernelINS0_13kernel_configILj256ELj4ELj4294967295EEENS1_37radix_sort_block_sort_config_selectorIjyEEZNS1_21radix_sort_block_sortIS4_Lb0EPjS8_PyS9_NS0_19identity_decomposerEEE10hipError_tT1_T2_T3_T4_jRjT5_jjP12ihipStream_tbEUlT_E_NS1_11comp_targetILNS1_3genE10ELNS1_11target_archE1201ELNS1_3gpuE5ELNS1_3repE0EEENS1_44radix_sort_block_sort_config_static_selectorELNS0_4arch9wavefront6targetE1EEEvSC_
	.globl	_ZN7rocprim17ROCPRIM_400000_NS6detail17trampoline_kernelINS0_13kernel_configILj256ELj4ELj4294967295EEENS1_37radix_sort_block_sort_config_selectorIjyEEZNS1_21radix_sort_block_sortIS4_Lb0EPjS8_PyS9_NS0_19identity_decomposerEEE10hipError_tT1_T2_T3_T4_jRjT5_jjP12ihipStream_tbEUlT_E_NS1_11comp_targetILNS1_3genE10ELNS1_11target_archE1201ELNS1_3gpuE5ELNS1_3repE0EEENS1_44radix_sort_block_sort_config_static_selectorELNS0_4arch9wavefront6targetE1EEEvSC_
	.p2align	8
	.type	_ZN7rocprim17ROCPRIM_400000_NS6detail17trampoline_kernelINS0_13kernel_configILj256ELj4ELj4294967295EEENS1_37radix_sort_block_sort_config_selectorIjyEEZNS1_21radix_sort_block_sortIS4_Lb0EPjS8_PyS9_NS0_19identity_decomposerEEE10hipError_tT1_T2_T3_T4_jRjT5_jjP12ihipStream_tbEUlT_E_NS1_11comp_targetILNS1_3genE10ELNS1_11target_archE1201ELNS1_3gpuE5ELNS1_3repE0EEENS1_44radix_sort_block_sort_config_static_selectorELNS0_4arch9wavefront6targetE1EEEvSC_,@function
_ZN7rocprim17ROCPRIM_400000_NS6detail17trampoline_kernelINS0_13kernel_configILj256ELj4ELj4294967295EEENS1_37radix_sort_block_sort_config_selectorIjyEEZNS1_21radix_sort_block_sortIS4_Lb0EPjS8_PyS9_NS0_19identity_decomposerEEE10hipError_tT1_T2_T3_T4_jRjT5_jjP12ihipStream_tbEUlT_E_NS1_11comp_targetILNS1_3genE10ELNS1_11target_archE1201ELNS1_3gpuE5ELNS1_3repE0EEENS1_44radix_sort_block_sort_config_static_selectorELNS0_4arch9wavefront6targetE1EEEvSC_: ; @_ZN7rocprim17ROCPRIM_400000_NS6detail17trampoline_kernelINS0_13kernel_configILj256ELj4ELj4294967295EEENS1_37radix_sort_block_sort_config_selectorIjyEEZNS1_21radix_sort_block_sortIS4_Lb0EPjS8_PyS9_NS0_19identity_decomposerEEE10hipError_tT1_T2_T3_T4_jRjT5_jjP12ihipStream_tbEUlT_E_NS1_11comp_targetILNS1_3genE10ELNS1_11target_archE1201ELNS1_3gpuE5ELNS1_3repE0EEENS1_44radix_sort_block_sort_config_static_selectorELNS0_4arch9wavefront6targetE1EEEvSC_
; %bb.0:
	.section	.rodata,"a",@progbits
	.p2align	6, 0x0
	.amdhsa_kernel _ZN7rocprim17ROCPRIM_400000_NS6detail17trampoline_kernelINS0_13kernel_configILj256ELj4ELj4294967295EEENS1_37radix_sort_block_sort_config_selectorIjyEEZNS1_21radix_sort_block_sortIS4_Lb0EPjS8_PyS9_NS0_19identity_decomposerEEE10hipError_tT1_T2_T3_T4_jRjT5_jjP12ihipStream_tbEUlT_E_NS1_11comp_targetILNS1_3genE10ELNS1_11target_archE1201ELNS1_3gpuE5ELNS1_3repE0EEENS1_44radix_sort_block_sort_config_static_selectorELNS0_4arch9wavefront6targetE1EEEvSC_
		.amdhsa_group_segment_fixed_size 0
		.amdhsa_private_segment_fixed_size 0
		.amdhsa_kernarg_size 48
		.amdhsa_user_sgpr_count 6
		.amdhsa_user_sgpr_private_segment_buffer 1
		.amdhsa_user_sgpr_dispatch_ptr 0
		.amdhsa_user_sgpr_queue_ptr 0
		.amdhsa_user_sgpr_kernarg_segment_ptr 1
		.amdhsa_user_sgpr_dispatch_id 0
		.amdhsa_user_sgpr_flat_scratch_init 0
		.amdhsa_user_sgpr_kernarg_preload_length 0
		.amdhsa_user_sgpr_kernarg_preload_offset 0
		.amdhsa_user_sgpr_private_segment_size 0
		.amdhsa_uses_dynamic_stack 0
		.amdhsa_system_sgpr_private_segment_wavefront_offset 0
		.amdhsa_system_sgpr_workgroup_id_x 1
		.amdhsa_system_sgpr_workgroup_id_y 0
		.amdhsa_system_sgpr_workgroup_id_z 0
		.amdhsa_system_sgpr_workgroup_info 0
		.amdhsa_system_vgpr_workitem_id 0
		.amdhsa_next_free_vgpr 1
		.amdhsa_next_free_sgpr 0
		.amdhsa_accum_offset 4
		.amdhsa_reserve_vcc 0
		.amdhsa_reserve_flat_scratch 0
		.amdhsa_float_round_mode_32 0
		.amdhsa_float_round_mode_16_64 0
		.amdhsa_float_denorm_mode_32 3
		.amdhsa_float_denorm_mode_16_64 3
		.amdhsa_dx10_clamp 1
		.amdhsa_ieee_mode 1
		.amdhsa_fp16_overflow 0
		.amdhsa_tg_split 0
		.amdhsa_exception_fp_ieee_invalid_op 0
		.amdhsa_exception_fp_denorm_src 0
		.amdhsa_exception_fp_ieee_div_zero 0
		.amdhsa_exception_fp_ieee_overflow 0
		.amdhsa_exception_fp_ieee_underflow 0
		.amdhsa_exception_fp_ieee_inexact 0
		.amdhsa_exception_int_div_zero 0
	.end_amdhsa_kernel
	.section	.text._ZN7rocprim17ROCPRIM_400000_NS6detail17trampoline_kernelINS0_13kernel_configILj256ELj4ELj4294967295EEENS1_37radix_sort_block_sort_config_selectorIjyEEZNS1_21radix_sort_block_sortIS4_Lb0EPjS8_PyS9_NS0_19identity_decomposerEEE10hipError_tT1_T2_T3_T4_jRjT5_jjP12ihipStream_tbEUlT_E_NS1_11comp_targetILNS1_3genE10ELNS1_11target_archE1201ELNS1_3gpuE5ELNS1_3repE0EEENS1_44radix_sort_block_sort_config_static_selectorELNS0_4arch9wavefront6targetE1EEEvSC_,"axG",@progbits,_ZN7rocprim17ROCPRIM_400000_NS6detail17trampoline_kernelINS0_13kernel_configILj256ELj4ELj4294967295EEENS1_37radix_sort_block_sort_config_selectorIjyEEZNS1_21radix_sort_block_sortIS4_Lb0EPjS8_PyS9_NS0_19identity_decomposerEEE10hipError_tT1_T2_T3_T4_jRjT5_jjP12ihipStream_tbEUlT_E_NS1_11comp_targetILNS1_3genE10ELNS1_11target_archE1201ELNS1_3gpuE5ELNS1_3repE0EEENS1_44radix_sort_block_sort_config_static_selectorELNS0_4arch9wavefront6targetE1EEEvSC_,comdat
.Lfunc_end449:
	.size	_ZN7rocprim17ROCPRIM_400000_NS6detail17trampoline_kernelINS0_13kernel_configILj256ELj4ELj4294967295EEENS1_37radix_sort_block_sort_config_selectorIjyEEZNS1_21radix_sort_block_sortIS4_Lb0EPjS8_PyS9_NS0_19identity_decomposerEEE10hipError_tT1_T2_T3_T4_jRjT5_jjP12ihipStream_tbEUlT_E_NS1_11comp_targetILNS1_3genE10ELNS1_11target_archE1201ELNS1_3gpuE5ELNS1_3repE0EEENS1_44radix_sort_block_sort_config_static_selectorELNS0_4arch9wavefront6targetE1EEEvSC_, .Lfunc_end449-_ZN7rocprim17ROCPRIM_400000_NS6detail17trampoline_kernelINS0_13kernel_configILj256ELj4ELj4294967295EEENS1_37radix_sort_block_sort_config_selectorIjyEEZNS1_21radix_sort_block_sortIS4_Lb0EPjS8_PyS9_NS0_19identity_decomposerEEE10hipError_tT1_T2_T3_T4_jRjT5_jjP12ihipStream_tbEUlT_E_NS1_11comp_targetILNS1_3genE10ELNS1_11target_archE1201ELNS1_3gpuE5ELNS1_3repE0EEENS1_44radix_sort_block_sort_config_static_selectorELNS0_4arch9wavefront6targetE1EEEvSC_
                                        ; -- End function
	.section	.AMDGPU.csdata,"",@progbits
; Kernel info:
; codeLenInByte = 0
; NumSgprs: 4
; NumVgprs: 0
; NumAgprs: 0
; TotalNumVgprs: 0
; ScratchSize: 0
; MemoryBound: 0
; FloatMode: 240
; IeeeMode: 1
; LDSByteSize: 0 bytes/workgroup (compile time only)
; SGPRBlocks: 0
; VGPRBlocks: 0
; NumSGPRsForWavesPerEU: 4
; NumVGPRsForWavesPerEU: 1
; AccumOffset: 4
; Occupancy: 8
; WaveLimiterHint : 0
; COMPUTE_PGM_RSRC2:SCRATCH_EN: 0
; COMPUTE_PGM_RSRC2:USER_SGPR: 6
; COMPUTE_PGM_RSRC2:TRAP_HANDLER: 0
; COMPUTE_PGM_RSRC2:TGID_X_EN: 1
; COMPUTE_PGM_RSRC2:TGID_Y_EN: 0
; COMPUTE_PGM_RSRC2:TGID_Z_EN: 0
; COMPUTE_PGM_RSRC2:TIDIG_COMP_CNT: 0
; COMPUTE_PGM_RSRC3_GFX90A:ACCUM_OFFSET: 0
; COMPUTE_PGM_RSRC3_GFX90A:TG_SPLIT: 0
	.section	.text._ZN7rocprim17ROCPRIM_400000_NS6detail17trampoline_kernelINS0_13kernel_configILj256ELj4ELj4294967295EEENS1_37radix_sort_block_sort_config_selectorIjyEEZNS1_21radix_sort_block_sortIS4_Lb0EPjS8_PyS9_NS0_19identity_decomposerEEE10hipError_tT1_T2_T3_T4_jRjT5_jjP12ihipStream_tbEUlT_E_NS1_11comp_targetILNS1_3genE10ELNS1_11target_archE1200ELNS1_3gpuE4ELNS1_3repE0EEENS1_44radix_sort_block_sort_config_static_selectorELNS0_4arch9wavefront6targetE1EEEvSC_,"axG",@progbits,_ZN7rocprim17ROCPRIM_400000_NS6detail17trampoline_kernelINS0_13kernel_configILj256ELj4ELj4294967295EEENS1_37radix_sort_block_sort_config_selectorIjyEEZNS1_21radix_sort_block_sortIS4_Lb0EPjS8_PyS9_NS0_19identity_decomposerEEE10hipError_tT1_T2_T3_T4_jRjT5_jjP12ihipStream_tbEUlT_E_NS1_11comp_targetILNS1_3genE10ELNS1_11target_archE1200ELNS1_3gpuE4ELNS1_3repE0EEENS1_44radix_sort_block_sort_config_static_selectorELNS0_4arch9wavefront6targetE1EEEvSC_,comdat
	.protected	_ZN7rocprim17ROCPRIM_400000_NS6detail17trampoline_kernelINS0_13kernel_configILj256ELj4ELj4294967295EEENS1_37radix_sort_block_sort_config_selectorIjyEEZNS1_21radix_sort_block_sortIS4_Lb0EPjS8_PyS9_NS0_19identity_decomposerEEE10hipError_tT1_T2_T3_T4_jRjT5_jjP12ihipStream_tbEUlT_E_NS1_11comp_targetILNS1_3genE10ELNS1_11target_archE1200ELNS1_3gpuE4ELNS1_3repE0EEENS1_44radix_sort_block_sort_config_static_selectorELNS0_4arch9wavefront6targetE1EEEvSC_ ; -- Begin function _ZN7rocprim17ROCPRIM_400000_NS6detail17trampoline_kernelINS0_13kernel_configILj256ELj4ELj4294967295EEENS1_37radix_sort_block_sort_config_selectorIjyEEZNS1_21radix_sort_block_sortIS4_Lb0EPjS8_PyS9_NS0_19identity_decomposerEEE10hipError_tT1_T2_T3_T4_jRjT5_jjP12ihipStream_tbEUlT_E_NS1_11comp_targetILNS1_3genE10ELNS1_11target_archE1200ELNS1_3gpuE4ELNS1_3repE0EEENS1_44radix_sort_block_sort_config_static_selectorELNS0_4arch9wavefront6targetE1EEEvSC_
	.globl	_ZN7rocprim17ROCPRIM_400000_NS6detail17trampoline_kernelINS0_13kernel_configILj256ELj4ELj4294967295EEENS1_37radix_sort_block_sort_config_selectorIjyEEZNS1_21radix_sort_block_sortIS4_Lb0EPjS8_PyS9_NS0_19identity_decomposerEEE10hipError_tT1_T2_T3_T4_jRjT5_jjP12ihipStream_tbEUlT_E_NS1_11comp_targetILNS1_3genE10ELNS1_11target_archE1200ELNS1_3gpuE4ELNS1_3repE0EEENS1_44radix_sort_block_sort_config_static_selectorELNS0_4arch9wavefront6targetE1EEEvSC_
	.p2align	8
	.type	_ZN7rocprim17ROCPRIM_400000_NS6detail17trampoline_kernelINS0_13kernel_configILj256ELj4ELj4294967295EEENS1_37radix_sort_block_sort_config_selectorIjyEEZNS1_21radix_sort_block_sortIS4_Lb0EPjS8_PyS9_NS0_19identity_decomposerEEE10hipError_tT1_T2_T3_T4_jRjT5_jjP12ihipStream_tbEUlT_E_NS1_11comp_targetILNS1_3genE10ELNS1_11target_archE1200ELNS1_3gpuE4ELNS1_3repE0EEENS1_44radix_sort_block_sort_config_static_selectorELNS0_4arch9wavefront6targetE1EEEvSC_,@function
_ZN7rocprim17ROCPRIM_400000_NS6detail17trampoline_kernelINS0_13kernel_configILj256ELj4ELj4294967295EEENS1_37radix_sort_block_sort_config_selectorIjyEEZNS1_21radix_sort_block_sortIS4_Lb0EPjS8_PyS9_NS0_19identity_decomposerEEE10hipError_tT1_T2_T3_T4_jRjT5_jjP12ihipStream_tbEUlT_E_NS1_11comp_targetILNS1_3genE10ELNS1_11target_archE1200ELNS1_3gpuE4ELNS1_3repE0EEENS1_44radix_sort_block_sort_config_static_selectorELNS0_4arch9wavefront6targetE1EEEvSC_: ; @_ZN7rocprim17ROCPRIM_400000_NS6detail17trampoline_kernelINS0_13kernel_configILj256ELj4ELj4294967295EEENS1_37radix_sort_block_sort_config_selectorIjyEEZNS1_21radix_sort_block_sortIS4_Lb0EPjS8_PyS9_NS0_19identity_decomposerEEE10hipError_tT1_T2_T3_T4_jRjT5_jjP12ihipStream_tbEUlT_E_NS1_11comp_targetILNS1_3genE10ELNS1_11target_archE1200ELNS1_3gpuE4ELNS1_3repE0EEENS1_44radix_sort_block_sort_config_static_selectorELNS0_4arch9wavefront6targetE1EEEvSC_
; %bb.0:
	.section	.rodata,"a",@progbits
	.p2align	6, 0x0
	.amdhsa_kernel _ZN7rocprim17ROCPRIM_400000_NS6detail17trampoline_kernelINS0_13kernel_configILj256ELj4ELj4294967295EEENS1_37radix_sort_block_sort_config_selectorIjyEEZNS1_21radix_sort_block_sortIS4_Lb0EPjS8_PyS9_NS0_19identity_decomposerEEE10hipError_tT1_T2_T3_T4_jRjT5_jjP12ihipStream_tbEUlT_E_NS1_11comp_targetILNS1_3genE10ELNS1_11target_archE1200ELNS1_3gpuE4ELNS1_3repE0EEENS1_44radix_sort_block_sort_config_static_selectorELNS0_4arch9wavefront6targetE1EEEvSC_
		.amdhsa_group_segment_fixed_size 0
		.amdhsa_private_segment_fixed_size 0
		.amdhsa_kernarg_size 48
		.amdhsa_user_sgpr_count 6
		.amdhsa_user_sgpr_private_segment_buffer 1
		.amdhsa_user_sgpr_dispatch_ptr 0
		.amdhsa_user_sgpr_queue_ptr 0
		.amdhsa_user_sgpr_kernarg_segment_ptr 1
		.amdhsa_user_sgpr_dispatch_id 0
		.amdhsa_user_sgpr_flat_scratch_init 0
		.amdhsa_user_sgpr_kernarg_preload_length 0
		.amdhsa_user_sgpr_kernarg_preload_offset 0
		.amdhsa_user_sgpr_private_segment_size 0
		.amdhsa_uses_dynamic_stack 0
		.amdhsa_system_sgpr_private_segment_wavefront_offset 0
		.amdhsa_system_sgpr_workgroup_id_x 1
		.amdhsa_system_sgpr_workgroup_id_y 0
		.amdhsa_system_sgpr_workgroup_id_z 0
		.amdhsa_system_sgpr_workgroup_info 0
		.amdhsa_system_vgpr_workitem_id 0
		.amdhsa_next_free_vgpr 1
		.amdhsa_next_free_sgpr 0
		.amdhsa_accum_offset 4
		.amdhsa_reserve_vcc 0
		.amdhsa_reserve_flat_scratch 0
		.amdhsa_float_round_mode_32 0
		.amdhsa_float_round_mode_16_64 0
		.amdhsa_float_denorm_mode_32 3
		.amdhsa_float_denorm_mode_16_64 3
		.amdhsa_dx10_clamp 1
		.amdhsa_ieee_mode 1
		.amdhsa_fp16_overflow 0
		.amdhsa_tg_split 0
		.amdhsa_exception_fp_ieee_invalid_op 0
		.amdhsa_exception_fp_denorm_src 0
		.amdhsa_exception_fp_ieee_div_zero 0
		.amdhsa_exception_fp_ieee_overflow 0
		.amdhsa_exception_fp_ieee_underflow 0
		.amdhsa_exception_fp_ieee_inexact 0
		.amdhsa_exception_int_div_zero 0
	.end_amdhsa_kernel
	.section	.text._ZN7rocprim17ROCPRIM_400000_NS6detail17trampoline_kernelINS0_13kernel_configILj256ELj4ELj4294967295EEENS1_37radix_sort_block_sort_config_selectorIjyEEZNS1_21radix_sort_block_sortIS4_Lb0EPjS8_PyS9_NS0_19identity_decomposerEEE10hipError_tT1_T2_T3_T4_jRjT5_jjP12ihipStream_tbEUlT_E_NS1_11comp_targetILNS1_3genE10ELNS1_11target_archE1200ELNS1_3gpuE4ELNS1_3repE0EEENS1_44radix_sort_block_sort_config_static_selectorELNS0_4arch9wavefront6targetE1EEEvSC_,"axG",@progbits,_ZN7rocprim17ROCPRIM_400000_NS6detail17trampoline_kernelINS0_13kernel_configILj256ELj4ELj4294967295EEENS1_37radix_sort_block_sort_config_selectorIjyEEZNS1_21radix_sort_block_sortIS4_Lb0EPjS8_PyS9_NS0_19identity_decomposerEEE10hipError_tT1_T2_T3_T4_jRjT5_jjP12ihipStream_tbEUlT_E_NS1_11comp_targetILNS1_3genE10ELNS1_11target_archE1200ELNS1_3gpuE4ELNS1_3repE0EEENS1_44radix_sort_block_sort_config_static_selectorELNS0_4arch9wavefront6targetE1EEEvSC_,comdat
.Lfunc_end450:
	.size	_ZN7rocprim17ROCPRIM_400000_NS6detail17trampoline_kernelINS0_13kernel_configILj256ELj4ELj4294967295EEENS1_37radix_sort_block_sort_config_selectorIjyEEZNS1_21radix_sort_block_sortIS4_Lb0EPjS8_PyS9_NS0_19identity_decomposerEEE10hipError_tT1_T2_T3_T4_jRjT5_jjP12ihipStream_tbEUlT_E_NS1_11comp_targetILNS1_3genE10ELNS1_11target_archE1200ELNS1_3gpuE4ELNS1_3repE0EEENS1_44radix_sort_block_sort_config_static_selectorELNS0_4arch9wavefront6targetE1EEEvSC_, .Lfunc_end450-_ZN7rocprim17ROCPRIM_400000_NS6detail17trampoline_kernelINS0_13kernel_configILj256ELj4ELj4294967295EEENS1_37radix_sort_block_sort_config_selectorIjyEEZNS1_21radix_sort_block_sortIS4_Lb0EPjS8_PyS9_NS0_19identity_decomposerEEE10hipError_tT1_T2_T3_T4_jRjT5_jjP12ihipStream_tbEUlT_E_NS1_11comp_targetILNS1_3genE10ELNS1_11target_archE1200ELNS1_3gpuE4ELNS1_3repE0EEENS1_44radix_sort_block_sort_config_static_selectorELNS0_4arch9wavefront6targetE1EEEvSC_
                                        ; -- End function
	.section	.AMDGPU.csdata,"",@progbits
; Kernel info:
; codeLenInByte = 0
; NumSgprs: 4
; NumVgprs: 0
; NumAgprs: 0
; TotalNumVgprs: 0
; ScratchSize: 0
; MemoryBound: 0
; FloatMode: 240
; IeeeMode: 1
; LDSByteSize: 0 bytes/workgroup (compile time only)
; SGPRBlocks: 0
; VGPRBlocks: 0
; NumSGPRsForWavesPerEU: 4
; NumVGPRsForWavesPerEU: 1
; AccumOffset: 4
; Occupancy: 8
; WaveLimiterHint : 0
; COMPUTE_PGM_RSRC2:SCRATCH_EN: 0
; COMPUTE_PGM_RSRC2:USER_SGPR: 6
; COMPUTE_PGM_RSRC2:TRAP_HANDLER: 0
; COMPUTE_PGM_RSRC2:TGID_X_EN: 1
; COMPUTE_PGM_RSRC2:TGID_Y_EN: 0
; COMPUTE_PGM_RSRC2:TGID_Z_EN: 0
; COMPUTE_PGM_RSRC2:TIDIG_COMP_CNT: 0
; COMPUTE_PGM_RSRC3_GFX90A:ACCUM_OFFSET: 0
; COMPUTE_PGM_RSRC3_GFX90A:TG_SPLIT: 0
	.section	.text._ZN7rocprim17ROCPRIM_400000_NS6detail17trampoline_kernelINS0_13kernel_configILj256ELj4ELj4294967295EEENS1_37radix_sort_block_sort_config_selectorIjyEEZNS1_21radix_sort_block_sortIS4_Lb0EPjS8_PyS9_NS0_19identity_decomposerEEE10hipError_tT1_T2_T3_T4_jRjT5_jjP12ihipStream_tbEUlT_E_NS1_11comp_targetILNS1_3genE9ELNS1_11target_archE1100ELNS1_3gpuE3ELNS1_3repE0EEENS1_44radix_sort_block_sort_config_static_selectorELNS0_4arch9wavefront6targetE1EEEvSC_,"axG",@progbits,_ZN7rocprim17ROCPRIM_400000_NS6detail17trampoline_kernelINS0_13kernel_configILj256ELj4ELj4294967295EEENS1_37radix_sort_block_sort_config_selectorIjyEEZNS1_21radix_sort_block_sortIS4_Lb0EPjS8_PyS9_NS0_19identity_decomposerEEE10hipError_tT1_T2_T3_T4_jRjT5_jjP12ihipStream_tbEUlT_E_NS1_11comp_targetILNS1_3genE9ELNS1_11target_archE1100ELNS1_3gpuE3ELNS1_3repE0EEENS1_44radix_sort_block_sort_config_static_selectorELNS0_4arch9wavefront6targetE1EEEvSC_,comdat
	.protected	_ZN7rocprim17ROCPRIM_400000_NS6detail17trampoline_kernelINS0_13kernel_configILj256ELj4ELj4294967295EEENS1_37radix_sort_block_sort_config_selectorIjyEEZNS1_21radix_sort_block_sortIS4_Lb0EPjS8_PyS9_NS0_19identity_decomposerEEE10hipError_tT1_T2_T3_T4_jRjT5_jjP12ihipStream_tbEUlT_E_NS1_11comp_targetILNS1_3genE9ELNS1_11target_archE1100ELNS1_3gpuE3ELNS1_3repE0EEENS1_44radix_sort_block_sort_config_static_selectorELNS0_4arch9wavefront6targetE1EEEvSC_ ; -- Begin function _ZN7rocprim17ROCPRIM_400000_NS6detail17trampoline_kernelINS0_13kernel_configILj256ELj4ELj4294967295EEENS1_37radix_sort_block_sort_config_selectorIjyEEZNS1_21radix_sort_block_sortIS4_Lb0EPjS8_PyS9_NS0_19identity_decomposerEEE10hipError_tT1_T2_T3_T4_jRjT5_jjP12ihipStream_tbEUlT_E_NS1_11comp_targetILNS1_3genE9ELNS1_11target_archE1100ELNS1_3gpuE3ELNS1_3repE0EEENS1_44radix_sort_block_sort_config_static_selectorELNS0_4arch9wavefront6targetE1EEEvSC_
	.globl	_ZN7rocprim17ROCPRIM_400000_NS6detail17trampoline_kernelINS0_13kernel_configILj256ELj4ELj4294967295EEENS1_37radix_sort_block_sort_config_selectorIjyEEZNS1_21radix_sort_block_sortIS4_Lb0EPjS8_PyS9_NS0_19identity_decomposerEEE10hipError_tT1_T2_T3_T4_jRjT5_jjP12ihipStream_tbEUlT_E_NS1_11comp_targetILNS1_3genE9ELNS1_11target_archE1100ELNS1_3gpuE3ELNS1_3repE0EEENS1_44radix_sort_block_sort_config_static_selectorELNS0_4arch9wavefront6targetE1EEEvSC_
	.p2align	8
	.type	_ZN7rocprim17ROCPRIM_400000_NS6detail17trampoline_kernelINS0_13kernel_configILj256ELj4ELj4294967295EEENS1_37radix_sort_block_sort_config_selectorIjyEEZNS1_21radix_sort_block_sortIS4_Lb0EPjS8_PyS9_NS0_19identity_decomposerEEE10hipError_tT1_T2_T3_T4_jRjT5_jjP12ihipStream_tbEUlT_E_NS1_11comp_targetILNS1_3genE9ELNS1_11target_archE1100ELNS1_3gpuE3ELNS1_3repE0EEENS1_44radix_sort_block_sort_config_static_selectorELNS0_4arch9wavefront6targetE1EEEvSC_,@function
_ZN7rocprim17ROCPRIM_400000_NS6detail17trampoline_kernelINS0_13kernel_configILj256ELj4ELj4294967295EEENS1_37radix_sort_block_sort_config_selectorIjyEEZNS1_21radix_sort_block_sortIS4_Lb0EPjS8_PyS9_NS0_19identity_decomposerEEE10hipError_tT1_T2_T3_T4_jRjT5_jjP12ihipStream_tbEUlT_E_NS1_11comp_targetILNS1_3genE9ELNS1_11target_archE1100ELNS1_3gpuE3ELNS1_3repE0EEENS1_44radix_sort_block_sort_config_static_selectorELNS0_4arch9wavefront6targetE1EEEvSC_: ; @_ZN7rocprim17ROCPRIM_400000_NS6detail17trampoline_kernelINS0_13kernel_configILj256ELj4ELj4294967295EEENS1_37radix_sort_block_sort_config_selectorIjyEEZNS1_21radix_sort_block_sortIS4_Lb0EPjS8_PyS9_NS0_19identity_decomposerEEE10hipError_tT1_T2_T3_T4_jRjT5_jjP12ihipStream_tbEUlT_E_NS1_11comp_targetILNS1_3genE9ELNS1_11target_archE1100ELNS1_3gpuE3ELNS1_3repE0EEENS1_44radix_sort_block_sort_config_static_selectorELNS0_4arch9wavefront6targetE1EEEvSC_
; %bb.0:
	.section	.rodata,"a",@progbits
	.p2align	6, 0x0
	.amdhsa_kernel _ZN7rocprim17ROCPRIM_400000_NS6detail17trampoline_kernelINS0_13kernel_configILj256ELj4ELj4294967295EEENS1_37radix_sort_block_sort_config_selectorIjyEEZNS1_21radix_sort_block_sortIS4_Lb0EPjS8_PyS9_NS0_19identity_decomposerEEE10hipError_tT1_T2_T3_T4_jRjT5_jjP12ihipStream_tbEUlT_E_NS1_11comp_targetILNS1_3genE9ELNS1_11target_archE1100ELNS1_3gpuE3ELNS1_3repE0EEENS1_44radix_sort_block_sort_config_static_selectorELNS0_4arch9wavefront6targetE1EEEvSC_
		.amdhsa_group_segment_fixed_size 0
		.amdhsa_private_segment_fixed_size 0
		.amdhsa_kernarg_size 48
		.amdhsa_user_sgpr_count 6
		.amdhsa_user_sgpr_private_segment_buffer 1
		.amdhsa_user_sgpr_dispatch_ptr 0
		.amdhsa_user_sgpr_queue_ptr 0
		.amdhsa_user_sgpr_kernarg_segment_ptr 1
		.amdhsa_user_sgpr_dispatch_id 0
		.amdhsa_user_sgpr_flat_scratch_init 0
		.amdhsa_user_sgpr_kernarg_preload_length 0
		.amdhsa_user_sgpr_kernarg_preload_offset 0
		.amdhsa_user_sgpr_private_segment_size 0
		.amdhsa_uses_dynamic_stack 0
		.amdhsa_system_sgpr_private_segment_wavefront_offset 0
		.amdhsa_system_sgpr_workgroup_id_x 1
		.amdhsa_system_sgpr_workgroup_id_y 0
		.amdhsa_system_sgpr_workgroup_id_z 0
		.amdhsa_system_sgpr_workgroup_info 0
		.amdhsa_system_vgpr_workitem_id 0
		.amdhsa_next_free_vgpr 1
		.amdhsa_next_free_sgpr 0
		.amdhsa_accum_offset 4
		.amdhsa_reserve_vcc 0
		.amdhsa_reserve_flat_scratch 0
		.amdhsa_float_round_mode_32 0
		.amdhsa_float_round_mode_16_64 0
		.amdhsa_float_denorm_mode_32 3
		.amdhsa_float_denorm_mode_16_64 3
		.amdhsa_dx10_clamp 1
		.amdhsa_ieee_mode 1
		.amdhsa_fp16_overflow 0
		.amdhsa_tg_split 0
		.amdhsa_exception_fp_ieee_invalid_op 0
		.amdhsa_exception_fp_denorm_src 0
		.amdhsa_exception_fp_ieee_div_zero 0
		.amdhsa_exception_fp_ieee_overflow 0
		.amdhsa_exception_fp_ieee_underflow 0
		.amdhsa_exception_fp_ieee_inexact 0
		.amdhsa_exception_int_div_zero 0
	.end_amdhsa_kernel
	.section	.text._ZN7rocprim17ROCPRIM_400000_NS6detail17trampoline_kernelINS0_13kernel_configILj256ELj4ELj4294967295EEENS1_37radix_sort_block_sort_config_selectorIjyEEZNS1_21radix_sort_block_sortIS4_Lb0EPjS8_PyS9_NS0_19identity_decomposerEEE10hipError_tT1_T2_T3_T4_jRjT5_jjP12ihipStream_tbEUlT_E_NS1_11comp_targetILNS1_3genE9ELNS1_11target_archE1100ELNS1_3gpuE3ELNS1_3repE0EEENS1_44radix_sort_block_sort_config_static_selectorELNS0_4arch9wavefront6targetE1EEEvSC_,"axG",@progbits,_ZN7rocprim17ROCPRIM_400000_NS6detail17trampoline_kernelINS0_13kernel_configILj256ELj4ELj4294967295EEENS1_37radix_sort_block_sort_config_selectorIjyEEZNS1_21radix_sort_block_sortIS4_Lb0EPjS8_PyS9_NS0_19identity_decomposerEEE10hipError_tT1_T2_T3_T4_jRjT5_jjP12ihipStream_tbEUlT_E_NS1_11comp_targetILNS1_3genE9ELNS1_11target_archE1100ELNS1_3gpuE3ELNS1_3repE0EEENS1_44radix_sort_block_sort_config_static_selectorELNS0_4arch9wavefront6targetE1EEEvSC_,comdat
.Lfunc_end451:
	.size	_ZN7rocprim17ROCPRIM_400000_NS6detail17trampoline_kernelINS0_13kernel_configILj256ELj4ELj4294967295EEENS1_37radix_sort_block_sort_config_selectorIjyEEZNS1_21radix_sort_block_sortIS4_Lb0EPjS8_PyS9_NS0_19identity_decomposerEEE10hipError_tT1_T2_T3_T4_jRjT5_jjP12ihipStream_tbEUlT_E_NS1_11comp_targetILNS1_3genE9ELNS1_11target_archE1100ELNS1_3gpuE3ELNS1_3repE0EEENS1_44radix_sort_block_sort_config_static_selectorELNS0_4arch9wavefront6targetE1EEEvSC_, .Lfunc_end451-_ZN7rocprim17ROCPRIM_400000_NS6detail17trampoline_kernelINS0_13kernel_configILj256ELj4ELj4294967295EEENS1_37radix_sort_block_sort_config_selectorIjyEEZNS1_21radix_sort_block_sortIS4_Lb0EPjS8_PyS9_NS0_19identity_decomposerEEE10hipError_tT1_T2_T3_T4_jRjT5_jjP12ihipStream_tbEUlT_E_NS1_11comp_targetILNS1_3genE9ELNS1_11target_archE1100ELNS1_3gpuE3ELNS1_3repE0EEENS1_44radix_sort_block_sort_config_static_selectorELNS0_4arch9wavefront6targetE1EEEvSC_
                                        ; -- End function
	.section	.AMDGPU.csdata,"",@progbits
; Kernel info:
; codeLenInByte = 0
; NumSgprs: 4
; NumVgprs: 0
; NumAgprs: 0
; TotalNumVgprs: 0
; ScratchSize: 0
; MemoryBound: 0
; FloatMode: 240
; IeeeMode: 1
; LDSByteSize: 0 bytes/workgroup (compile time only)
; SGPRBlocks: 0
; VGPRBlocks: 0
; NumSGPRsForWavesPerEU: 4
; NumVGPRsForWavesPerEU: 1
; AccumOffset: 4
; Occupancy: 8
; WaveLimiterHint : 0
; COMPUTE_PGM_RSRC2:SCRATCH_EN: 0
; COMPUTE_PGM_RSRC2:USER_SGPR: 6
; COMPUTE_PGM_RSRC2:TRAP_HANDLER: 0
; COMPUTE_PGM_RSRC2:TGID_X_EN: 1
; COMPUTE_PGM_RSRC2:TGID_Y_EN: 0
; COMPUTE_PGM_RSRC2:TGID_Z_EN: 0
; COMPUTE_PGM_RSRC2:TIDIG_COMP_CNT: 0
; COMPUTE_PGM_RSRC3_GFX90A:ACCUM_OFFSET: 0
; COMPUTE_PGM_RSRC3_GFX90A:TG_SPLIT: 0
	.section	.text._ZN7rocprim17ROCPRIM_400000_NS6detail17trampoline_kernelINS0_13kernel_configILj256ELj4ELj4294967295EEENS1_37radix_sort_block_sort_config_selectorIjyEEZNS1_21radix_sort_block_sortIS4_Lb0EPjS8_PyS9_NS0_19identity_decomposerEEE10hipError_tT1_T2_T3_T4_jRjT5_jjP12ihipStream_tbEUlT_E_NS1_11comp_targetILNS1_3genE8ELNS1_11target_archE1030ELNS1_3gpuE2ELNS1_3repE0EEENS1_44radix_sort_block_sort_config_static_selectorELNS0_4arch9wavefront6targetE1EEEvSC_,"axG",@progbits,_ZN7rocprim17ROCPRIM_400000_NS6detail17trampoline_kernelINS0_13kernel_configILj256ELj4ELj4294967295EEENS1_37radix_sort_block_sort_config_selectorIjyEEZNS1_21radix_sort_block_sortIS4_Lb0EPjS8_PyS9_NS0_19identity_decomposerEEE10hipError_tT1_T2_T3_T4_jRjT5_jjP12ihipStream_tbEUlT_E_NS1_11comp_targetILNS1_3genE8ELNS1_11target_archE1030ELNS1_3gpuE2ELNS1_3repE0EEENS1_44radix_sort_block_sort_config_static_selectorELNS0_4arch9wavefront6targetE1EEEvSC_,comdat
	.protected	_ZN7rocprim17ROCPRIM_400000_NS6detail17trampoline_kernelINS0_13kernel_configILj256ELj4ELj4294967295EEENS1_37radix_sort_block_sort_config_selectorIjyEEZNS1_21radix_sort_block_sortIS4_Lb0EPjS8_PyS9_NS0_19identity_decomposerEEE10hipError_tT1_T2_T3_T4_jRjT5_jjP12ihipStream_tbEUlT_E_NS1_11comp_targetILNS1_3genE8ELNS1_11target_archE1030ELNS1_3gpuE2ELNS1_3repE0EEENS1_44radix_sort_block_sort_config_static_selectorELNS0_4arch9wavefront6targetE1EEEvSC_ ; -- Begin function _ZN7rocprim17ROCPRIM_400000_NS6detail17trampoline_kernelINS0_13kernel_configILj256ELj4ELj4294967295EEENS1_37radix_sort_block_sort_config_selectorIjyEEZNS1_21radix_sort_block_sortIS4_Lb0EPjS8_PyS9_NS0_19identity_decomposerEEE10hipError_tT1_T2_T3_T4_jRjT5_jjP12ihipStream_tbEUlT_E_NS1_11comp_targetILNS1_3genE8ELNS1_11target_archE1030ELNS1_3gpuE2ELNS1_3repE0EEENS1_44radix_sort_block_sort_config_static_selectorELNS0_4arch9wavefront6targetE1EEEvSC_
	.globl	_ZN7rocprim17ROCPRIM_400000_NS6detail17trampoline_kernelINS0_13kernel_configILj256ELj4ELj4294967295EEENS1_37radix_sort_block_sort_config_selectorIjyEEZNS1_21radix_sort_block_sortIS4_Lb0EPjS8_PyS9_NS0_19identity_decomposerEEE10hipError_tT1_T2_T3_T4_jRjT5_jjP12ihipStream_tbEUlT_E_NS1_11comp_targetILNS1_3genE8ELNS1_11target_archE1030ELNS1_3gpuE2ELNS1_3repE0EEENS1_44radix_sort_block_sort_config_static_selectorELNS0_4arch9wavefront6targetE1EEEvSC_
	.p2align	8
	.type	_ZN7rocprim17ROCPRIM_400000_NS6detail17trampoline_kernelINS0_13kernel_configILj256ELj4ELj4294967295EEENS1_37radix_sort_block_sort_config_selectorIjyEEZNS1_21radix_sort_block_sortIS4_Lb0EPjS8_PyS9_NS0_19identity_decomposerEEE10hipError_tT1_T2_T3_T4_jRjT5_jjP12ihipStream_tbEUlT_E_NS1_11comp_targetILNS1_3genE8ELNS1_11target_archE1030ELNS1_3gpuE2ELNS1_3repE0EEENS1_44radix_sort_block_sort_config_static_selectorELNS0_4arch9wavefront6targetE1EEEvSC_,@function
_ZN7rocprim17ROCPRIM_400000_NS6detail17trampoline_kernelINS0_13kernel_configILj256ELj4ELj4294967295EEENS1_37radix_sort_block_sort_config_selectorIjyEEZNS1_21radix_sort_block_sortIS4_Lb0EPjS8_PyS9_NS0_19identity_decomposerEEE10hipError_tT1_T2_T3_T4_jRjT5_jjP12ihipStream_tbEUlT_E_NS1_11comp_targetILNS1_3genE8ELNS1_11target_archE1030ELNS1_3gpuE2ELNS1_3repE0EEENS1_44radix_sort_block_sort_config_static_selectorELNS0_4arch9wavefront6targetE1EEEvSC_: ; @_ZN7rocprim17ROCPRIM_400000_NS6detail17trampoline_kernelINS0_13kernel_configILj256ELj4ELj4294967295EEENS1_37radix_sort_block_sort_config_selectorIjyEEZNS1_21radix_sort_block_sortIS4_Lb0EPjS8_PyS9_NS0_19identity_decomposerEEE10hipError_tT1_T2_T3_T4_jRjT5_jjP12ihipStream_tbEUlT_E_NS1_11comp_targetILNS1_3genE8ELNS1_11target_archE1030ELNS1_3gpuE2ELNS1_3repE0EEENS1_44radix_sort_block_sort_config_static_selectorELNS0_4arch9wavefront6targetE1EEEvSC_
; %bb.0:
	.section	.rodata,"a",@progbits
	.p2align	6, 0x0
	.amdhsa_kernel _ZN7rocprim17ROCPRIM_400000_NS6detail17trampoline_kernelINS0_13kernel_configILj256ELj4ELj4294967295EEENS1_37radix_sort_block_sort_config_selectorIjyEEZNS1_21radix_sort_block_sortIS4_Lb0EPjS8_PyS9_NS0_19identity_decomposerEEE10hipError_tT1_T2_T3_T4_jRjT5_jjP12ihipStream_tbEUlT_E_NS1_11comp_targetILNS1_3genE8ELNS1_11target_archE1030ELNS1_3gpuE2ELNS1_3repE0EEENS1_44radix_sort_block_sort_config_static_selectorELNS0_4arch9wavefront6targetE1EEEvSC_
		.amdhsa_group_segment_fixed_size 0
		.amdhsa_private_segment_fixed_size 0
		.amdhsa_kernarg_size 48
		.amdhsa_user_sgpr_count 6
		.amdhsa_user_sgpr_private_segment_buffer 1
		.amdhsa_user_sgpr_dispatch_ptr 0
		.amdhsa_user_sgpr_queue_ptr 0
		.amdhsa_user_sgpr_kernarg_segment_ptr 1
		.amdhsa_user_sgpr_dispatch_id 0
		.amdhsa_user_sgpr_flat_scratch_init 0
		.amdhsa_user_sgpr_kernarg_preload_length 0
		.amdhsa_user_sgpr_kernarg_preload_offset 0
		.amdhsa_user_sgpr_private_segment_size 0
		.amdhsa_uses_dynamic_stack 0
		.amdhsa_system_sgpr_private_segment_wavefront_offset 0
		.amdhsa_system_sgpr_workgroup_id_x 1
		.amdhsa_system_sgpr_workgroup_id_y 0
		.amdhsa_system_sgpr_workgroup_id_z 0
		.amdhsa_system_sgpr_workgroup_info 0
		.amdhsa_system_vgpr_workitem_id 0
		.amdhsa_next_free_vgpr 1
		.amdhsa_next_free_sgpr 0
		.amdhsa_accum_offset 4
		.amdhsa_reserve_vcc 0
		.amdhsa_reserve_flat_scratch 0
		.amdhsa_float_round_mode_32 0
		.amdhsa_float_round_mode_16_64 0
		.amdhsa_float_denorm_mode_32 3
		.amdhsa_float_denorm_mode_16_64 3
		.amdhsa_dx10_clamp 1
		.amdhsa_ieee_mode 1
		.amdhsa_fp16_overflow 0
		.amdhsa_tg_split 0
		.amdhsa_exception_fp_ieee_invalid_op 0
		.amdhsa_exception_fp_denorm_src 0
		.amdhsa_exception_fp_ieee_div_zero 0
		.amdhsa_exception_fp_ieee_overflow 0
		.amdhsa_exception_fp_ieee_underflow 0
		.amdhsa_exception_fp_ieee_inexact 0
		.amdhsa_exception_int_div_zero 0
	.end_amdhsa_kernel
	.section	.text._ZN7rocprim17ROCPRIM_400000_NS6detail17trampoline_kernelINS0_13kernel_configILj256ELj4ELj4294967295EEENS1_37radix_sort_block_sort_config_selectorIjyEEZNS1_21radix_sort_block_sortIS4_Lb0EPjS8_PyS9_NS0_19identity_decomposerEEE10hipError_tT1_T2_T3_T4_jRjT5_jjP12ihipStream_tbEUlT_E_NS1_11comp_targetILNS1_3genE8ELNS1_11target_archE1030ELNS1_3gpuE2ELNS1_3repE0EEENS1_44radix_sort_block_sort_config_static_selectorELNS0_4arch9wavefront6targetE1EEEvSC_,"axG",@progbits,_ZN7rocprim17ROCPRIM_400000_NS6detail17trampoline_kernelINS0_13kernel_configILj256ELj4ELj4294967295EEENS1_37radix_sort_block_sort_config_selectorIjyEEZNS1_21radix_sort_block_sortIS4_Lb0EPjS8_PyS9_NS0_19identity_decomposerEEE10hipError_tT1_T2_T3_T4_jRjT5_jjP12ihipStream_tbEUlT_E_NS1_11comp_targetILNS1_3genE8ELNS1_11target_archE1030ELNS1_3gpuE2ELNS1_3repE0EEENS1_44radix_sort_block_sort_config_static_selectorELNS0_4arch9wavefront6targetE1EEEvSC_,comdat
.Lfunc_end452:
	.size	_ZN7rocprim17ROCPRIM_400000_NS6detail17trampoline_kernelINS0_13kernel_configILj256ELj4ELj4294967295EEENS1_37radix_sort_block_sort_config_selectorIjyEEZNS1_21radix_sort_block_sortIS4_Lb0EPjS8_PyS9_NS0_19identity_decomposerEEE10hipError_tT1_T2_T3_T4_jRjT5_jjP12ihipStream_tbEUlT_E_NS1_11comp_targetILNS1_3genE8ELNS1_11target_archE1030ELNS1_3gpuE2ELNS1_3repE0EEENS1_44radix_sort_block_sort_config_static_selectorELNS0_4arch9wavefront6targetE1EEEvSC_, .Lfunc_end452-_ZN7rocprim17ROCPRIM_400000_NS6detail17trampoline_kernelINS0_13kernel_configILj256ELj4ELj4294967295EEENS1_37radix_sort_block_sort_config_selectorIjyEEZNS1_21radix_sort_block_sortIS4_Lb0EPjS8_PyS9_NS0_19identity_decomposerEEE10hipError_tT1_T2_T3_T4_jRjT5_jjP12ihipStream_tbEUlT_E_NS1_11comp_targetILNS1_3genE8ELNS1_11target_archE1030ELNS1_3gpuE2ELNS1_3repE0EEENS1_44radix_sort_block_sort_config_static_selectorELNS0_4arch9wavefront6targetE1EEEvSC_
                                        ; -- End function
	.section	.AMDGPU.csdata,"",@progbits
; Kernel info:
; codeLenInByte = 0
; NumSgprs: 4
; NumVgprs: 0
; NumAgprs: 0
; TotalNumVgprs: 0
; ScratchSize: 0
; MemoryBound: 0
; FloatMode: 240
; IeeeMode: 1
; LDSByteSize: 0 bytes/workgroup (compile time only)
; SGPRBlocks: 0
; VGPRBlocks: 0
; NumSGPRsForWavesPerEU: 4
; NumVGPRsForWavesPerEU: 1
; AccumOffset: 4
; Occupancy: 8
; WaveLimiterHint : 0
; COMPUTE_PGM_RSRC2:SCRATCH_EN: 0
; COMPUTE_PGM_RSRC2:USER_SGPR: 6
; COMPUTE_PGM_RSRC2:TRAP_HANDLER: 0
; COMPUTE_PGM_RSRC2:TGID_X_EN: 1
; COMPUTE_PGM_RSRC2:TGID_Y_EN: 0
; COMPUTE_PGM_RSRC2:TGID_Z_EN: 0
; COMPUTE_PGM_RSRC2:TIDIG_COMP_CNT: 0
; COMPUTE_PGM_RSRC3_GFX90A:ACCUM_OFFSET: 0
; COMPUTE_PGM_RSRC3_GFX90A:TG_SPLIT: 0
	.section	.text._ZN7rocprim17ROCPRIM_400000_NS6detail44device_merge_sort_compile_time_verifier_archINS1_11comp_targetILNS1_3genE0ELNS1_11target_archE4294967295ELNS1_3gpuE0ELNS1_3repE0EEES8_NS1_28merge_sort_block_sort_configILj256ELj4ELNS0_20block_sort_algorithmE0EEENS0_14default_configENS1_37merge_sort_block_sort_config_selectorIjyEENS1_38merge_sort_block_merge_config_selectorIjyEEEEvv,"axG",@progbits,_ZN7rocprim17ROCPRIM_400000_NS6detail44device_merge_sort_compile_time_verifier_archINS1_11comp_targetILNS1_3genE0ELNS1_11target_archE4294967295ELNS1_3gpuE0ELNS1_3repE0EEES8_NS1_28merge_sort_block_sort_configILj256ELj4ELNS0_20block_sort_algorithmE0EEENS0_14default_configENS1_37merge_sort_block_sort_config_selectorIjyEENS1_38merge_sort_block_merge_config_selectorIjyEEEEvv,comdat
	.protected	_ZN7rocprim17ROCPRIM_400000_NS6detail44device_merge_sort_compile_time_verifier_archINS1_11comp_targetILNS1_3genE0ELNS1_11target_archE4294967295ELNS1_3gpuE0ELNS1_3repE0EEES8_NS1_28merge_sort_block_sort_configILj256ELj4ELNS0_20block_sort_algorithmE0EEENS0_14default_configENS1_37merge_sort_block_sort_config_selectorIjyEENS1_38merge_sort_block_merge_config_selectorIjyEEEEvv ; -- Begin function _ZN7rocprim17ROCPRIM_400000_NS6detail44device_merge_sort_compile_time_verifier_archINS1_11comp_targetILNS1_3genE0ELNS1_11target_archE4294967295ELNS1_3gpuE0ELNS1_3repE0EEES8_NS1_28merge_sort_block_sort_configILj256ELj4ELNS0_20block_sort_algorithmE0EEENS0_14default_configENS1_37merge_sort_block_sort_config_selectorIjyEENS1_38merge_sort_block_merge_config_selectorIjyEEEEvv
	.globl	_ZN7rocprim17ROCPRIM_400000_NS6detail44device_merge_sort_compile_time_verifier_archINS1_11comp_targetILNS1_3genE0ELNS1_11target_archE4294967295ELNS1_3gpuE0ELNS1_3repE0EEES8_NS1_28merge_sort_block_sort_configILj256ELj4ELNS0_20block_sort_algorithmE0EEENS0_14default_configENS1_37merge_sort_block_sort_config_selectorIjyEENS1_38merge_sort_block_merge_config_selectorIjyEEEEvv
	.p2align	8
	.type	_ZN7rocprim17ROCPRIM_400000_NS6detail44device_merge_sort_compile_time_verifier_archINS1_11comp_targetILNS1_3genE0ELNS1_11target_archE4294967295ELNS1_3gpuE0ELNS1_3repE0EEES8_NS1_28merge_sort_block_sort_configILj256ELj4ELNS0_20block_sort_algorithmE0EEENS0_14default_configENS1_37merge_sort_block_sort_config_selectorIjyEENS1_38merge_sort_block_merge_config_selectorIjyEEEEvv,@function
_ZN7rocprim17ROCPRIM_400000_NS6detail44device_merge_sort_compile_time_verifier_archINS1_11comp_targetILNS1_3genE0ELNS1_11target_archE4294967295ELNS1_3gpuE0ELNS1_3repE0EEES8_NS1_28merge_sort_block_sort_configILj256ELj4ELNS0_20block_sort_algorithmE0EEENS0_14default_configENS1_37merge_sort_block_sort_config_selectorIjyEENS1_38merge_sort_block_merge_config_selectorIjyEEEEvv: ; @_ZN7rocprim17ROCPRIM_400000_NS6detail44device_merge_sort_compile_time_verifier_archINS1_11comp_targetILNS1_3genE0ELNS1_11target_archE4294967295ELNS1_3gpuE0ELNS1_3repE0EEES8_NS1_28merge_sort_block_sort_configILj256ELj4ELNS0_20block_sort_algorithmE0EEENS0_14default_configENS1_37merge_sort_block_sort_config_selectorIjyEENS1_38merge_sort_block_merge_config_selectorIjyEEEEvv
; %bb.0:
	s_endpgm
	.section	.rodata,"a",@progbits
	.p2align	6, 0x0
	.amdhsa_kernel _ZN7rocprim17ROCPRIM_400000_NS6detail44device_merge_sort_compile_time_verifier_archINS1_11comp_targetILNS1_3genE0ELNS1_11target_archE4294967295ELNS1_3gpuE0ELNS1_3repE0EEES8_NS1_28merge_sort_block_sort_configILj256ELj4ELNS0_20block_sort_algorithmE0EEENS0_14default_configENS1_37merge_sort_block_sort_config_selectorIjyEENS1_38merge_sort_block_merge_config_selectorIjyEEEEvv
		.amdhsa_group_segment_fixed_size 0
		.amdhsa_private_segment_fixed_size 0
		.amdhsa_kernarg_size 0
		.amdhsa_user_sgpr_count 4
		.amdhsa_user_sgpr_private_segment_buffer 1
		.amdhsa_user_sgpr_dispatch_ptr 0
		.amdhsa_user_sgpr_queue_ptr 0
		.amdhsa_user_sgpr_kernarg_segment_ptr 0
		.amdhsa_user_sgpr_dispatch_id 0
		.amdhsa_user_sgpr_flat_scratch_init 0
		.amdhsa_user_sgpr_kernarg_preload_length 0
		.amdhsa_user_sgpr_kernarg_preload_offset 0
		.amdhsa_user_sgpr_private_segment_size 0
		.amdhsa_uses_dynamic_stack 0
		.amdhsa_system_sgpr_private_segment_wavefront_offset 0
		.amdhsa_system_sgpr_workgroup_id_x 1
		.amdhsa_system_sgpr_workgroup_id_y 0
		.amdhsa_system_sgpr_workgroup_id_z 0
		.amdhsa_system_sgpr_workgroup_info 0
		.amdhsa_system_vgpr_workitem_id 0
		.amdhsa_next_free_vgpr 1
		.amdhsa_next_free_sgpr 0
		.amdhsa_accum_offset 4
		.amdhsa_reserve_vcc 0
		.amdhsa_reserve_flat_scratch 0
		.amdhsa_float_round_mode_32 0
		.amdhsa_float_round_mode_16_64 0
		.amdhsa_float_denorm_mode_32 3
		.amdhsa_float_denorm_mode_16_64 3
		.amdhsa_dx10_clamp 1
		.amdhsa_ieee_mode 1
		.amdhsa_fp16_overflow 0
		.amdhsa_tg_split 0
		.amdhsa_exception_fp_ieee_invalid_op 0
		.amdhsa_exception_fp_denorm_src 0
		.amdhsa_exception_fp_ieee_div_zero 0
		.amdhsa_exception_fp_ieee_overflow 0
		.amdhsa_exception_fp_ieee_underflow 0
		.amdhsa_exception_fp_ieee_inexact 0
		.amdhsa_exception_int_div_zero 0
	.end_amdhsa_kernel
	.section	.text._ZN7rocprim17ROCPRIM_400000_NS6detail44device_merge_sort_compile_time_verifier_archINS1_11comp_targetILNS1_3genE0ELNS1_11target_archE4294967295ELNS1_3gpuE0ELNS1_3repE0EEES8_NS1_28merge_sort_block_sort_configILj256ELj4ELNS0_20block_sort_algorithmE0EEENS0_14default_configENS1_37merge_sort_block_sort_config_selectorIjyEENS1_38merge_sort_block_merge_config_selectorIjyEEEEvv,"axG",@progbits,_ZN7rocprim17ROCPRIM_400000_NS6detail44device_merge_sort_compile_time_verifier_archINS1_11comp_targetILNS1_3genE0ELNS1_11target_archE4294967295ELNS1_3gpuE0ELNS1_3repE0EEES8_NS1_28merge_sort_block_sort_configILj256ELj4ELNS0_20block_sort_algorithmE0EEENS0_14default_configENS1_37merge_sort_block_sort_config_selectorIjyEENS1_38merge_sort_block_merge_config_selectorIjyEEEEvv,comdat
.Lfunc_end453:
	.size	_ZN7rocprim17ROCPRIM_400000_NS6detail44device_merge_sort_compile_time_verifier_archINS1_11comp_targetILNS1_3genE0ELNS1_11target_archE4294967295ELNS1_3gpuE0ELNS1_3repE0EEES8_NS1_28merge_sort_block_sort_configILj256ELj4ELNS0_20block_sort_algorithmE0EEENS0_14default_configENS1_37merge_sort_block_sort_config_selectorIjyEENS1_38merge_sort_block_merge_config_selectorIjyEEEEvv, .Lfunc_end453-_ZN7rocprim17ROCPRIM_400000_NS6detail44device_merge_sort_compile_time_verifier_archINS1_11comp_targetILNS1_3genE0ELNS1_11target_archE4294967295ELNS1_3gpuE0ELNS1_3repE0EEES8_NS1_28merge_sort_block_sort_configILj256ELj4ELNS0_20block_sort_algorithmE0EEENS0_14default_configENS1_37merge_sort_block_sort_config_selectorIjyEENS1_38merge_sort_block_merge_config_selectorIjyEEEEvv
                                        ; -- End function
	.section	.AMDGPU.csdata,"",@progbits
; Kernel info:
; codeLenInByte = 4
; NumSgprs: 4
; NumVgprs: 0
; NumAgprs: 0
; TotalNumVgprs: 0
; ScratchSize: 0
; MemoryBound: 0
; FloatMode: 240
; IeeeMode: 1
; LDSByteSize: 0 bytes/workgroup (compile time only)
; SGPRBlocks: 0
; VGPRBlocks: 0
; NumSGPRsForWavesPerEU: 4
; NumVGPRsForWavesPerEU: 1
; AccumOffset: 4
; Occupancy: 8
; WaveLimiterHint : 0
; COMPUTE_PGM_RSRC2:SCRATCH_EN: 0
; COMPUTE_PGM_RSRC2:USER_SGPR: 4
; COMPUTE_PGM_RSRC2:TRAP_HANDLER: 0
; COMPUTE_PGM_RSRC2:TGID_X_EN: 1
; COMPUTE_PGM_RSRC2:TGID_Y_EN: 0
; COMPUTE_PGM_RSRC2:TGID_Z_EN: 0
; COMPUTE_PGM_RSRC2:TIDIG_COMP_CNT: 0
; COMPUTE_PGM_RSRC3_GFX90A:ACCUM_OFFSET: 0
; COMPUTE_PGM_RSRC3_GFX90A:TG_SPLIT: 0
	.section	.text._ZN7rocprim17ROCPRIM_400000_NS6detail44device_merge_sort_compile_time_verifier_archINS1_11comp_targetILNS1_3genE5ELNS1_11target_archE942ELNS1_3gpuE9ELNS1_3repE0EEES8_NS1_28merge_sort_block_sort_configILj256ELj4ELNS0_20block_sort_algorithmE0EEENS0_14default_configENS1_37merge_sort_block_sort_config_selectorIjyEENS1_38merge_sort_block_merge_config_selectorIjyEEEEvv,"axG",@progbits,_ZN7rocprim17ROCPRIM_400000_NS6detail44device_merge_sort_compile_time_verifier_archINS1_11comp_targetILNS1_3genE5ELNS1_11target_archE942ELNS1_3gpuE9ELNS1_3repE0EEES8_NS1_28merge_sort_block_sort_configILj256ELj4ELNS0_20block_sort_algorithmE0EEENS0_14default_configENS1_37merge_sort_block_sort_config_selectorIjyEENS1_38merge_sort_block_merge_config_selectorIjyEEEEvv,comdat
	.protected	_ZN7rocprim17ROCPRIM_400000_NS6detail44device_merge_sort_compile_time_verifier_archINS1_11comp_targetILNS1_3genE5ELNS1_11target_archE942ELNS1_3gpuE9ELNS1_3repE0EEES8_NS1_28merge_sort_block_sort_configILj256ELj4ELNS0_20block_sort_algorithmE0EEENS0_14default_configENS1_37merge_sort_block_sort_config_selectorIjyEENS1_38merge_sort_block_merge_config_selectorIjyEEEEvv ; -- Begin function _ZN7rocprim17ROCPRIM_400000_NS6detail44device_merge_sort_compile_time_verifier_archINS1_11comp_targetILNS1_3genE5ELNS1_11target_archE942ELNS1_3gpuE9ELNS1_3repE0EEES8_NS1_28merge_sort_block_sort_configILj256ELj4ELNS0_20block_sort_algorithmE0EEENS0_14default_configENS1_37merge_sort_block_sort_config_selectorIjyEENS1_38merge_sort_block_merge_config_selectorIjyEEEEvv
	.globl	_ZN7rocprim17ROCPRIM_400000_NS6detail44device_merge_sort_compile_time_verifier_archINS1_11comp_targetILNS1_3genE5ELNS1_11target_archE942ELNS1_3gpuE9ELNS1_3repE0EEES8_NS1_28merge_sort_block_sort_configILj256ELj4ELNS0_20block_sort_algorithmE0EEENS0_14default_configENS1_37merge_sort_block_sort_config_selectorIjyEENS1_38merge_sort_block_merge_config_selectorIjyEEEEvv
	.p2align	8
	.type	_ZN7rocprim17ROCPRIM_400000_NS6detail44device_merge_sort_compile_time_verifier_archINS1_11comp_targetILNS1_3genE5ELNS1_11target_archE942ELNS1_3gpuE9ELNS1_3repE0EEES8_NS1_28merge_sort_block_sort_configILj256ELj4ELNS0_20block_sort_algorithmE0EEENS0_14default_configENS1_37merge_sort_block_sort_config_selectorIjyEENS1_38merge_sort_block_merge_config_selectorIjyEEEEvv,@function
_ZN7rocprim17ROCPRIM_400000_NS6detail44device_merge_sort_compile_time_verifier_archINS1_11comp_targetILNS1_3genE5ELNS1_11target_archE942ELNS1_3gpuE9ELNS1_3repE0EEES8_NS1_28merge_sort_block_sort_configILj256ELj4ELNS0_20block_sort_algorithmE0EEENS0_14default_configENS1_37merge_sort_block_sort_config_selectorIjyEENS1_38merge_sort_block_merge_config_selectorIjyEEEEvv: ; @_ZN7rocprim17ROCPRIM_400000_NS6detail44device_merge_sort_compile_time_verifier_archINS1_11comp_targetILNS1_3genE5ELNS1_11target_archE942ELNS1_3gpuE9ELNS1_3repE0EEES8_NS1_28merge_sort_block_sort_configILj256ELj4ELNS0_20block_sort_algorithmE0EEENS0_14default_configENS1_37merge_sort_block_sort_config_selectorIjyEENS1_38merge_sort_block_merge_config_selectorIjyEEEEvv
; %bb.0:
	s_endpgm
	.section	.rodata,"a",@progbits
	.p2align	6, 0x0
	.amdhsa_kernel _ZN7rocprim17ROCPRIM_400000_NS6detail44device_merge_sort_compile_time_verifier_archINS1_11comp_targetILNS1_3genE5ELNS1_11target_archE942ELNS1_3gpuE9ELNS1_3repE0EEES8_NS1_28merge_sort_block_sort_configILj256ELj4ELNS0_20block_sort_algorithmE0EEENS0_14default_configENS1_37merge_sort_block_sort_config_selectorIjyEENS1_38merge_sort_block_merge_config_selectorIjyEEEEvv
		.amdhsa_group_segment_fixed_size 0
		.amdhsa_private_segment_fixed_size 0
		.amdhsa_kernarg_size 0
		.amdhsa_user_sgpr_count 4
		.amdhsa_user_sgpr_private_segment_buffer 1
		.amdhsa_user_sgpr_dispatch_ptr 0
		.amdhsa_user_sgpr_queue_ptr 0
		.amdhsa_user_sgpr_kernarg_segment_ptr 0
		.amdhsa_user_sgpr_dispatch_id 0
		.amdhsa_user_sgpr_flat_scratch_init 0
		.amdhsa_user_sgpr_kernarg_preload_length 0
		.amdhsa_user_sgpr_kernarg_preload_offset 0
		.amdhsa_user_sgpr_private_segment_size 0
		.amdhsa_uses_dynamic_stack 0
		.amdhsa_system_sgpr_private_segment_wavefront_offset 0
		.amdhsa_system_sgpr_workgroup_id_x 1
		.amdhsa_system_sgpr_workgroup_id_y 0
		.amdhsa_system_sgpr_workgroup_id_z 0
		.amdhsa_system_sgpr_workgroup_info 0
		.amdhsa_system_vgpr_workitem_id 0
		.amdhsa_next_free_vgpr 1
		.amdhsa_next_free_sgpr 0
		.amdhsa_accum_offset 4
		.amdhsa_reserve_vcc 0
		.amdhsa_reserve_flat_scratch 0
		.amdhsa_float_round_mode_32 0
		.amdhsa_float_round_mode_16_64 0
		.amdhsa_float_denorm_mode_32 3
		.amdhsa_float_denorm_mode_16_64 3
		.amdhsa_dx10_clamp 1
		.amdhsa_ieee_mode 1
		.amdhsa_fp16_overflow 0
		.amdhsa_tg_split 0
		.amdhsa_exception_fp_ieee_invalid_op 0
		.amdhsa_exception_fp_denorm_src 0
		.amdhsa_exception_fp_ieee_div_zero 0
		.amdhsa_exception_fp_ieee_overflow 0
		.amdhsa_exception_fp_ieee_underflow 0
		.amdhsa_exception_fp_ieee_inexact 0
		.amdhsa_exception_int_div_zero 0
	.end_amdhsa_kernel
	.section	.text._ZN7rocprim17ROCPRIM_400000_NS6detail44device_merge_sort_compile_time_verifier_archINS1_11comp_targetILNS1_3genE5ELNS1_11target_archE942ELNS1_3gpuE9ELNS1_3repE0EEES8_NS1_28merge_sort_block_sort_configILj256ELj4ELNS0_20block_sort_algorithmE0EEENS0_14default_configENS1_37merge_sort_block_sort_config_selectorIjyEENS1_38merge_sort_block_merge_config_selectorIjyEEEEvv,"axG",@progbits,_ZN7rocprim17ROCPRIM_400000_NS6detail44device_merge_sort_compile_time_verifier_archINS1_11comp_targetILNS1_3genE5ELNS1_11target_archE942ELNS1_3gpuE9ELNS1_3repE0EEES8_NS1_28merge_sort_block_sort_configILj256ELj4ELNS0_20block_sort_algorithmE0EEENS0_14default_configENS1_37merge_sort_block_sort_config_selectorIjyEENS1_38merge_sort_block_merge_config_selectorIjyEEEEvv,comdat
.Lfunc_end454:
	.size	_ZN7rocprim17ROCPRIM_400000_NS6detail44device_merge_sort_compile_time_verifier_archINS1_11comp_targetILNS1_3genE5ELNS1_11target_archE942ELNS1_3gpuE9ELNS1_3repE0EEES8_NS1_28merge_sort_block_sort_configILj256ELj4ELNS0_20block_sort_algorithmE0EEENS0_14default_configENS1_37merge_sort_block_sort_config_selectorIjyEENS1_38merge_sort_block_merge_config_selectorIjyEEEEvv, .Lfunc_end454-_ZN7rocprim17ROCPRIM_400000_NS6detail44device_merge_sort_compile_time_verifier_archINS1_11comp_targetILNS1_3genE5ELNS1_11target_archE942ELNS1_3gpuE9ELNS1_3repE0EEES8_NS1_28merge_sort_block_sort_configILj256ELj4ELNS0_20block_sort_algorithmE0EEENS0_14default_configENS1_37merge_sort_block_sort_config_selectorIjyEENS1_38merge_sort_block_merge_config_selectorIjyEEEEvv
                                        ; -- End function
	.section	.AMDGPU.csdata,"",@progbits
; Kernel info:
; codeLenInByte = 4
; NumSgprs: 4
; NumVgprs: 0
; NumAgprs: 0
; TotalNumVgprs: 0
; ScratchSize: 0
; MemoryBound: 0
; FloatMode: 240
; IeeeMode: 1
; LDSByteSize: 0 bytes/workgroup (compile time only)
; SGPRBlocks: 0
; VGPRBlocks: 0
; NumSGPRsForWavesPerEU: 4
; NumVGPRsForWavesPerEU: 1
; AccumOffset: 4
; Occupancy: 8
; WaveLimiterHint : 0
; COMPUTE_PGM_RSRC2:SCRATCH_EN: 0
; COMPUTE_PGM_RSRC2:USER_SGPR: 4
; COMPUTE_PGM_RSRC2:TRAP_HANDLER: 0
; COMPUTE_PGM_RSRC2:TGID_X_EN: 1
; COMPUTE_PGM_RSRC2:TGID_Y_EN: 0
; COMPUTE_PGM_RSRC2:TGID_Z_EN: 0
; COMPUTE_PGM_RSRC2:TIDIG_COMP_CNT: 0
; COMPUTE_PGM_RSRC3_GFX90A:ACCUM_OFFSET: 0
; COMPUTE_PGM_RSRC3_GFX90A:TG_SPLIT: 0
	.section	.text._ZN7rocprim17ROCPRIM_400000_NS6detail44device_merge_sort_compile_time_verifier_archINS1_11comp_targetILNS1_3genE4ELNS1_11target_archE910ELNS1_3gpuE8ELNS1_3repE0EEES8_NS1_28merge_sort_block_sort_configILj256ELj4ELNS0_20block_sort_algorithmE0EEENS0_14default_configENS1_37merge_sort_block_sort_config_selectorIjyEENS1_38merge_sort_block_merge_config_selectorIjyEEEEvv,"axG",@progbits,_ZN7rocprim17ROCPRIM_400000_NS6detail44device_merge_sort_compile_time_verifier_archINS1_11comp_targetILNS1_3genE4ELNS1_11target_archE910ELNS1_3gpuE8ELNS1_3repE0EEES8_NS1_28merge_sort_block_sort_configILj256ELj4ELNS0_20block_sort_algorithmE0EEENS0_14default_configENS1_37merge_sort_block_sort_config_selectorIjyEENS1_38merge_sort_block_merge_config_selectorIjyEEEEvv,comdat
	.protected	_ZN7rocprim17ROCPRIM_400000_NS6detail44device_merge_sort_compile_time_verifier_archINS1_11comp_targetILNS1_3genE4ELNS1_11target_archE910ELNS1_3gpuE8ELNS1_3repE0EEES8_NS1_28merge_sort_block_sort_configILj256ELj4ELNS0_20block_sort_algorithmE0EEENS0_14default_configENS1_37merge_sort_block_sort_config_selectorIjyEENS1_38merge_sort_block_merge_config_selectorIjyEEEEvv ; -- Begin function _ZN7rocprim17ROCPRIM_400000_NS6detail44device_merge_sort_compile_time_verifier_archINS1_11comp_targetILNS1_3genE4ELNS1_11target_archE910ELNS1_3gpuE8ELNS1_3repE0EEES8_NS1_28merge_sort_block_sort_configILj256ELj4ELNS0_20block_sort_algorithmE0EEENS0_14default_configENS1_37merge_sort_block_sort_config_selectorIjyEENS1_38merge_sort_block_merge_config_selectorIjyEEEEvv
	.globl	_ZN7rocprim17ROCPRIM_400000_NS6detail44device_merge_sort_compile_time_verifier_archINS1_11comp_targetILNS1_3genE4ELNS1_11target_archE910ELNS1_3gpuE8ELNS1_3repE0EEES8_NS1_28merge_sort_block_sort_configILj256ELj4ELNS0_20block_sort_algorithmE0EEENS0_14default_configENS1_37merge_sort_block_sort_config_selectorIjyEENS1_38merge_sort_block_merge_config_selectorIjyEEEEvv
	.p2align	8
	.type	_ZN7rocprim17ROCPRIM_400000_NS6detail44device_merge_sort_compile_time_verifier_archINS1_11comp_targetILNS1_3genE4ELNS1_11target_archE910ELNS1_3gpuE8ELNS1_3repE0EEES8_NS1_28merge_sort_block_sort_configILj256ELj4ELNS0_20block_sort_algorithmE0EEENS0_14default_configENS1_37merge_sort_block_sort_config_selectorIjyEENS1_38merge_sort_block_merge_config_selectorIjyEEEEvv,@function
_ZN7rocprim17ROCPRIM_400000_NS6detail44device_merge_sort_compile_time_verifier_archINS1_11comp_targetILNS1_3genE4ELNS1_11target_archE910ELNS1_3gpuE8ELNS1_3repE0EEES8_NS1_28merge_sort_block_sort_configILj256ELj4ELNS0_20block_sort_algorithmE0EEENS0_14default_configENS1_37merge_sort_block_sort_config_selectorIjyEENS1_38merge_sort_block_merge_config_selectorIjyEEEEvv: ; @_ZN7rocprim17ROCPRIM_400000_NS6detail44device_merge_sort_compile_time_verifier_archINS1_11comp_targetILNS1_3genE4ELNS1_11target_archE910ELNS1_3gpuE8ELNS1_3repE0EEES8_NS1_28merge_sort_block_sort_configILj256ELj4ELNS0_20block_sort_algorithmE0EEENS0_14default_configENS1_37merge_sort_block_sort_config_selectorIjyEENS1_38merge_sort_block_merge_config_selectorIjyEEEEvv
; %bb.0:
	s_endpgm
	.section	.rodata,"a",@progbits
	.p2align	6, 0x0
	.amdhsa_kernel _ZN7rocprim17ROCPRIM_400000_NS6detail44device_merge_sort_compile_time_verifier_archINS1_11comp_targetILNS1_3genE4ELNS1_11target_archE910ELNS1_3gpuE8ELNS1_3repE0EEES8_NS1_28merge_sort_block_sort_configILj256ELj4ELNS0_20block_sort_algorithmE0EEENS0_14default_configENS1_37merge_sort_block_sort_config_selectorIjyEENS1_38merge_sort_block_merge_config_selectorIjyEEEEvv
		.amdhsa_group_segment_fixed_size 0
		.amdhsa_private_segment_fixed_size 0
		.amdhsa_kernarg_size 0
		.amdhsa_user_sgpr_count 4
		.amdhsa_user_sgpr_private_segment_buffer 1
		.amdhsa_user_sgpr_dispatch_ptr 0
		.amdhsa_user_sgpr_queue_ptr 0
		.amdhsa_user_sgpr_kernarg_segment_ptr 0
		.amdhsa_user_sgpr_dispatch_id 0
		.amdhsa_user_sgpr_flat_scratch_init 0
		.amdhsa_user_sgpr_kernarg_preload_length 0
		.amdhsa_user_sgpr_kernarg_preload_offset 0
		.amdhsa_user_sgpr_private_segment_size 0
		.amdhsa_uses_dynamic_stack 0
		.amdhsa_system_sgpr_private_segment_wavefront_offset 0
		.amdhsa_system_sgpr_workgroup_id_x 1
		.amdhsa_system_sgpr_workgroup_id_y 0
		.amdhsa_system_sgpr_workgroup_id_z 0
		.amdhsa_system_sgpr_workgroup_info 0
		.amdhsa_system_vgpr_workitem_id 0
		.amdhsa_next_free_vgpr 1
		.amdhsa_next_free_sgpr 0
		.amdhsa_accum_offset 4
		.amdhsa_reserve_vcc 0
		.amdhsa_reserve_flat_scratch 0
		.amdhsa_float_round_mode_32 0
		.amdhsa_float_round_mode_16_64 0
		.amdhsa_float_denorm_mode_32 3
		.amdhsa_float_denorm_mode_16_64 3
		.amdhsa_dx10_clamp 1
		.amdhsa_ieee_mode 1
		.amdhsa_fp16_overflow 0
		.amdhsa_tg_split 0
		.amdhsa_exception_fp_ieee_invalid_op 0
		.amdhsa_exception_fp_denorm_src 0
		.amdhsa_exception_fp_ieee_div_zero 0
		.amdhsa_exception_fp_ieee_overflow 0
		.amdhsa_exception_fp_ieee_underflow 0
		.amdhsa_exception_fp_ieee_inexact 0
		.amdhsa_exception_int_div_zero 0
	.end_amdhsa_kernel
	.section	.text._ZN7rocprim17ROCPRIM_400000_NS6detail44device_merge_sort_compile_time_verifier_archINS1_11comp_targetILNS1_3genE4ELNS1_11target_archE910ELNS1_3gpuE8ELNS1_3repE0EEES8_NS1_28merge_sort_block_sort_configILj256ELj4ELNS0_20block_sort_algorithmE0EEENS0_14default_configENS1_37merge_sort_block_sort_config_selectorIjyEENS1_38merge_sort_block_merge_config_selectorIjyEEEEvv,"axG",@progbits,_ZN7rocprim17ROCPRIM_400000_NS6detail44device_merge_sort_compile_time_verifier_archINS1_11comp_targetILNS1_3genE4ELNS1_11target_archE910ELNS1_3gpuE8ELNS1_3repE0EEES8_NS1_28merge_sort_block_sort_configILj256ELj4ELNS0_20block_sort_algorithmE0EEENS0_14default_configENS1_37merge_sort_block_sort_config_selectorIjyEENS1_38merge_sort_block_merge_config_selectorIjyEEEEvv,comdat
.Lfunc_end455:
	.size	_ZN7rocprim17ROCPRIM_400000_NS6detail44device_merge_sort_compile_time_verifier_archINS1_11comp_targetILNS1_3genE4ELNS1_11target_archE910ELNS1_3gpuE8ELNS1_3repE0EEES8_NS1_28merge_sort_block_sort_configILj256ELj4ELNS0_20block_sort_algorithmE0EEENS0_14default_configENS1_37merge_sort_block_sort_config_selectorIjyEENS1_38merge_sort_block_merge_config_selectorIjyEEEEvv, .Lfunc_end455-_ZN7rocprim17ROCPRIM_400000_NS6detail44device_merge_sort_compile_time_verifier_archINS1_11comp_targetILNS1_3genE4ELNS1_11target_archE910ELNS1_3gpuE8ELNS1_3repE0EEES8_NS1_28merge_sort_block_sort_configILj256ELj4ELNS0_20block_sort_algorithmE0EEENS0_14default_configENS1_37merge_sort_block_sort_config_selectorIjyEENS1_38merge_sort_block_merge_config_selectorIjyEEEEvv
                                        ; -- End function
	.section	.AMDGPU.csdata,"",@progbits
; Kernel info:
; codeLenInByte = 4
; NumSgprs: 4
; NumVgprs: 0
; NumAgprs: 0
; TotalNumVgprs: 0
; ScratchSize: 0
; MemoryBound: 0
; FloatMode: 240
; IeeeMode: 1
; LDSByteSize: 0 bytes/workgroup (compile time only)
; SGPRBlocks: 0
; VGPRBlocks: 0
; NumSGPRsForWavesPerEU: 4
; NumVGPRsForWavesPerEU: 1
; AccumOffset: 4
; Occupancy: 8
; WaveLimiterHint : 0
; COMPUTE_PGM_RSRC2:SCRATCH_EN: 0
; COMPUTE_PGM_RSRC2:USER_SGPR: 4
; COMPUTE_PGM_RSRC2:TRAP_HANDLER: 0
; COMPUTE_PGM_RSRC2:TGID_X_EN: 1
; COMPUTE_PGM_RSRC2:TGID_Y_EN: 0
; COMPUTE_PGM_RSRC2:TGID_Z_EN: 0
; COMPUTE_PGM_RSRC2:TIDIG_COMP_CNT: 0
; COMPUTE_PGM_RSRC3_GFX90A:ACCUM_OFFSET: 0
; COMPUTE_PGM_RSRC3_GFX90A:TG_SPLIT: 0
	.section	.text._ZN7rocprim17ROCPRIM_400000_NS6detail44device_merge_sort_compile_time_verifier_archINS1_11comp_targetILNS1_3genE3ELNS1_11target_archE908ELNS1_3gpuE7ELNS1_3repE0EEES8_NS1_28merge_sort_block_sort_configILj256ELj4ELNS0_20block_sort_algorithmE0EEENS0_14default_configENS1_37merge_sort_block_sort_config_selectorIjyEENS1_38merge_sort_block_merge_config_selectorIjyEEEEvv,"axG",@progbits,_ZN7rocprim17ROCPRIM_400000_NS6detail44device_merge_sort_compile_time_verifier_archINS1_11comp_targetILNS1_3genE3ELNS1_11target_archE908ELNS1_3gpuE7ELNS1_3repE0EEES8_NS1_28merge_sort_block_sort_configILj256ELj4ELNS0_20block_sort_algorithmE0EEENS0_14default_configENS1_37merge_sort_block_sort_config_selectorIjyEENS1_38merge_sort_block_merge_config_selectorIjyEEEEvv,comdat
	.protected	_ZN7rocprim17ROCPRIM_400000_NS6detail44device_merge_sort_compile_time_verifier_archINS1_11comp_targetILNS1_3genE3ELNS1_11target_archE908ELNS1_3gpuE7ELNS1_3repE0EEES8_NS1_28merge_sort_block_sort_configILj256ELj4ELNS0_20block_sort_algorithmE0EEENS0_14default_configENS1_37merge_sort_block_sort_config_selectorIjyEENS1_38merge_sort_block_merge_config_selectorIjyEEEEvv ; -- Begin function _ZN7rocprim17ROCPRIM_400000_NS6detail44device_merge_sort_compile_time_verifier_archINS1_11comp_targetILNS1_3genE3ELNS1_11target_archE908ELNS1_3gpuE7ELNS1_3repE0EEES8_NS1_28merge_sort_block_sort_configILj256ELj4ELNS0_20block_sort_algorithmE0EEENS0_14default_configENS1_37merge_sort_block_sort_config_selectorIjyEENS1_38merge_sort_block_merge_config_selectorIjyEEEEvv
	.globl	_ZN7rocprim17ROCPRIM_400000_NS6detail44device_merge_sort_compile_time_verifier_archINS1_11comp_targetILNS1_3genE3ELNS1_11target_archE908ELNS1_3gpuE7ELNS1_3repE0EEES8_NS1_28merge_sort_block_sort_configILj256ELj4ELNS0_20block_sort_algorithmE0EEENS0_14default_configENS1_37merge_sort_block_sort_config_selectorIjyEENS1_38merge_sort_block_merge_config_selectorIjyEEEEvv
	.p2align	8
	.type	_ZN7rocprim17ROCPRIM_400000_NS6detail44device_merge_sort_compile_time_verifier_archINS1_11comp_targetILNS1_3genE3ELNS1_11target_archE908ELNS1_3gpuE7ELNS1_3repE0EEES8_NS1_28merge_sort_block_sort_configILj256ELj4ELNS0_20block_sort_algorithmE0EEENS0_14default_configENS1_37merge_sort_block_sort_config_selectorIjyEENS1_38merge_sort_block_merge_config_selectorIjyEEEEvv,@function
_ZN7rocprim17ROCPRIM_400000_NS6detail44device_merge_sort_compile_time_verifier_archINS1_11comp_targetILNS1_3genE3ELNS1_11target_archE908ELNS1_3gpuE7ELNS1_3repE0EEES8_NS1_28merge_sort_block_sort_configILj256ELj4ELNS0_20block_sort_algorithmE0EEENS0_14default_configENS1_37merge_sort_block_sort_config_selectorIjyEENS1_38merge_sort_block_merge_config_selectorIjyEEEEvv: ; @_ZN7rocprim17ROCPRIM_400000_NS6detail44device_merge_sort_compile_time_verifier_archINS1_11comp_targetILNS1_3genE3ELNS1_11target_archE908ELNS1_3gpuE7ELNS1_3repE0EEES8_NS1_28merge_sort_block_sort_configILj256ELj4ELNS0_20block_sort_algorithmE0EEENS0_14default_configENS1_37merge_sort_block_sort_config_selectorIjyEENS1_38merge_sort_block_merge_config_selectorIjyEEEEvv
; %bb.0:
	s_endpgm
	.section	.rodata,"a",@progbits
	.p2align	6, 0x0
	.amdhsa_kernel _ZN7rocprim17ROCPRIM_400000_NS6detail44device_merge_sort_compile_time_verifier_archINS1_11comp_targetILNS1_3genE3ELNS1_11target_archE908ELNS1_3gpuE7ELNS1_3repE0EEES8_NS1_28merge_sort_block_sort_configILj256ELj4ELNS0_20block_sort_algorithmE0EEENS0_14default_configENS1_37merge_sort_block_sort_config_selectorIjyEENS1_38merge_sort_block_merge_config_selectorIjyEEEEvv
		.amdhsa_group_segment_fixed_size 0
		.amdhsa_private_segment_fixed_size 0
		.amdhsa_kernarg_size 0
		.amdhsa_user_sgpr_count 4
		.amdhsa_user_sgpr_private_segment_buffer 1
		.amdhsa_user_sgpr_dispatch_ptr 0
		.amdhsa_user_sgpr_queue_ptr 0
		.amdhsa_user_sgpr_kernarg_segment_ptr 0
		.amdhsa_user_sgpr_dispatch_id 0
		.amdhsa_user_sgpr_flat_scratch_init 0
		.amdhsa_user_sgpr_kernarg_preload_length 0
		.amdhsa_user_sgpr_kernarg_preload_offset 0
		.amdhsa_user_sgpr_private_segment_size 0
		.amdhsa_uses_dynamic_stack 0
		.amdhsa_system_sgpr_private_segment_wavefront_offset 0
		.amdhsa_system_sgpr_workgroup_id_x 1
		.amdhsa_system_sgpr_workgroup_id_y 0
		.amdhsa_system_sgpr_workgroup_id_z 0
		.amdhsa_system_sgpr_workgroup_info 0
		.amdhsa_system_vgpr_workitem_id 0
		.amdhsa_next_free_vgpr 1
		.amdhsa_next_free_sgpr 0
		.amdhsa_accum_offset 4
		.amdhsa_reserve_vcc 0
		.amdhsa_reserve_flat_scratch 0
		.amdhsa_float_round_mode_32 0
		.amdhsa_float_round_mode_16_64 0
		.amdhsa_float_denorm_mode_32 3
		.amdhsa_float_denorm_mode_16_64 3
		.amdhsa_dx10_clamp 1
		.amdhsa_ieee_mode 1
		.amdhsa_fp16_overflow 0
		.amdhsa_tg_split 0
		.amdhsa_exception_fp_ieee_invalid_op 0
		.amdhsa_exception_fp_denorm_src 0
		.amdhsa_exception_fp_ieee_div_zero 0
		.amdhsa_exception_fp_ieee_overflow 0
		.amdhsa_exception_fp_ieee_underflow 0
		.amdhsa_exception_fp_ieee_inexact 0
		.amdhsa_exception_int_div_zero 0
	.end_amdhsa_kernel
	.section	.text._ZN7rocprim17ROCPRIM_400000_NS6detail44device_merge_sort_compile_time_verifier_archINS1_11comp_targetILNS1_3genE3ELNS1_11target_archE908ELNS1_3gpuE7ELNS1_3repE0EEES8_NS1_28merge_sort_block_sort_configILj256ELj4ELNS0_20block_sort_algorithmE0EEENS0_14default_configENS1_37merge_sort_block_sort_config_selectorIjyEENS1_38merge_sort_block_merge_config_selectorIjyEEEEvv,"axG",@progbits,_ZN7rocprim17ROCPRIM_400000_NS6detail44device_merge_sort_compile_time_verifier_archINS1_11comp_targetILNS1_3genE3ELNS1_11target_archE908ELNS1_3gpuE7ELNS1_3repE0EEES8_NS1_28merge_sort_block_sort_configILj256ELj4ELNS0_20block_sort_algorithmE0EEENS0_14default_configENS1_37merge_sort_block_sort_config_selectorIjyEENS1_38merge_sort_block_merge_config_selectorIjyEEEEvv,comdat
.Lfunc_end456:
	.size	_ZN7rocprim17ROCPRIM_400000_NS6detail44device_merge_sort_compile_time_verifier_archINS1_11comp_targetILNS1_3genE3ELNS1_11target_archE908ELNS1_3gpuE7ELNS1_3repE0EEES8_NS1_28merge_sort_block_sort_configILj256ELj4ELNS0_20block_sort_algorithmE0EEENS0_14default_configENS1_37merge_sort_block_sort_config_selectorIjyEENS1_38merge_sort_block_merge_config_selectorIjyEEEEvv, .Lfunc_end456-_ZN7rocprim17ROCPRIM_400000_NS6detail44device_merge_sort_compile_time_verifier_archINS1_11comp_targetILNS1_3genE3ELNS1_11target_archE908ELNS1_3gpuE7ELNS1_3repE0EEES8_NS1_28merge_sort_block_sort_configILj256ELj4ELNS0_20block_sort_algorithmE0EEENS0_14default_configENS1_37merge_sort_block_sort_config_selectorIjyEENS1_38merge_sort_block_merge_config_selectorIjyEEEEvv
                                        ; -- End function
	.section	.AMDGPU.csdata,"",@progbits
; Kernel info:
; codeLenInByte = 4
; NumSgprs: 4
; NumVgprs: 0
; NumAgprs: 0
; TotalNumVgprs: 0
; ScratchSize: 0
; MemoryBound: 0
; FloatMode: 240
; IeeeMode: 1
; LDSByteSize: 0 bytes/workgroup (compile time only)
; SGPRBlocks: 0
; VGPRBlocks: 0
; NumSGPRsForWavesPerEU: 4
; NumVGPRsForWavesPerEU: 1
; AccumOffset: 4
; Occupancy: 8
; WaveLimiterHint : 0
; COMPUTE_PGM_RSRC2:SCRATCH_EN: 0
; COMPUTE_PGM_RSRC2:USER_SGPR: 4
; COMPUTE_PGM_RSRC2:TRAP_HANDLER: 0
; COMPUTE_PGM_RSRC2:TGID_X_EN: 1
; COMPUTE_PGM_RSRC2:TGID_Y_EN: 0
; COMPUTE_PGM_RSRC2:TGID_Z_EN: 0
; COMPUTE_PGM_RSRC2:TIDIG_COMP_CNT: 0
; COMPUTE_PGM_RSRC3_GFX90A:ACCUM_OFFSET: 0
; COMPUTE_PGM_RSRC3_GFX90A:TG_SPLIT: 0
	.section	.text._ZN7rocprim17ROCPRIM_400000_NS6detail44device_merge_sort_compile_time_verifier_archINS1_11comp_targetILNS1_3genE2ELNS1_11target_archE906ELNS1_3gpuE6ELNS1_3repE0EEES8_NS1_28merge_sort_block_sort_configILj256ELj4ELNS0_20block_sort_algorithmE0EEENS0_14default_configENS1_37merge_sort_block_sort_config_selectorIjyEENS1_38merge_sort_block_merge_config_selectorIjyEEEEvv,"axG",@progbits,_ZN7rocprim17ROCPRIM_400000_NS6detail44device_merge_sort_compile_time_verifier_archINS1_11comp_targetILNS1_3genE2ELNS1_11target_archE906ELNS1_3gpuE6ELNS1_3repE0EEES8_NS1_28merge_sort_block_sort_configILj256ELj4ELNS0_20block_sort_algorithmE0EEENS0_14default_configENS1_37merge_sort_block_sort_config_selectorIjyEENS1_38merge_sort_block_merge_config_selectorIjyEEEEvv,comdat
	.protected	_ZN7rocprim17ROCPRIM_400000_NS6detail44device_merge_sort_compile_time_verifier_archINS1_11comp_targetILNS1_3genE2ELNS1_11target_archE906ELNS1_3gpuE6ELNS1_3repE0EEES8_NS1_28merge_sort_block_sort_configILj256ELj4ELNS0_20block_sort_algorithmE0EEENS0_14default_configENS1_37merge_sort_block_sort_config_selectorIjyEENS1_38merge_sort_block_merge_config_selectorIjyEEEEvv ; -- Begin function _ZN7rocprim17ROCPRIM_400000_NS6detail44device_merge_sort_compile_time_verifier_archINS1_11comp_targetILNS1_3genE2ELNS1_11target_archE906ELNS1_3gpuE6ELNS1_3repE0EEES8_NS1_28merge_sort_block_sort_configILj256ELj4ELNS0_20block_sort_algorithmE0EEENS0_14default_configENS1_37merge_sort_block_sort_config_selectorIjyEENS1_38merge_sort_block_merge_config_selectorIjyEEEEvv
	.globl	_ZN7rocprim17ROCPRIM_400000_NS6detail44device_merge_sort_compile_time_verifier_archINS1_11comp_targetILNS1_3genE2ELNS1_11target_archE906ELNS1_3gpuE6ELNS1_3repE0EEES8_NS1_28merge_sort_block_sort_configILj256ELj4ELNS0_20block_sort_algorithmE0EEENS0_14default_configENS1_37merge_sort_block_sort_config_selectorIjyEENS1_38merge_sort_block_merge_config_selectorIjyEEEEvv
	.p2align	8
	.type	_ZN7rocprim17ROCPRIM_400000_NS6detail44device_merge_sort_compile_time_verifier_archINS1_11comp_targetILNS1_3genE2ELNS1_11target_archE906ELNS1_3gpuE6ELNS1_3repE0EEES8_NS1_28merge_sort_block_sort_configILj256ELj4ELNS0_20block_sort_algorithmE0EEENS0_14default_configENS1_37merge_sort_block_sort_config_selectorIjyEENS1_38merge_sort_block_merge_config_selectorIjyEEEEvv,@function
_ZN7rocprim17ROCPRIM_400000_NS6detail44device_merge_sort_compile_time_verifier_archINS1_11comp_targetILNS1_3genE2ELNS1_11target_archE906ELNS1_3gpuE6ELNS1_3repE0EEES8_NS1_28merge_sort_block_sort_configILj256ELj4ELNS0_20block_sort_algorithmE0EEENS0_14default_configENS1_37merge_sort_block_sort_config_selectorIjyEENS1_38merge_sort_block_merge_config_selectorIjyEEEEvv: ; @_ZN7rocprim17ROCPRIM_400000_NS6detail44device_merge_sort_compile_time_verifier_archINS1_11comp_targetILNS1_3genE2ELNS1_11target_archE906ELNS1_3gpuE6ELNS1_3repE0EEES8_NS1_28merge_sort_block_sort_configILj256ELj4ELNS0_20block_sort_algorithmE0EEENS0_14default_configENS1_37merge_sort_block_sort_config_selectorIjyEENS1_38merge_sort_block_merge_config_selectorIjyEEEEvv
; %bb.0:
	s_endpgm
	.section	.rodata,"a",@progbits
	.p2align	6, 0x0
	.amdhsa_kernel _ZN7rocprim17ROCPRIM_400000_NS6detail44device_merge_sort_compile_time_verifier_archINS1_11comp_targetILNS1_3genE2ELNS1_11target_archE906ELNS1_3gpuE6ELNS1_3repE0EEES8_NS1_28merge_sort_block_sort_configILj256ELj4ELNS0_20block_sort_algorithmE0EEENS0_14default_configENS1_37merge_sort_block_sort_config_selectorIjyEENS1_38merge_sort_block_merge_config_selectorIjyEEEEvv
		.amdhsa_group_segment_fixed_size 0
		.amdhsa_private_segment_fixed_size 0
		.amdhsa_kernarg_size 0
		.amdhsa_user_sgpr_count 4
		.amdhsa_user_sgpr_private_segment_buffer 1
		.amdhsa_user_sgpr_dispatch_ptr 0
		.amdhsa_user_sgpr_queue_ptr 0
		.amdhsa_user_sgpr_kernarg_segment_ptr 0
		.amdhsa_user_sgpr_dispatch_id 0
		.amdhsa_user_sgpr_flat_scratch_init 0
		.amdhsa_user_sgpr_kernarg_preload_length 0
		.amdhsa_user_sgpr_kernarg_preload_offset 0
		.amdhsa_user_sgpr_private_segment_size 0
		.amdhsa_uses_dynamic_stack 0
		.amdhsa_system_sgpr_private_segment_wavefront_offset 0
		.amdhsa_system_sgpr_workgroup_id_x 1
		.amdhsa_system_sgpr_workgroup_id_y 0
		.amdhsa_system_sgpr_workgroup_id_z 0
		.amdhsa_system_sgpr_workgroup_info 0
		.amdhsa_system_vgpr_workitem_id 0
		.amdhsa_next_free_vgpr 1
		.amdhsa_next_free_sgpr 0
		.amdhsa_accum_offset 4
		.amdhsa_reserve_vcc 0
		.amdhsa_reserve_flat_scratch 0
		.amdhsa_float_round_mode_32 0
		.amdhsa_float_round_mode_16_64 0
		.amdhsa_float_denorm_mode_32 3
		.amdhsa_float_denorm_mode_16_64 3
		.amdhsa_dx10_clamp 1
		.amdhsa_ieee_mode 1
		.amdhsa_fp16_overflow 0
		.amdhsa_tg_split 0
		.amdhsa_exception_fp_ieee_invalid_op 0
		.amdhsa_exception_fp_denorm_src 0
		.amdhsa_exception_fp_ieee_div_zero 0
		.amdhsa_exception_fp_ieee_overflow 0
		.amdhsa_exception_fp_ieee_underflow 0
		.amdhsa_exception_fp_ieee_inexact 0
		.amdhsa_exception_int_div_zero 0
	.end_amdhsa_kernel
	.section	.text._ZN7rocprim17ROCPRIM_400000_NS6detail44device_merge_sort_compile_time_verifier_archINS1_11comp_targetILNS1_3genE2ELNS1_11target_archE906ELNS1_3gpuE6ELNS1_3repE0EEES8_NS1_28merge_sort_block_sort_configILj256ELj4ELNS0_20block_sort_algorithmE0EEENS0_14default_configENS1_37merge_sort_block_sort_config_selectorIjyEENS1_38merge_sort_block_merge_config_selectorIjyEEEEvv,"axG",@progbits,_ZN7rocprim17ROCPRIM_400000_NS6detail44device_merge_sort_compile_time_verifier_archINS1_11comp_targetILNS1_3genE2ELNS1_11target_archE906ELNS1_3gpuE6ELNS1_3repE0EEES8_NS1_28merge_sort_block_sort_configILj256ELj4ELNS0_20block_sort_algorithmE0EEENS0_14default_configENS1_37merge_sort_block_sort_config_selectorIjyEENS1_38merge_sort_block_merge_config_selectorIjyEEEEvv,comdat
.Lfunc_end457:
	.size	_ZN7rocprim17ROCPRIM_400000_NS6detail44device_merge_sort_compile_time_verifier_archINS1_11comp_targetILNS1_3genE2ELNS1_11target_archE906ELNS1_3gpuE6ELNS1_3repE0EEES8_NS1_28merge_sort_block_sort_configILj256ELj4ELNS0_20block_sort_algorithmE0EEENS0_14default_configENS1_37merge_sort_block_sort_config_selectorIjyEENS1_38merge_sort_block_merge_config_selectorIjyEEEEvv, .Lfunc_end457-_ZN7rocprim17ROCPRIM_400000_NS6detail44device_merge_sort_compile_time_verifier_archINS1_11comp_targetILNS1_3genE2ELNS1_11target_archE906ELNS1_3gpuE6ELNS1_3repE0EEES8_NS1_28merge_sort_block_sort_configILj256ELj4ELNS0_20block_sort_algorithmE0EEENS0_14default_configENS1_37merge_sort_block_sort_config_selectorIjyEENS1_38merge_sort_block_merge_config_selectorIjyEEEEvv
                                        ; -- End function
	.section	.AMDGPU.csdata,"",@progbits
; Kernel info:
; codeLenInByte = 4
; NumSgprs: 4
; NumVgprs: 0
; NumAgprs: 0
; TotalNumVgprs: 0
; ScratchSize: 0
; MemoryBound: 0
; FloatMode: 240
; IeeeMode: 1
; LDSByteSize: 0 bytes/workgroup (compile time only)
; SGPRBlocks: 0
; VGPRBlocks: 0
; NumSGPRsForWavesPerEU: 4
; NumVGPRsForWavesPerEU: 1
; AccumOffset: 4
; Occupancy: 8
; WaveLimiterHint : 0
; COMPUTE_PGM_RSRC2:SCRATCH_EN: 0
; COMPUTE_PGM_RSRC2:USER_SGPR: 4
; COMPUTE_PGM_RSRC2:TRAP_HANDLER: 0
; COMPUTE_PGM_RSRC2:TGID_X_EN: 1
; COMPUTE_PGM_RSRC2:TGID_Y_EN: 0
; COMPUTE_PGM_RSRC2:TGID_Z_EN: 0
; COMPUTE_PGM_RSRC2:TIDIG_COMP_CNT: 0
; COMPUTE_PGM_RSRC3_GFX90A:ACCUM_OFFSET: 0
; COMPUTE_PGM_RSRC3_GFX90A:TG_SPLIT: 0
	.section	.text._ZN7rocprim17ROCPRIM_400000_NS6detail44device_merge_sort_compile_time_verifier_archINS1_11comp_targetILNS1_3genE10ELNS1_11target_archE1201ELNS1_3gpuE5ELNS1_3repE0EEES8_NS1_28merge_sort_block_sort_configILj256ELj4ELNS0_20block_sort_algorithmE0EEENS0_14default_configENS1_37merge_sort_block_sort_config_selectorIjyEENS1_38merge_sort_block_merge_config_selectorIjyEEEEvv,"axG",@progbits,_ZN7rocprim17ROCPRIM_400000_NS6detail44device_merge_sort_compile_time_verifier_archINS1_11comp_targetILNS1_3genE10ELNS1_11target_archE1201ELNS1_3gpuE5ELNS1_3repE0EEES8_NS1_28merge_sort_block_sort_configILj256ELj4ELNS0_20block_sort_algorithmE0EEENS0_14default_configENS1_37merge_sort_block_sort_config_selectorIjyEENS1_38merge_sort_block_merge_config_selectorIjyEEEEvv,comdat
	.protected	_ZN7rocprim17ROCPRIM_400000_NS6detail44device_merge_sort_compile_time_verifier_archINS1_11comp_targetILNS1_3genE10ELNS1_11target_archE1201ELNS1_3gpuE5ELNS1_3repE0EEES8_NS1_28merge_sort_block_sort_configILj256ELj4ELNS0_20block_sort_algorithmE0EEENS0_14default_configENS1_37merge_sort_block_sort_config_selectorIjyEENS1_38merge_sort_block_merge_config_selectorIjyEEEEvv ; -- Begin function _ZN7rocprim17ROCPRIM_400000_NS6detail44device_merge_sort_compile_time_verifier_archINS1_11comp_targetILNS1_3genE10ELNS1_11target_archE1201ELNS1_3gpuE5ELNS1_3repE0EEES8_NS1_28merge_sort_block_sort_configILj256ELj4ELNS0_20block_sort_algorithmE0EEENS0_14default_configENS1_37merge_sort_block_sort_config_selectorIjyEENS1_38merge_sort_block_merge_config_selectorIjyEEEEvv
	.globl	_ZN7rocprim17ROCPRIM_400000_NS6detail44device_merge_sort_compile_time_verifier_archINS1_11comp_targetILNS1_3genE10ELNS1_11target_archE1201ELNS1_3gpuE5ELNS1_3repE0EEES8_NS1_28merge_sort_block_sort_configILj256ELj4ELNS0_20block_sort_algorithmE0EEENS0_14default_configENS1_37merge_sort_block_sort_config_selectorIjyEENS1_38merge_sort_block_merge_config_selectorIjyEEEEvv
	.p2align	8
	.type	_ZN7rocprim17ROCPRIM_400000_NS6detail44device_merge_sort_compile_time_verifier_archINS1_11comp_targetILNS1_3genE10ELNS1_11target_archE1201ELNS1_3gpuE5ELNS1_3repE0EEES8_NS1_28merge_sort_block_sort_configILj256ELj4ELNS0_20block_sort_algorithmE0EEENS0_14default_configENS1_37merge_sort_block_sort_config_selectorIjyEENS1_38merge_sort_block_merge_config_selectorIjyEEEEvv,@function
_ZN7rocprim17ROCPRIM_400000_NS6detail44device_merge_sort_compile_time_verifier_archINS1_11comp_targetILNS1_3genE10ELNS1_11target_archE1201ELNS1_3gpuE5ELNS1_3repE0EEES8_NS1_28merge_sort_block_sort_configILj256ELj4ELNS0_20block_sort_algorithmE0EEENS0_14default_configENS1_37merge_sort_block_sort_config_selectorIjyEENS1_38merge_sort_block_merge_config_selectorIjyEEEEvv: ; @_ZN7rocprim17ROCPRIM_400000_NS6detail44device_merge_sort_compile_time_verifier_archINS1_11comp_targetILNS1_3genE10ELNS1_11target_archE1201ELNS1_3gpuE5ELNS1_3repE0EEES8_NS1_28merge_sort_block_sort_configILj256ELj4ELNS0_20block_sort_algorithmE0EEENS0_14default_configENS1_37merge_sort_block_sort_config_selectorIjyEENS1_38merge_sort_block_merge_config_selectorIjyEEEEvv
; %bb.0:
	s_endpgm
	.section	.rodata,"a",@progbits
	.p2align	6, 0x0
	.amdhsa_kernel _ZN7rocprim17ROCPRIM_400000_NS6detail44device_merge_sort_compile_time_verifier_archINS1_11comp_targetILNS1_3genE10ELNS1_11target_archE1201ELNS1_3gpuE5ELNS1_3repE0EEES8_NS1_28merge_sort_block_sort_configILj256ELj4ELNS0_20block_sort_algorithmE0EEENS0_14default_configENS1_37merge_sort_block_sort_config_selectorIjyEENS1_38merge_sort_block_merge_config_selectorIjyEEEEvv
		.amdhsa_group_segment_fixed_size 0
		.amdhsa_private_segment_fixed_size 0
		.amdhsa_kernarg_size 0
		.amdhsa_user_sgpr_count 4
		.amdhsa_user_sgpr_private_segment_buffer 1
		.amdhsa_user_sgpr_dispatch_ptr 0
		.amdhsa_user_sgpr_queue_ptr 0
		.amdhsa_user_sgpr_kernarg_segment_ptr 0
		.amdhsa_user_sgpr_dispatch_id 0
		.amdhsa_user_sgpr_flat_scratch_init 0
		.amdhsa_user_sgpr_kernarg_preload_length 0
		.amdhsa_user_sgpr_kernarg_preload_offset 0
		.amdhsa_user_sgpr_private_segment_size 0
		.amdhsa_uses_dynamic_stack 0
		.amdhsa_system_sgpr_private_segment_wavefront_offset 0
		.amdhsa_system_sgpr_workgroup_id_x 1
		.amdhsa_system_sgpr_workgroup_id_y 0
		.amdhsa_system_sgpr_workgroup_id_z 0
		.amdhsa_system_sgpr_workgroup_info 0
		.amdhsa_system_vgpr_workitem_id 0
		.amdhsa_next_free_vgpr 1
		.amdhsa_next_free_sgpr 0
		.amdhsa_accum_offset 4
		.amdhsa_reserve_vcc 0
		.amdhsa_reserve_flat_scratch 0
		.amdhsa_float_round_mode_32 0
		.amdhsa_float_round_mode_16_64 0
		.amdhsa_float_denorm_mode_32 3
		.amdhsa_float_denorm_mode_16_64 3
		.amdhsa_dx10_clamp 1
		.amdhsa_ieee_mode 1
		.amdhsa_fp16_overflow 0
		.amdhsa_tg_split 0
		.amdhsa_exception_fp_ieee_invalid_op 0
		.amdhsa_exception_fp_denorm_src 0
		.amdhsa_exception_fp_ieee_div_zero 0
		.amdhsa_exception_fp_ieee_overflow 0
		.amdhsa_exception_fp_ieee_underflow 0
		.amdhsa_exception_fp_ieee_inexact 0
		.amdhsa_exception_int_div_zero 0
	.end_amdhsa_kernel
	.section	.text._ZN7rocprim17ROCPRIM_400000_NS6detail44device_merge_sort_compile_time_verifier_archINS1_11comp_targetILNS1_3genE10ELNS1_11target_archE1201ELNS1_3gpuE5ELNS1_3repE0EEES8_NS1_28merge_sort_block_sort_configILj256ELj4ELNS0_20block_sort_algorithmE0EEENS0_14default_configENS1_37merge_sort_block_sort_config_selectorIjyEENS1_38merge_sort_block_merge_config_selectorIjyEEEEvv,"axG",@progbits,_ZN7rocprim17ROCPRIM_400000_NS6detail44device_merge_sort_compile_time_verifier_archINS1_11comp_targetILNS1_3genE10ELNS1_11target_archE1201ELNS1_3gpuE5ELNS1_3repE0EEES8_NS1_28merge_sort_block_sort_configILj256ELj4ELNS0_20block_sort_algorithmE0EEENS0_14default_configENS1_37merge_sort_block_sort_config_selectorIjyEENS1_38merge_sort_block_merge_config_selectorIjyEEEEvv,comdat
.Lfunc_end458:
	.size	_ZN7rocprim17ROCPRIM_400000_NS6detail44device_merge_sort_compile_time_verifier_archINS1_11comp_targetILNS1_3genE10ELNS1_11target_archE1201ELNS1_3gpuE5ELNS1_3repE0EEES8_NS1_28merge_sort_block_sort_configILj256ELj4ELNS0_20block_sort_algorithmE0EEENS0_14default_configENS1_37merge_sort_block_sort_config_selectorIjyEENS1_38merge_sort_block_merge_config_selectorIjyEEEEvv, .Lfunc_end458-_ZN7rocprim17ROCPRIM_400000_NS6detail44device_merge_sort_compile_time_verifier_archINS1_11comp_targetILNS1_3genE10ELNS1_11target_archE1201ELNS1_3gpuE5ELNS1_3repE0EEES8_NS1_28merge_sort_block_sort_configILj256ELj4ELNS0_20block_sort_algorithmE0EEENS0_14default_configENS1_37merge_sort_block_sort_config_selectorIjyEENS1_38merge_sort_block_merge_config_selectorIjyEEEEvv
                                        ; -- End function
	.section	.AMDGPU.csdata,"",@progbits
; Kernel info:
; codeLenInByte = 4
; NumSgprs: 4
; NumVgprs: 0
; NumAgprs: 0
; TotalNumVgprs: 0
; ScratchSize: 0
; MemoryBound: 0
; FloatMode: 240
; IeeeMode: 1
; LDSByteSize: 0 bytes/workgroup (compile time only)
; SGPRBlocks: 0
; VGPRBlocks: 0
; NumSGPRsForWavesPerEU: 4
; NumVGPRsForWavesPerEU: 1
; AccumOffset: 4
; Occupancy: 8
; WaveLimiterHint : 0
; COMPUTE_PGM_RSRC2:SCRATCH_EN: 0
; COMPUTE_PGM_RSRC2:USER_SGPR: 4
; COMPUTE_PGM_RSRC2:TRAP_HANDLER: 0
; COMPUTE_PGM_RSRC2:TGID_X_EN: 1
; COMPUTE_PGM_RSRC2:TGID_Y_EN: 0
; COMPUTE_PGM_RSRC2:TGID_Z_EN: 0
; COMPUTE_PGM_RSRC2:TIDIG_COMP_CNT: 0
; COMPUTE_PGM_RSRC3_GFX90A:ACCUM_OFFSET: 0
; COMPUTE_PGM_RSRC3_GFX90A:TG_SPLIT: 0
	.section	.text._ZN7rocprim17ROCPRIM_400000_NS6detail44device_merge_sort_compile_time_verifier_archINS1_11comp_targetILNS1_3genE10ELNS1_11target_archE1200ELNS1_3gpuE4ELNS1_3repE0EEENS3_ILS4_10ELS5_1201ELS6_5ELS7_0EEENS1_28merge_sort_block_sort_configILj256ELj4ELNS0_20block_sort_algorithmE0EEENS0_14default_configENS1_37merge_sort_block_sort_config_selectorIjyEENS1_38merge_sort_block_merge_config_selectorIjyEEEEvv,"axG",@progbits,_ZN7rocprim17ROCPRIM_400000_NS6detail44device_merge_sort_compile_time_verifier_archINS1_11comp_targetILNS1_3genE10ELNS1_11target_archE1200ELNS1_3gpuE4ELNS1_3repE0EEENS3_ILS4_10ELS5_1201ELS6_5ELS7_0EEENS1_28merge_sort_block_sort_configILj256ELj4ELNS0_20block_sort_algorithmE0EEENS0_14default_configENS1_37merge_sort_block_sort_config_selectorIjyEENS1_38merge_sort_block_merge_config_selectorIjyEEEEvv,comdat
	.protected	_ZN7rocprim17ROCPRIM_400000_NS6detail44device_merge_sort_compile_time_verifier_archINS1_11comp_targetILNS1_3genE10ELNS1_11target_archE1200ELNS1_3gpuE4ELNS1_3repE0EEENS3_ILS4_10ELS5_1201ELS6_5ELS7_0EEENS1_28merge_sort_block_sort_configILj256ELj4ELNS0_20block_sort_algorithmE0EEENS0_14default_configENS1_37merge_sort_block_sort_config_selectorIjyEENS1_38merge_sort_block_merge_config_selectorIjyEEEEvv ; -- Begin function _ZN7rocprim17ROCPRIM_400000_NS6detail44device_merge_sort_compile_time_verifier_archINS1_11comp_targetILNS1_3genE10ELNS1_11target_archE1200ELNS1_3gpuE4ELNS1_3repE0EEENS3_ILS4_10ELS5_1201ELS6_5ELS7_0EEENS1_28merge_sort_block_sort_configILj256ELj4ELNS0_20block_sort_algorithmE0EEENS0_14default_configENS1_37merge_sort_block_sort_config_selectorIjyEENS1_38merge_sort_block_merge_config_selectorIjyEEEEvv
	.globl	_ZN7rocprim17ROCPRIM_400000_NS6detail44device_merge_sort_compile_time_verifier_archINS1_11comp_targetILNS1_3genE10ELNS1_11target_archE1200ELNS1_3gpuE4ELNS1_3repE0EEENS3_ILS4_10ELS5_1201ELS6_5ELS7_0EEENS1_28merge_sort_block_sort_configILj256ELj4ELNS0_20block_sort_algorithmE0EEENS0_14default_configENS1_37merge_sort_block_sort_config_selectorIjyEENS1_38merge_sort_block_merge_config_selectorIjyEEEEvv
	.p2align	8
	.type	_ZN7rocprim17ROCPRIM_400000_NS6detail44device_merge_sort_compile_time_verifier_archINS1_11comp_targetILNS1_3genE10ELNS1_11target_archE1200ELNS1_3gpuE4ELNS1_3repE0EEENS3_ILS4_10ELS5_1201ELS6_5ELS7_0EEENS1_28merge_sort_block_sort_configILj256ELj4ELNS0_20block_sort_algorithmE0EEENS0_14default_configENS1_37merge_sort_block_sort_config_selectorIjyEENS1_38merge_sort_block_merge_config_selectorIjyEEEEvv,@function
_ZN7rocprim17ROCPRIM_400000_NS6detail44device_merge_sort_compile_time_verifier_archINS1_11comp_targetILNS1_3genE10ELNS1_11target_archE1200ELNS1_3gpuE4ELNS1_3repE0EEENS3_ILS4_10ELS5_1201ELS6_5ELS7_0EEENS1_28merge_sort_block_sort_configILj256ELj4ELNS0_20block_sort_algorithmE0EEENS0_14default_configENS1_37merge_sort_block_sort_config_selectorIjyEENS1_38merge_sort_block_merge_config_selectorIjyEEEEvv: ; @_ZN7rocprim17ROCPRIM_400000_NS6detail44device_merge_sort_compile_time_verifier_archINS1_11comp_targetILNS1_3genE10ELNS1_11target_archE1200ELNS1_3gpuE4ELNS1_3repE0EEENS3_ILS4_10ELS5_1201ELS6_5ELS7_0EEENS1_28merge_sort_block_sort_configILj256ELj4ELNS0_20block_sort_algorithmE0EEENS0_14default_configENS1_37merge_sort_block_sort_config_selectorIjyEENS1_38merge_sort_block_merge_config_selectorIjyEEEEvv
; %bb.0:
	s_endpgm
	.section	.rodata,"a",@progbits
	.p2align	6, 0x0
	.amdhsa_kernel _ZN7rocprim17ROCPRIM_400000_NS6detail44device_merge_sort_compile_time_verifier_archINS1_11comp_targetILNS1_3genE10ELNS1_11target_archE1200ELNS1_3gpuE4ELNS1_3repE0EEENS3_ILS4_10ELS5_1201ELS6_5ELS7_0EEENS1_28merge_sort_block_sort_configILj256ELj4ELNS0_20block_sort_algorithmE0EEENS0_14default_configENS1_37merge_sort_block_sort_config_selectorIjyEENS1_38merge_sort_block_merge_config_selectorIjyEEEEvv
		.amdhsa_group_segment_fixed_size 0
		.amdhsa_private_segment_fixed_size 0
		.amdhsa_kernarg_size 0
		.amdhsa_user_sgpr_count 4
		.amdhsa_user_sgpr_private_segment_buffer 1
		.amdhsa_user_sgpr_dispatch_ptr 0
		.amdhsa_user_sgpr_queue_ptr 0
		.amdhsa_user_sgpr_kernarg_segment_ptr 0
		.amdhsa_user_sgpr_dispatch_id 0
		.amdhsa_user_sgpr_flat_scratch_init 0
		.amdhsa_user_sgpr_kernarg_preload_length 0
		.amdhsa_user_sgpr_kernarg_preload_offset 0
		.amdhsa_user_sgpr_private_segment_size 0
		.amdhsa_uses_dynamic_stack 0
		.amdhsa_system_sgpr_private_segment_wavefront_offset 0
		.amdhsa_system_sgpr_workgroup_id_x 1
		.amdhsa_system_sgpr_workgroup_id_y 0
		.amdhsa_system_sgpr_workgroup_id_z 0
		.amdhsa_system_sgpr_workgroup_info 0
		.amdhsa_system_vgpr_workitem_id 0
		.amdhsa_next_free_vgpr 1
		.amdhsa_next_free_sgpr 0
		.amdhsa_accum_offset 4
		.amdhsa_reserve_vcc 0
		.amdhsa_reserve_flat_scratch 0
		.amdhsa_float_round_mode_32 0
		.amdhsa_float_round_mode_16_64 0
		.amdhsa_float_denorm_mode_32 3
		.amdhsa_float_denorm_mode_16_64 3
		.amdhsa_dx10_clamp 1
		.amdhsa_ieee_mode 1
		.amdhsa_fp16_overflow 0
		.amdhsa_tg_split 0
		.amdhsa_exception_fp_ieee_invalid_op 0
		.amdhsa_exception_fp_denorm_src 0
		.amdhsa_exception_fp_ieee_div_zero 0
		.amdhsa_exception_fp_ieee_overflow 0
		.amdhsa_exception_fp_ieee_underflow 0
		.amdhsa_exception_fp_ieee_inexact 0
		.amdhsa_exception_int_div_zero 0
	.end_amdhsa_kernel
	.section	.text._ZN7rocprim17ROCPRIM_400000_NS6detail44device_merge_sort_compile_time_verifier_archINS1_11comp_targetILNS1_3genE10ELNS1_11target_archE1200ELNS1_3gpuE4ELNS1_3repE0EEENS3_ILS4_10ELS5_1201ELS6_5ELS7_0EEENS1_28merge_sort_block_sort_configILj256ELj4ELNS0_20block_sort_algorithmE0EEENS0_14default_configENS1_37merge_sort_block_sort_config_selectorIjyEENS1_38merge_sort_block_merge_config_selectorIjyEEEEvv,"axG",@progbits,_ZN7rocprim17ROCPRIM_400000_NS6detail44device_merge_sort_compile_time_verifier_archINS1_11comp_targetILNS1_3genE10ELNS1_11target_archE1200ELNS1_3gpuE4ELNS1_3repE0EEENS3_ILS4_10ELS5_1201ELS6_5ELS7_0EEENS1_28merge_sort_block_sort_configILj256ELj4ELNS0_20block_sort_algorithmE0EEENS0_14default_configENS1_37merge_sort_block_sort_config_selectorIjyEENS1_38merge_sort_block_merge_config_selectorIjyEEEEvv,comdat
.Lfunc_end459:
	.size	_ZN7rocprim17ROCPRIM_400000_NS6detail44device_merge_sort_compile_time_verifier_archINS1_11comp_targetILNS1_3genE10ELNS1_11target_archE1200ELNS1_3gpuE4ELNS1_3repE0EEENS3_ILS4_10ELS5_1201ELS6_5ELS7_0EEENS1_28merge_sort_block_sort_configILj256ELj4ELNS0_20block_sort_algorithmE0EEENS0_14default_configENS1_37merge_sort_block_sort_config_selectorIjyEENS1_38merge_sort_block_merge_config_selectorIjyEEEEvv, .Lfunc_end459-_ZN7rocprim17ROCPRIM_400000_NS6detail44device_merge_sort_compile_time_verifier_archINS1_11comp_targetILNS1_3genE10ELNS1_11target_archE1200ELNS1_3gpuE4ELNS1_3repE0EEENS3_ILS4_10ELS5_1201ELS6_5ELS7_0EEENS1_28merge_sort_block_sort_configILj256ELj4ELNS0_20block_sort_algorithmE0EEENS0_14default_configENS1_37merge_sort_block_sort_config_selectorIjyEENS1_38merge_sort_block_merge_config_selectorIjyEEEEvv
                                        ; -- End function
	.section	.AMDGPU.csdata,"",@progbits
; Kernel info:
; codeLenInByte = 4
; NumSgprs: 4
; NumVgprs: 0
; NumAgprs: 0
; TotalNumVgprs: 0
; ScratchSize: 0
; MemoryBound: 0
; FloatMode: 240
; IeeeMode: 1
; LDSByteSize: 0 bytes/workgroup (compile time only)
; SGPRBlocks: 0
; VGPRBlocks: 0
; NumSGPRsForWavesPerEU: 4
; NumVGPRsForWavesPerEU: 1
; AccumOffset: 4
; Occupancy: 8
; WaveLimiterHint : 0
; COMPUTE_PGM_RSRC2:SCRATCH_EN: 0
; COMPUTE_PGM_RSRC2:USER_SGPR: 4
; COMPUTE_PGM_RSRC2:TRAP_HANDLER: 0
; COMPUTE_PGM_RSRC2:TGID_X_EN: 1
; COMPUTE_PGM_RSRC2:TGID_Y_EN: 0
; COMPUTE_PGM_RSRC2:TGID_Z_EN: 0
; COMPUTE_PGM_RSRC2:TIDIG_COMP_CNT: 0
; COMPUTE_PGM_RSRC3_GFX90A:ACCUM_OFFSET: 0
; COMPUTE_PGM_RSRC3_GFX90A:TG_SPLIT: 0
	.section	.text._ZN7rocprim17ROCPRIM_400000_NS6detail44device_merge_sort_compile_time_verifier_archINS1_11comp_targetILNS1_3genE9ELNS1_11target_archE1100ELNS1_3gpuE3ELNS1_3repE0EEES8_NS1_28merge_sort_block_sort_configILj256ELj4ELNS0_20block_sort_algorithmE0EEENS0_14default_configENS1_37merge_sort_block_sort_config_selectorIjyEENS1_38merge_sort_block_merge_config_selectorIjyEEEEvv,"axG",@progbits,_ZN7rocprim17ROCPRIM_400000_NS6detail44device_merge_sort_compile_time_verifier_archINS1_11comp_targetILNS1_3genE9ELNS1_11target_archE1100ELNS1_3gpuE3ELNS1_3repE0EEES8_NS1_28merge_sort_block_sort_configILj256ELj4ELNS0_20block_sort_algorithmE0EEENS0_14default_configENS1_37merge_sort_block_sort_config_selectorIjyEENS1_38merge_sort_block_merge_config_selectorIjyEEEEvv,comdat
	.protected	_ZN7rocprim17ROCPRIM_400000_NS6detail44device_merge_sort_compile_time_verifier_archINS1_11comp_targetILNS1_3genE9ELNS1_11target_archE1100ELNS1_3gpuE3ELNS1_3repE0EEES8_NS1_28merge_sort_block_sort_configILj256ELj4ELNS0_20block_sort_algorithmE0EEENS0_14default_configENS1_37merge_sort_block_sort_config_selectorIjyEENS1_38merge_sort_block_merge_config_selectorIjyEEEEvv ; -- Begin function _ZN7rocprim17ROCPRIM_400000_NS6detail44device_merge_sort_compile_time_verifier_archINS1_11comp_targetILNS1_3genE9ELNS1_11target_archE1100ELNS1_3gpuE3ELNS1_3repE0EEES8_NS1_28merge_sort_block_sort_configILj256ELj4ELNS0_20block_sort_algorithmE0EEENS0_14default_configENS1_37merge_sort_block_sort_config_selectorIjyEENS1_38merge_sort_block_merge_config_selectorIjyEEEEvv
	.globl	_ZN7rocprim17ROCPRIM_400000_NS6detail44device_merge_sort_compile_time_verifier_archINS1_11comp_targetILNS1_3genE9ELNS1_11target_archE1100ELNS1_3gpuE3ELNS1_3repE0EEES8_NS1_28merge_sort_block_sort_configILj256ELj4ELNS0_20block_sort_algorithmE0EEENS0_14default_configENS1_37merge_sort_block_sort_config_selectorIjyEENS1_38merge_sort_block_merge_config_selectorIjyEEEEvv
	.p2align	8
	.type	_ZN7rocprim17ROCPRIM_400000_NS6detail44device_merge_sort_compile_time_verifier_archINS1_11comp_targetILNS1_3genE9ELNS1_11target_archE1100ELNS1_3gpuE3ELNS1_3repE0EEES8_NS1_28merge_sort_block_sort_configILj256ELj4ELNS0_20block_sort_algorithmE0EEENS0_14default_configENS1_37merge_sort_block_sort_config_selectorIjyEENS1_38merge_sort_block_merge_config_selectorIjyEEEEvv,@function
_ZN7rocprim17ROCPRIM_400000_NS6detail44device_merge_sort_compile_time_verifier_archINS1_11comp_targetILNS1_3genE9ELNS1_11target_archE1100ELNS1_3gpuE3ELNS1_3repE0EEES8_NS1_28merge_sort_block_sort_configILj256ELj4ELNS0_20block_sort_algorithmE0EEENS0_14default_configENS1_37merge_sort_block_sort_config_selectorIjyEENS1_38merge_sort_block_merge_config_selectorIjyEEEEvv: ; @_ZN7rocprim17ROCPRIM_400000_NS6detail44device_merge_sort_compile_time_verifier_archINS1_11comp_targetILNS1_3genE9ELNS1_11target_archE1100ELNS1_3gpuE3ELNS1_3repE0EEES8_NS1_28merge_sort_block_sort_configILj256ELj4ELNS0_20block_sort_algorithmE0EEENS0_14default_configENS1_37merge_sort_block_sort_config_selectorIjyEENS1_38merge_sort_block_merge_config_selectorIjyEEEEvv
; %bb.0:
	s_endpgm
	.section	.rodata,"a",@progbits
	.p2align	6, 0x0
	.amdhsa_kernel _ZN7rocprim17ROCPRIM_400000_NS6detail44device_merge_sort_compile_time_verifier_archINS1_11comp_targetILNS1_3genE9ELNS1_11target_archE1100ELNS1_3gpuE3ELNS1_3repE0EEES8_NS1_28merge_sort_block_sort_configILj256ELj4ELNS0_20block_sort_algorithmE0EEENS0_14default_configENS1_37merge_sort_block_sort_config_selectorIjyEENS1_38merge_sort_block_merge_config_selectorIjyEEEEvv
		.amdhsa_group_segment_fixed_size 0
		.amdhsa_private_segment_fixed_size 0
		.amdhsa_kernarg_size 0
		.amdhsa_user_sgpr_count 4
		.amdhsa_user_sgpr_private_segment_buffer 1
		.amdhsa_user_sgpr_dispatch_ptr 0
		.amdhsa_user_sgpr_queue_ptr 0
		.amdhsa_user_sgpr_kernarg_segment_ptr 0
		.amdhsa_user_sgpr_dispatch_id 0
		.amdhsa_user_sgpr_flat_scratch_init 0
		.amdhsa_user_sgpr_kernarg_preload_length 0
		.amdhsa_user_sgpr_kernarg_preload_offset 0
		.amdhsa_user_sgpr_private_segment_size 0
		.amdhsa_uses_dynamic_stack 0
		.amdhsa_system_sgpr_private_segment_wavefront_offset 0
		.amdhsa_system_sgpr_workgroup_id_x 1
		.amdhsa_system_sgpr_workgroup_id_y 0
		.amdhsa_system_sgpr_workgroup_id_z 0
		.amdhsa_system_sgpr_workgroup_info 0
		.amdhsa_system_vgpr_workitem_id 0
		.amdhsa_next_free_vgpr 1
		.amdhsa_next_free_sgpr 0
		.amdhsa_accum_offset 4
		.amdhsa_reserve_vcc 0
		.amdhsa_reserve_flat_scratch 0
		.amdhsa_float_round_mode_32 0
		.amdhsa_float_round_mode_16_64 0
		.amdhsa_float_denorm_mode_32 3
		.amdhsa_float_denorm_mode_16_64 3
		.amdhsa_dx10_clamp 1
		.amdhsa_ieee_mode 1
		.amdhsa_fp16_overflow 0
		.amdhsa_tg_split 0
		.amdhsa_exception_fp_ieee_invalid_op 0
		.amdhsa_exception_fp_denorm_src 0
		.amdhsa_exception_fp_ieee_div_zero 0
		.amdhsa_exception_fp_ieee_overflow 0
		.amdhsa_exception_fp_ieee_underflow 0
		.amdhsa_exception_fp_ieee_inexact 0
		.amdhsa_exception_int_div_zero 0
	.end_amdhsa_kernel
	.section	.text._ZN7rocprim17ROCPRIM_400000_NS6detail44device_merge_sort_compile_time_verifier_archINS1_11comp_targetILNS1_3genE9ELNS1_11target_archE1100ELNS1_3gpuE3ELNS1_3repE0EEES8_NS1_28merge_sort_block_sort_configILj256ELj4ELNS0_20block_sort_algorithmE0EEENS0_14default_configENS1_37merge_sort_block_sort_config_selectorIjyEENS1_38merge_sort_block_merge_config_selectorIjyEEEEvv,"axG",@progbits,_ZN7rocprim17ROCPRIM_400000_NS6detail44device_merge_sort_compile_time_verifier_archINS1_11comp_targetILNS1_3genE9ELNS1_11target_archE1100ELNS1_3gpuE3ELNS1_3repE0EEES8_NS1_28merge_sort_block_sort_configILj256ELj4ELNS0_20block_sort_algorithmE0EEENS0_14default_configENS1_37merge_sort_block_sort_config_selectorIjyEENS1_38merge_sort_block_merge_config_selectorIjyEEEEvv,comdat
.Lfunc_end460:
	.size	_ZN7rocprim17ROCPRIM_400000_NS6detail44device_merge_sort_compile_time_verifier_archINS1_11comp_targetILNS1_3genE9ELNS1_11target_archE1100ELNS1_3gpuE3ELNS1_3repE0EEES8_NS1_28merge_sort_block_sort_configILj256ELj4ELNS0_20block_sort_algorithmE0EEENS0_14default_configENS1_37merge_sort_block_sort_config_selectorIjyEENS1_38merge_sort_block_merge_config_selectorIjyEEEEvv, .Lfunc_end460-_ZN7rocprim17ROCPRIM_400000_NS6detail44device_merge_sort_compile_time_verifier_archINS1_11comp_targetILNS1_3genE9ELNS1_11target_archE1100ELNS1_3gpuE3ELNS1_3repE0EEES8_NS1_28merge_sort_block_sort_configILj256ELj4ELNS0_20block_sort_algorithmE0EEENS0_14default_configENS1_37merge_sort_block_sort_config_selectorIjyEENS1_38merge_sort_block_merge_config_selectorIjyEEEEvv
                                        ; -- End function
	.section	.AMDGPU.csdata,"",@progbits
; Kernel info:
; codeLenInByte = 4
; NumSgprs: 4
; NumVgprs: 0
; NumAgprs: 0
; TotalNumVgprs: 0
; ScratchSize: 0
; MemoryBound: 0
; FloatMode: 240
; IeeeMode: 1
; LDSByteSize: 0 bytes/workgroup (compile time only)
; SGPRBlocks: 0
; VGPRBlocks: 0
; NumSGPRsForWavesPerEU: 4
; NumVGPRsForWavesPerEU: 1
; AccumOffset: 4
; Occupancy: 8
; WaveLimiterHint : 0
; COMPUTE_PGM_RSRC2:SCRATCH_EN: 0
; COMPUTE_PGM_RSRC2:USER_SGPR: 4
; COMPUTE_PGM_RSRC2:TRAP_HANDLER: 0
; COMPUTE_PGM_RSRC2:TGID_X_EN: 1
; COMPUTE_PGM_RSRC2:TGID_Y_EN: 0
; COMPUTE_PGM_RSRC2:TGID_Z_EN: 0
; COMPUTE_PGM_RSRC2:TIDIG_COMP_CNT: 0
; COMPUTE_PGM_RSRC3_GFX90A:ACCUM_OFFSET: 0
; COMPUTE_PGM_RSRC3_GFX90A:TG_SPLIT: 0
	.section	.text._ZN7rocprim17ROCPRIM_400000_NS6detail44device_merge_sort_compile_time_verifier_archINS1_11comp_targetILNS1_3genE8ELNS1_11target_archE1030ELNS1_3gpuE2ELNS1_3repE0EEES8_NS1_28merge_sort_block_sort_configILj256ELj4ELNS0_20block_sort_algorithmE0EEENS0_14default_configENS1_37merge_sort_block_sort_config_selectorIjyEENS1_38merge_sort_block_merge_config_selectorIjyEEEEvv,"axG",@progbits,_ZN7rocprim17ROCPRIM_400000_NS6detail44device_merge_sort_compile_time_verifier_archINS1_11comp_targetILNS1_3genE8ELNS1_11target_archE1030ELNS1_3gpuE2ELNS1_3repE0EEES8_NS1_28merge_sort_block_sort_configILj256ELj4ELNS0_20block_sort_algorithmE0EEENS0_14default_configENS1_37merge_sort_block_sort_config_selectorIjyEENS1_38merge_sort_block_merge_config_selectorIjyEEEEvv,comdat
	.protected	_ZN7rocprim17ROCPRIM_400000_NS6detail44device_merge_sort_compile_time_verifier_archINS1_11comp_targetILNS1_3genE8ELNS1_11target_archE1030ELNS1_3gpuE2ELNS1_3repE0EEES8_NS1_28merge_sort_block_sort_configILj256ELj4ELNS0_20block_sort_algorithmE0EEENS0_14default_configENS1_37merge_sort_block_sort_config_selectorIjyEENS1_38merge_sort_block_merge_config_selectorIjyEEEEvv ; -- Begin function _ZN7rocprim17ROCPRIM_400000_NS6detail44device_merge_sort_compile_time_verifier_archINS1_11comp_targetILNS1_3genE8ELNS1_11target_archE1030ELNS1_3gpuE2ELNS1_3repE0EEES8_NS1_28merge_sort_block_sort_configILj256ELj4ELNS0_20block_sort_algorithmE0EEENS0_14default_configENS1_37merge_sort_block_sort_config_selectorIjyEENS1_38merge_sort_block_merge_config_selectorIjyEEEEvv
	.globl	_ZN7rocprim17ROCPRIM_400000_NS6detail44device_merge_sort_compile_time_verifier_archINS1_11comp_targetILNS1_3genE8ELNS1_11target_archE1030ELNS1_3gpuE2ELNS1_3repE0EEES8_NS1_28merge_sort_block_sort_configILj256ELj4ELNS0_20block_sort_algorithmE0EEENS0_14default_configENS1_37merge_sort_block_sort_config_selectorIjyEENS1_38merge_sort_block_merge_config_selectorIjyEEEEvv
	.p2align	8
	.type	_ZN7rocprim17ROCPRIM_400000_NS6detail44device_merge_sort_compile_time_verifier_archINS1_11comp_targetILNS1_3genE8ELNS1_11target_archE1030ELNS1_3gpuE2ELNS1_3repE0EEES8_NS1_28merge_sort_block_sort_configILj256ELj4ELNS0_20block_sort_algorithmE0EEENS0_14default_configENS1_37merge_sort_block_sort_config_selectorIjyEENS1_38merge_sort_block_merge_config_selectorIjyEEEEvv,@function
_ZN7rocprim17ROCPRIM_400000_NS6detail44device_merge_sort_compile_time_verifier_archINS1_11comp_targetILNS1_3genE8ELNS1_11target_archE1030ELNS1_3gpuE2ELNS1_3repE0EEES8_NS1_28merge_sort_block_sort_configILj256ELj4ELNS0_20block_sort_algorithmE0EEENS0_14default_configENS1_37merge_sort_block_sort_config_selectorIjyEENS1_38merge_sort_block_merge_config_selectorIjyEEEEvv: ; @_ZN7rocprim17ROCPRIM_400000_NS6detail44device_merge_sort_compile_time_verifier_archINS1_11comp_targetILNS1_3genE8ELNS1_11target_archE1030ELNS1_3gpuE2ELNS1_3repE0EEES8_NS1_28merge_sort_block_sort_configILj256ELj4ELNS0_20block_sort_algorithmE0EEENS0_14default_configENS1_37merge_sort_block_sort_config_selectorIjyEENS1_38merge_sort_block_merge_config_selectorIjyEEEEvv
; %bb.0:
	s_endpgm
	.section	.rodata,"a",@progbits
	.p2align	6, 0x0
	.amdhsa_kernel _ZN7rocprim17ROCPRIM_400000_NS6detail44device_merge_sort_compile_time_verifier_archINS1_11comp_targetILNS1_3genE8ELNS1_11target_archE1030ELNS1_3gpuE2ELNS1_3repE0EEES8_NS1_28merge_sort_block_sort_configILj256ELj4ELNS0_20block_sort_algorithmE0EEENS0_14default_configENS1_37merge_sort_block_sort_config_selectorIjyEENS1_38merge_sort_block_merge_config_selectorIjyEEEEvv
		.amdhsa_group_segment_fixed_size 0
		.amdhsa_private_segment_fixed_size 0
		.amdhsa_kernarg_size 0
		.amdhsa_user_sgpr_count 4
		.amdhsa_user_sgpr_private_segment_buffer 1
		.amdhsa_user_sgpr_dispatch_ptr 0
		.amdhsa_user_sgpr_queue_ptr 0
		.amdhsa_user_sgpr_kernarg_segment_ptr 0
		.amdhsa_user_sgpr_dispatch_id 0
		.amdhsa_user_sgpr_flat_scratch_init 0
		.amdhsa_user_sgpr_kernarg_preload_length 0
		.amdhsa_user_sgpr_kernarg_preload_offset 0
		.amdhsa_user_sgpr_private_segment_size 0
		.amdhsa_uses_dynamic_stack 0
		.amdhsa_system_sgpr_private_segment_wavefront_offset 0
		.amdhsa_system_sgpr_workgroup_id_x 1
		.amdhsa_system_sgpr_workgroup_id_y 0
		.amdhsa_system_sgpr_workgroup_id_z 0
		.amdhsa_system_sgpr_workgroup_info 0
		.amdhsa_system_vgpr_workitem_id 0
		.amdhsa_next_free_vgpr 1
		.amdhsa_next_free_sgpr 0
		.amdhsa_accum_offset 4
		.amdhsa_reserve_vcc 0
		.amdhsa_reserve_flat_scratch 0
		.amdhsa_float_round_mode_32 0
		.amdhsa_float_round_mode_16_64 0
		.amdhsa_float_denorm_mode_32 3
		.amdhsa_float_denorm_mode_16_64 3
		.amdhsa_dx10_clamp 1
		.amdhsa_ieee_mode 1
		.amdhsa_fp16_overflow 0
		.amdhsa_tg_split 0
		.amdhsa_exception_fp_ieee_invalid_op 0
		.amdhsa_exception_fp_denorm_src 0
		.amdhsa_exception_fp_ieee_div_zero 0
		.amdhsa_exception_fp_ieee_overflow 0
		.amdhsa_exception_fp_ieee_underflow 0
		.amdhsa_exception_fp_ieee_inexact 0
		.amdhsa_exception_int_div_zero 0
	.end_amdhsa_kernel
	.section	.text._ZN7rocprim17ROCPRIM_400000_NS6detail44device_merge_sort_compile_time_verifier_archINS1_11comp_targetILNS1_3genE8ELNS1_11target_archE1030ELNS1_3gpuE2ELNS1_3repE0EEES8_NS1_28merge_sort_block_sort_configILj256ELj4ELNS0_20block_sort_algorithmE0EEENS0_14default_configENS1_37merge_sort_block_sort_config_selectorIjyEENS1_38merge_sort_block_merge_config_selectorIjyEEEEvv,"axG",@progbits,_ZN7rocprim17ROCPRIM_400000_NS6detail44device_merge_sort_compile_time_verifier_archINS1_11comp_targetILNS1_3genE8ELNS1_11target_archE1030ELNS1_3gpuE2ELNS1_3repE0EEES8_NS1_28merge_sort_block_sort_configILj256ELj4ELNS0_20block_sort_algorithmE0EEENS0_14default_configENS1_37merge_sort_block_sort_config_selectorIjyEENS1_38merge_sort_block_merge_config_selectorIjyEEEEvv,comdat
.Lfunc_end461:
	.size	_ZN7rocprim17ROCPRIM_400000_NS6detail44device_merge_sort_compile_time_verifier_archINS1_11comp_targetILNS1_3genE8ELNS1_11target_archE1030ELNS1_3gpuE2ELNS1_3repE0EEES8_NS1_28merge_sort_block_sort_configILj256ELj4ELNS0_20block_sort_algorithmE0EEENS0_14default_configENS1_37merge_sort_block_sort_config_selectorIjyEENS1_38merge_sort_block_merge_config_selectorIjyEEEEvv, .Lfunc_end461-_ZN7rocprim17ROCPRIM_400000_NS6detail44device_merge_sort_compile_time_verifier_archINS1_11comp_targetILNS1_3genE8ELNS1_11target_archE1030ELNS1_3gpuE2ELNS1_3repE0EEES8_NS1_28merge_sort_block_sort_configILj256ELj4ELNS0_20block_sort_algorithmE0EEENS0_14default_configENS1_37merge_sort_block_sort_config_selectorIjyEENS1_38merge_sort_block_merge_config_selectorIjyEEEEvv
                                        ; -- End function
	.section	.AMDGPU.csdata,"",@progbits
; Kernel info:
; codeLenInByte = 4
; NumSgprs: 4
; NumVgprs: 0
; NumAgprs: 0
; TotalNumVgprs: 0
; ScratchSize: 0
; MemoryBound: 0
; FloatMode: 240
; IeeeMode: 1
; LDSByteSize: 0 bytes/workgroup (compile time only)
; SGPRBlocks: 0
; VGPRBlocks: 0
; NumSGPRsForWavesPerEU: 4
; NumVGPRsForWavesPerEU: 1
; AccumOffset: 4
; Occupancy: 8
; WaveLimiterHint : 0
; COMPUTE_PGM_RSRC2:SCRATCH_EN: 0
; COMPUTE_PGM_RSRC2:USER_SGPR: 4
; COMPUTE_PGM_RSRC2:TRAP_HANDLER: 0
; COMPUTE_PGM_RSRC2:TGID_X_EN: 1
; COMPUTE_PGM_RSRC2:TGID_Y_EN: 0
; COMPUTE_PGM_RSRC2:TGID_Z_EN: 0
; COMPUTE_PGM_RSRC2:TIDIG_COMP_CNT: 0
; COMPUTE_PGM_RSRC3_GFX90A:ACCUM_OFFSET: 0
; COMPUTE_PGM_RSRC3_GFX90A:TG_SPLIT: 0
	.section	.text._ZN7rocprim17ROCPRIM_400000_NS6detail17trampoline_kernelINS0_14default_configENS1_38merge_sort_block_merge_config_selectorIjyEEZZNS1_27merge_sort_block_merge_implIS3_PjPyjNS1_19radix_merge_compareILb0ELb0EjNS0_19identity_decomposerEEEEE10hipError_tT0_T1_T2_jT3_P12ihipStream_tbPNSt15iterator_traitsISD_E10value_typeEPNSJ_ISE_E10value_typeEPSF_NS1_7vsmem_tEENKUlT_SD_SE_SF_E_clIS7_S7_S8_S8_EESC_SS_SD_SE_SF_EUlSS_E_NS1_11comp_targetILNS1_3genE0ELNS1_11target_archE4294967295ELNS1_3gpuE0ELNS1_3repE0EEENS1_48merge_mergepath_partition_config_static_selectorELNS0_4arch9wavefront6targetE1EEEvSE_,"axG",@progbits,_ZN7rocprim17ROCPRIM_400000_NS6detail17trampoline_kernelINS0_14default_configENS1_38merge_sort_block_merge_config_selectorIjyEEZZNS1_27merge_sort_block_merge_implIS3_PjPyjNS1_19radix_merge_compareILb0ELb0EjNS0_19identity_decomposerEEEEE10hipError_tT0_T1_T2_jT3_P12ihipStream_tbPNSt15iterator_traitsISD_E10value_typeEPNSJ_ISE_E10value_typeEPSF_NS1_7vsmem_tEENKUlT_SD_SE_SF_E_clIS7_S7_S8_S8_EESC_SS_SD_SE_SF_EUlSS_E_NS1_11comp_targetILNS1_3genE0ELNS1_11target_archE4294967295ELNS1_3gpuE0ELNS1_3repE0EEENS1_48merge_mergepath_partition_config_static_selectorELNS0_4arch9wavefront6targetE1EEEvSE_,comdat
	.protected	_ZN7rocprim17ROCPRIM_400000_NS6detail17trampoline_kernelINS0_14default_configENS1_38merge_sort_block_merge_config_selectorIjyEEZZNS1_27merge_sort_block_merge_implIS3_PjPyjNS1_19radix_merge_compareILb0ELb0EjNS0_19identity_decomposerEEEEE10hipError_tT0_T1_T2_jT3_P12ihipStream_tbPNSt15iterator_traitsISD_E10value_typeEPNSJ_ISE_E10value_typeEPSF_NS1_7vsmem_tEENKUlT_SD_SE_SF_E_clIS7_S7_S8_S8_EESC_SS_SD_SE_SF_EUlSS_E_NS1_11comp_targetILNS1_3genE0ELNS1_11target_archE4294967295ELNS1_3gpuE0ELNS1_3repE0EEENS1_48merge_mergepath_partition_config_static_selectorELNS0_4arch9wavefront6targetE1EEEvSE_ ; -- Begin function _ZN7rocprim17ROCPRIM_400000_NS6detail17trampoline_kernelINS0_14default_configENS1_38merge_sort_block_merge_config_selectorIjyEEZZNS1_27merge_sort_block_merge_implIS3_PjPyjNS1_19radix_merge_compareILb0ELb0EjNS0_19identity_decomposerEEEEE10hipError_tT0_T1_T2_jT3_P12ihipStream_tbPNSt15iterator_traitsISD_E10value_typeEPNSJ_ISE_E10value_typeEPSF_NS1_7vsmem_tEENKUlT_SD_SE_SF_E_clIS7_S7_S8_S8_EESC_SS_SD_SE_SF_EUlSS_E_NS1_11comp_targetILNS1_3genE0ELNS1_11target_archE4294967295ELNS1_3gpuE0ELNS1_3repE0EEENS1_48merge_mergepath_partition_config_static_selectorELNS0_4arch9wavefront6targetE1EEEvSE_
	.globl	_ZN7rocprim17ROCPRIM_400000_NS6detail17trampoline_kernelINS0_14default_configENS1_38merge_sort_block_merge_config_selectorIjyEEZZNS1_27merge_sort_block_merge_implIS3_PjPyjNS1_19radix_merge_compareILb0ELb0EjNS0_19identity_decomposerEEEEE10hipError_tT0_T1_T2_jT3_P12ihipStream_tbPNSt15iterator_traitsISD_E10value_typeEPNSJ_ISE_E10value_typeEPSF_NS1_7vsmem_tEENKUlT_SD_SE_SF_E_clIS7_S7_S8_S8_EESC_SS_SD_SE_SF_EUlSS_E_NS1_11comp_targetILNS1_3genE0ELNS1_11target_archE4294967295ELNS1_3gpuE0ELNS1_3repE0EEENS1_48merge_mergepath_partition_config_static_selectorELNS0_4arch9wavefront6targetE1EEEvSE_
	.p2align	8
	.type	_ZN7rocprim17ROCPRIM_400000_NS6detail17trampoline_kernelINS0_14default_configENS1_38merge_sort_block_merge_config_selectorIjyEEZZNS1_27merge_sort_block_merge_implIS3_PjPyjNS1_19radix_merge_compareILb0ELb0EjNS0_19identity_decomposerEEEEE10hipError_tT0_T1_T2_jT3_P12ihipStream_tbPNSt15iterator_traitsISD_E10value_typeEPNSJ_ISE_E10value_typeEPSF_NS1_7vsmem_tEENKUlT_SD_SE_SF_E_clIS7_S7_S8_S8_EESC_SS_SD_SE_SF_EUlSS_E_NS1_11comp_targetILNS1_3genE0ELNS1_11target_archE4294967295ELNS1_3gpuE0ELNS1_3repE0EEENS1_48merge_mergepath_partition_config_static_selectorELNS0_4arch9wavefront6targetE1EEEvSE_,@function
_ZN7rocprim17ROCPRIM_400000_NS6detail17trampoline_kernelINS0_14default_configENS1_38merge_sort_block_merge_config_selectorIjyEEZZNS1_27merge_sort_block_merge_implIS3_PjPyjNS1_19radix_merge_compareILb0ELb0EjNS0_19identity_decomposerEEEEE10hipError_tT0_T1_T2_jT3_P12ihipStream_tbPNSt15iterator_traitsISD_E10value_typeEPNSJ_ISE_E10value_typeEPSF_NS1_7vsmem_tEENKUlT_SD_SE_SF_E_clIS7_S7_S8_S8_EESC_SS_SD_SE_SF_EUlSS_E_NS1_11comp_targetILNS1_3genE0ELNS1_11target_archE4294967295ELNS1_3gpuE0ELNS1_3repE0EEENS1_48merge_mergepath_partition_config_static_selectorELNS0_4arch9wavefront6targetE1EEEvSE_: ; @_ZN7rocprim17ROCPRIM_400000_NS6detail17trampoline_kernelINS0_14default_configENS1_38merge_sort_block_merge_config_selectorIjyEEZZNS1_27merge_sort_block_merge_implIS3_PjPyjNS1_19radix_merge_compareILb0ELb0EjNS0_19identity_decomposerEEEEE10hipError_tT0_T1_T2_jT3_P12ihipStream_tbPNSt15iterator_traitsISD_E10value_typeEPNSJ_ISE_E10value_typeEPSF_NS1_7vsmem_tEENKUlT_SD_SE_SF_E_clIS7_S7_S8_S8_EESC_SS_SD_SE_SF_EUlSS_E_NS1_11comp_targetILNS1_3genE0ELNS1_11target_archE4294967295ELNS1_3gpuE0ELNS1_3repE0EEENS1_48merge_mergepath_partition_config_static_selectorELNS0_4arch9wavefront6targetE1EEEvSE_
; %bb.0:
	.section	.rodata,"a",@progbits
	.p2align	6, 0x0
	.amdhsa_kernel _ZN7rocprim17ROCPRIM_400000_NS6detail17trampoline_kernelINS0_14default_configENS1_38merge_sort_block_merge_config_selectorIjyEEZZNS1_27merge_sort_block_merge_implIS3_PjPyjNS1_19radix_merge_compareILb0ELb0EjNS0_19identity_decomposerEEEEE10hipError_tT0_T1_T2_jT3_P12ihipStream_tbPNSt15iterator_traitsISD_E10value_typeEPNSJ_ISE_E10value_typeEPSF_NS1_7vsmem_tEENKUlT_SD_SE_SF_E_clIS7_S7_S8_S8_EESC_SS_SD_SE_SF_EUlSS_E_NS1_11comp_targetILNS1_3genE0ELNS1_11target_archE4294967295ELNS1_3gpuE0ELNS1_3repE0EEENS1_48merge_mergepath_partition_config_static_selectorELNS0_4arch9wavefront6targetE1EEEvSE_
		.amdhsa_group_segment_fixed_size 0
		.amdhsa_private_segment_fixed_size 0
		.amdhsa_kernarg_size 40
		.amdhsa_user_sgpr_count 6
		.amdhsa_user_sgpr_private_segment_buffer 1
		.amdhsa_user_sgpr_dispatch_ptr 0
		.amdhsa_user_sgpr_queue_ptr 0
		.amdhsa_user_sgpr_kernarg_segment_ptr 1
		.amdhsa_user_sgpr_dispatch_id 0
		.amdhsa_user_sgpr_flat_scratch_init 0
		.amdhsa_user_sgpr_kernarg_preload_length 0
		.amdhsa_user_sgpr_kernarg_preload_offset 0
		.amdhsa_user_sgpr_private_segment_size 0
		.amdhsa_uses_dynamic_stack 0
		.amdhsa_system_sgpr_private_segment_wavefront_offset 0
		.amdhsa_system_sgpr_workgroup_id_x 1
		.amdhsa_system_sgpr_workgroup_id_y 0
		.amdhsa_system_sgpr_workgroup_id_z 0
		.amdhsa_system_sgpr_workgroup_info 0
		.amdhsa_system_vgpr_workitem_id 0
		.amdhsa_next_free_vgpr 1
		.amdhsa_next_free_sgpr 0
		.amdhsa_accum_offset 4
		.amdhsa_reserve_vcc 0
		.amdhsa_reserve_flat_scratch 0
		.amdhsa_float_round_mode_32 0
		.amdhsa_float_round_mode_16_64 0
		.amdhsa_float_denorm_mode_32 3
		.amdhsa_float_denorm_mode_16_64 3
		.amdhsa_dx10_clamp 1
		.amdhsa_ieee_mode 1
		.amdhsa_fp16_overflow 0
		.amdhsa_tg_split 0
		.amdhsa_exception_fp_ieee_invalid_op 0
		.amdhsa_exception_fp_denorm_src 0
		.amdhsa_exception_fp_ieee_div_zero 0
		.amdhsa_exception_fp_ieee_overflow 0
		.amdhsa_exception_fp_ieee_underflow 0
		.amdhsa_exception_fp_ieee_inexact 0
		.amdhsa_exception_int_div_zero 0
	.end_amdhsa_kernel
	.section	.text._ZN7rocprim17ROCPRIM_400000_NS6detail17trampoline_kernelINS0_14default_configENS1_38merge_sort_block_merge_config_selectorIjyEEZZNS1_27merge_sort_block_merge_implIS3_PjPyjNS1_19radix_merge_compareILb0ELb0EjNS0_19identity_decomposerEEEEE10hipError_tT0_T1_T2_jT3_P12ihipStream_tbPNSt15iterator_traitsISD_E10value_typeEPNSJ_ISE_E10value_typeEPSF_NS1_7vsmem_tEENKUlT_SD_SE_SF_E_clIS7_S7_S8_S8_EESC_SS_SD_SE_SF_EUlSS_E_NS1_11comp_targetILNS1_3genE0ELNS1_11target_archE4294967295ELNS1_3gpuE0ELNS1_3repE0EEENS1_48merge_mergepath_partition_config_static_selectorELNS0_4arch9wavefront6targetE1EEEvSE_,"axG",@progbits,_ZN7rocprim17ROCPRIM_400000_NS6detail17trampoline_kernelINS0_14default_configENS1_38merge_sort_block_merge_config_selectorIjyEEZZNS1_27merge_sort_block_merge_implIS3_PjPyjNS1_19radix_merge_compareILb0ELb0EjNS0_19identity_decomposerEEEEE10hipError_tT0_T1_T2_jT3_P12ihipStream_tbPNSt15iterator_traitsISD_E10value_typeEPNSJ_ISE_E10value_typeEPSF_NS1_7vsmem_tEENKUlT_SD_SE_SF_E_clIS7_S7_S8_S8_EESC_SS_SD_SE_SF_EUlSS_E_NS1_11comp_targetILNS1_3genE0ELNS1_11target_archE4294967295ELNS1_3gpuE0ELNS1_3repE0EEENS1_48merge_mergepath_partition_config_static_selectorELNS0_4arch9wavefront6targetE1EEEvSE_,comdat
.Lfunc_end462:
	.size	_ZN7rocprim17ROCPRIM_400000_NS6detail17trampoline_kernelINS0_14default_configENS1_38merge_sort_block_merge_config_selectorIjyEEZZNS1_27merge_sort_block_merge_implIS3_PjPyjNS1_19radix_merge_compareILb0ELb0EjNS0_19identity_decomposerEEEEE10hipError_tT0_T1_T2_jT3_P12ihipStream_tbPNSt15iterator_traitsISD_E10value_typeEPNSJ_ISE_E10value_typeEPSF_NS1_7vsmem_tEENKUlT_SD_SE_SF_E_clIS7_S7_S8_S8_EESC_SS_SD_SE_SF_EUlSS_E_NS1_11comp_targetILNS1_3genE0ELNS1_11target_archE4294967295ELNS1_3gpuE0ELNS1_3repE0EEENS1_48merge_mergepath_partition_config_static_selectorELNS0_4arch9wavefront6targetE1EEEvSE_, .Lfunc_end462-_ZN7rocprim17ROCPRIM_400000_NS6detail17trampoline_kernelINS0_14default_configENS1_38merge_sort_block_merge_config_selectorIjyEEZZNS1_27merge_sort_block_merge_implIS3_PjPyjNS1_19radix_merge_compareILb0ELb0EjNS0_19identity_decomposerEEEEE10hipError_tT0_T1_T2_jT3_P12ihipStream_tbPNSt15iterator_traitsISD_E10value_typeEPNSJ_ISE_E10value_typeEPSF_NS1_7vsmem_tEENKUlT_SD_SE_SF_E_clIS7_S7_S8_S8_EESC_SS_SD_SE_SF_EUlSS_E_NS1_11comp_targetILNS1_3genE0ELNS1_11target_archE4294967295ELNS1_3gpuE0ELNS1_3repE0EEENS1_48merge_mergepath_partition_config_static_selectorELNS0_4arch9wavefront6targetE1EEEvSE_
                                        ; -- End function
	.section	.AMDGPU.csdata,"",@progbits
; Kernel info:
; codeLenInByte = 0
; NumSgprs: 4
; NumVgprs: 0
; NumAgprs: 0
; TotalNumVgprs: 0
; ScratchSize: 0
; MemoryBound: 0
; FloatMode: 240
; IeeeMode: 1
; LDSByteSize: 0 bytes/workgroup (compile time only)
; SGPRBlocks: 0
; VGPRBlocks: 0
; NumSGPRsForWavesPerEU: 4
; NumVGPRsForWavesPerEU: 1
; AccumOffset: 4
; Occupancy: 8
; WaveLimiterHint : 0
; COMPUTE_PGM_RSRC2:SCRATCH_EN: 0
; COMPUTE_PGM_RSRC2:USER_SGPR: 6
; COMPUTE_PGM_RSRC2:TRAP_HANDLER: 0
; COMPUTE_PGM_RSRC2:TGID_X_EN: 1
; COMPUTE_PGM_RSRC2:TGID_Y_EN: 0
; COMPUTE_PGM_RSRC2:TGID_Z_EN: 0
; COMPUTE_PGM_RSRC2:TIDIG_COMP_CNT: 0
; COMPUTE_PGM_RSRC3_GFX90A:ACCUM_OFFSET: 0
; COMPUTE_PGM_RSRC3_GFX90A:TG_SPLIT: 0
	.section	.text._ZN7rocprim17ROCPRIM_400000_NS6detail17trampoline_kernelINS0_14default_configENS1_38merge_sort_block_merge_config_selectorIjyEEZZNS1_27merge_sort_block_merge_implIS3_PjPyjNS1_19radix_merge_compareILb0ELb0EjNS0_19identity_decomposerEEEEE10hipError_tT0_T1_T2_jT3_P12ihipStream_tbPNSt15iterator_traitsISD_E10value_typeEPNSJ_ISE_E10value_typeEPSF_NS1_7vsmem_tEENKUlT_SD_SE_SF_E_clIS7_S7_S8_S8_EESC_SS_SD_SE_SF_EUlSS_E_NS1_11comp_targetILNS1_3genE10ELNS1_11target_archE1201ELNS1_3gpuE5ELNS1_3repE0EEENS1_48merge_mergepath_partition_config_static_selectorELNS0_4arch9wavefront6targetE1EEEvSE_,"axG",@progbits,_ZN7rocprim17ROCPRIM_400000_NS6detail17trampoline_kernelINS0_14default_configENS1_38merge_sort_block_merge_config_selectorIjyEEZZNS1_27merge_sort_block_merge_implIS3_PjPyjNS1_19radix_merge_compareILb0ELb0EjNS0_19identity_decomposerEEEEE10hipError_tT0_T1_T2_jT3_P12ihipStream_tbPNSt15iterator_traitsISD_E10value_typeEPNSJ_ISE_E10value_typeEPSF_NS1_7vsmem_tEENKUlT_SD_SE_SF_E_clIS7_S7_S8_S8_EESC_SS_SD_SE_SF_EUlSS_E_NS1_11comp_targetILNS1_3genE10ELNS1_11target_archE1201ELNS1_3gpuE5ELNS1_3repE0EEENS1_48merge_mergepath_partition_config_static_selectorELNS0_4arch9wavefront6targetE1EEEvSE_,comdat
	.protected	_ZN7rocprim17ROCPRIM_400000_NS6detail17trampoline_kernelINS0_14default_configENS1_38merge_sort_block_merge_config_selectorIjyEEZZNS1_27merge_sort_block_merge_implIS3_PjPyjNS1_19radix_merge_compareILb0ELb0EjNS0_19identity_decomposerEEEEE10hipError_tT0_T1_T2_jT3_P12ihipStream_tbPNSt15iterator_traitsISD_E10value_typeEPNSJ_ISE_E10value_typeEPSF_NS1_7vsmem_tEENKUlT_SD_SE_SF_E_clIS7_S7_S8_S8_EESC_SS_SD_SE_SF_EUlSS_E_NS1_11comp_targetILNS1_3genE10ELNS1_11target_archE1201ELNS1_3gpuE5ELNS1_3repE0EEENS1_48merge_mergepath_partition_config_static_selectorELNS0_4arch9wavefront6targetE1EEEvSE_ ; -- Begin function _ZN7rocprim17ROCPRIM_400000_NS6detail17trampoline_kernelINS0_14default_configENS1_38merge_sort_block_merge_config_selectorIjyEEZZNS1_27merge_sort_block_merge_implIS3_PjPyjNS1_19radix_merge_compareILb0ELb0EjNS0_19identity_decomposerEEEEE10hipError_tT0_T1_T2_jT3_P12ihipStream_tbPNSt15iterator_traitsISD_E10value_typeEPNSJ_ISE_E10value_typeEPSF_NS1_7vsmem_tEENKUlT_SD_SE_SF_E_clIS7_S7_S8_S8_EESC_SS_SD_SE_SF_EUlSS_E_NS1_11comp_targetILNS1_3genE10ELNS1_11target_archE1201ELNS1_3gpuE5ELNS1_3repE0EEENS1_48merge_mergepath_partition_config_static_selectorELNS0_4arch9wavefront6targetE1EEEvSE_
	.globl	_ZN7rocprim17ROCPRIM_400000_NS6detail17trampoline_kernelINS0_14default_configENS1_38merge_sort_block_merge_config_selectorIjyEEZZNS1_27merge_sort_block_merge_implIS3_PjPyjNS1_19radix_merge_compareILb0ELb0EjNS0_19identity_decomposerEEEEE10hipError_tT0_T1_T2_jT3_P12ihipStream_tbPNSt15iterator_traitsISD_E10value_typeEPNSJ_ISE_E10value_typeEPSF_NS1_7vsmem_tEENKUlT_SD_SE_SF_E_clIS7_S7_S8_S8_EESC_SS_SD_SE_SF_EUlSS_E_NS1_11comp_targetILNS1_3genE10ELNS1_11target_archE1201ELNS1_3gpuE5ELNS1_3repE0EEENS1_48merge_mergepath_partition_config_static_selectorELNS0_4arch9wavefront6targetE1EEEvSE_
	.p2align	8
	.type	_ZN7rocprim17ROCPRIM_400000_NS6detail17trampoline_kernelINS0_14default_configENS1_38merge_sort_block_merge_config_selectorIjyEEZZNS1_27merge_sort_block_merge_implIS3_PjPyjNS1_19radix_merge_compareILb0ELb0EjNS0_19identity_decomposerEEEEE10hipError_tT0_T1_T2_jT3_P12ihipStream_tbPNSt15iterator_traitsISD_E10value_typeEPNSJ_ISE_E10value_typeEPSF_NS1_7vsmem_tEENKUlT_SD_SE_SF_E_clIS7_S7_S8_S8_EESC_SS_SD_SE_SF_EUlSS_E_NS1_11comp_targetILNS1_3genE10ELNS1_11target_archE1201ELNS1_3gpuE5ELNS1_3repE0EEENS1_48merge_mergepath_partition_config_static_selectorELNS0_4arch9wavefront6targetE1EEEvSE_,@function
_ZN7rocprim17ROCPRIM_400000_NS6detail17trampoline_kernelINS0_14default_configENS1_38merge_sort_block_merge_config_selectorIjyEEZZNS1_27merge_sort_block_merge_implIS3_PjPyjNS1_19radix_merge_compareILb0ELb0EjNS0_19identity_decomposerEEEEE10hipError_tT0_T1_T2_jT3_P12ihipStream_tbPNSt15iterator_traitsISD_E10value_typeEPNSJ_ISE_E10value_typeEPSF_NS1_7vsmem_tEENKUlT_SD_SE_SF_E_clIS7_S7_S8_S8_EESC_SS_SD_SE_SF_EUlSS_E_NS1_11comp_targetILNS1_3genE10ELNS1_11target_archE1201ELNS1_3gpuE5ELNS1_3repE0EEENS1_48merge_mergepath_partition_config_static_selectorELNS0_4arch9wavefront6targetE1EEEvSE_: ; @_ZN7rocprim17ROCPRIM_400000_NS6detail17trampoline_kernelINS0_14default_configENS1_38merge_sort_block_merge_config_selectorIjyEEZZNS1_27merge_sort_block_merge_implIS3_PjPyjNS1_19radix_merge_compareILb0ELb0EjNS0_19identity_decomposerEEEEE10hipError_tT0_T1_T2_jT3_P12ihipStream_tbPNSt15iterator_traitsISD_E10value_typeEPNSJ_ISE_E10value_typeEPSF_NS1_7vsmem_tEENKUlT_SD_SE_SF_E_clIS7_S7_S8_S8_EESC_SS_SD_SE_SF_EUlSS_E_NS1_11comp_targetILNS1_3genE10ELNS1_11target_archE1201ELNS1_3gpuE5ELNS1_3repE0EEENS1_48merge_mergepath_partition_config_static_selectorELNS0_4arch9wavefront6targetE1EEEvSE_
; %bb.0:
	.section	.rodata,"a",@progbits
	.p2align	6, 0x0
	.amdhsa_kernel _ZN7rocprim17ROCPRIM_400000_NS6detail17trampoline_kernelINS0_14default_configENS1_38merge_sort_block_merge_config_selectorIjyEEZZNS1_27merge_sort_block_merge_implIS3_PjPyjNS1_19radix_merge_compareILb0ELb0EjNS0_19identity_decomposerEEEEE10hipError_tT0_T1_T2_jT3_P12ihipStream_tbPNSt15iterator_traitsISD_E10value_typeEPNSJ_ISE_E10value_typeEPSF_NS1_7vsmem_tEENKUlT_SD_SE_SF_E_clIS7_S7_S8_S8_EESC_SS_SD_SE_SF_EUlSS_E_NS1_11comp_targetILNS1_3genE10ELNS1_11target_archE1201ELNS1_3gpuE5ELNS1_3repE0EEENS1_48merge_mergepath_partition_config_static_selectorELNS0_4arch9wavefront6targetE1EEEvSE_
		.amdhsa_group_segment_fixed_size 0
		.amdhsa_private_segment_fixed_size 0
		.amdhsa_kernarg_size 40
		.amdhsa_user_sgpr_count 6
		.amdhsa_user_sgpr_private_segment_buffer 1
		.amdhsa_user_sgpr_dispatch_ptr 0
		.amdhsa_user_sgpr_queue_ptr 0
		.amdhsa_user_sgpr_kernarg_segment_ptr 1
		.amdhsa_user_sgpr_dispatch_id 0
		.amdhsa_user_sgpr_flat_scratch_init 0
		.amdhsa_user_sgpr_kernarg_preload_length 0
		.amdhsa_user_sgpr_kernarg_preload_offset 0
		.amdhsa_user_sgpr_private_segment_size 0
		.amdhsa_uses_dynamic_stack 0
		.amdhsa_system_sgpr_private_segment_wavefront_offset 0
		.amdhsa_system_sgpr_workgroup_id_x 1
		.amdhsa_system_sgpr_workgroup_id_y 0
		.amdhsa_system_sgpr_workgroup_id_z 0
		.amdhsa_system_sgpr_workgroup_info 0
		.amdhsa_system_vgpr_workitem_id 0
		.amdhsa_next_free_vgpr 1
		.amdhsa_next_free_sgpr 0
		.amdhsa_accum_offset 4
		.amdhsa_reserve_vcc 0
		.amdhsa_reserve_flat_scratch 0
		.amdhsa_float_round_mode_32 0
		.amdhsa_float_round_mode_16_64 0
		.amdhsa_float_denorm_mode_32 3
		.amdhsa_float_denorm_mode_16_64 3
		.amdhsa_dx10_clamp 1
		.amdhsa_ieee_mode 1
		.amdhsa_fp16_overflow 0
		.amdhsa_tg_split 0
		.amdhsa_exception_fp_ieee_invalid_op 0
		.amdhsa_exception_fp_denorm_src 0
		.amdhsa_exception_fp_ieee_div_zero 0
		.amdhsa_exception_fp_ieee_overflow 0
		.amdhsa_exception_fp_ieee_underflow 0
		.amdhsa_exception_fp_ieee_inexact 0
		.amdhsa_exception_int_div_zero 0
	.end_amdhsa_kernel
	.section	.text._ZN7rocprim17ROCPRIM_400000_NS6detail17trampoline_kernelINS0_14default_configENS1_38merge_sort_block_merge_config_selectorIjyEEZZNS1_27merge_sort_block_merge_implIS3_PjPyjNS1_19radix_merge_compareILb0ELb0EjNS0_19identity_decomposerEEEEE10hipError_tT0_T1_T2_jT3_P12ihipStream_tbPNSt15iterator_traitsISD_E10value_typeEPNSJ_ISE_E10value_typeEPSF_NS1_7vsmem_tEENKUlT_SD_SE_SF_E_clIS7_S7_S8_S8_EESC_SS_SD_SE_SF_EUlSS_E_NS1_11comp_targetILNS1_3genE10ELNS1_11target_archE1201ELNS1_3gpuE5ELNS1_3repE0EEENS1_48merge_mergepath_partition_config_static_selectorELNS0_4arch9wavefront6targetE1EEEvSE_,"axG",@progbits,_ZN7rocprim17ROCPRIM_400000_NS6detail17trampoline_kernelINS0_14default_configENS1_38merge_sort_block_merge_config_selectorIjyEEZZNS1_27merge_sort_block_merge_implIS3_PjPyjNS1_19radix_merge_compareILb0ELb0EjNS0_19identity_decomposerEEEEE10hipError_tT0_T1_T2_jT3_P12ihipStream_tbPNSt15iterator_traitsISD_E10value_typeEPNSJ_ISE_E10value_typeEPSF_NS1_7vsmem_tEENKUlT_SD_SE_SF_E_clIS7_S7_S8_S8_EESC_SS_SD_SE_SF_EUlSS_E_NS1_11comp_targetILNS1_3genE10ELNS1_11target_archE1201ELNS1_3gpuE5ELNS1_3repE0EEENS1_48merge_mergepath_partition_config_static_selectorELNS0_4arch9wavefront6targetE1EEEvSE_,comdat
.Lfunc_end463:
	.size	_ZN7rocprim17ROCPRIM_400000_NS6detail17trampoline_kernelINS0_14default_configENS1_38merge_sort_block_merge_config_selectorIjyEEZZNS1_27merge_sort_block_merge_implIS3_PjPyjNS1_19radix_merge_compareILb0ELb0EjNS0_19identity_decomposerEEEEE10hipError_tT0_T1_T2_jT3_P12ihipStream_tbPNSt15iterator_traitsISD_E10value_typeEPNSJ_ISE_E10value_typeEPSF_NS1_7vsmem_tEENKUlT_SD_SE_SF_E_clIS7_S7_S8_S8_EESC_SS_SD_SE_SF_EUlSS_E_NS1_11comp_targetILNS1_3genE10ELNS1_11target_archE1201ELNS1_3gpuE5ELNS1_3repE0EEENS1_48merge_mergepath_partition_config_static_selectorELNS0_4arch9wavefront6targetE1EEEvSE_, .Lfunc_end463-_ZN7rocprim17ROCPRIM_400000_NS6detail17trampoline_kernelINS0_14default_configENS1_38merge_sort_block_merge_config_selectorIjyEEZZNS1_27merge_sort_block_merge_implIS3_PjPyjNS1_19radix_merge_compareILb0ELb0EjNS0_19identity_decomposerEEEEE10hipError_tT0_T1_T2_jT3_P12ihipStream_tbPNSt15iterator_traitsISD_E10value_typeEPNSJ_ISE_E10value_typeEPSF_NS1_7vsmem_tEENKUlT_SD_SE_SF_E_clIS7_S7_S8_S8_EESC_SS_SD_SE_SF_EUlSS_E_NS1_11comp_targetILNS1_3genE10ELNS1_11target_archE1201ELNS1_3gpuE5ELNS1_3repE0EEENS1_48merge_mergepath_partition_config_static_selectorELNS0_4arch9wavefront6targetE1EEEvSE_
                                        ; -- End function
	.section	.AMDGPU.csdata,"",@progbits
; Kernel info:
; codeLenInByte = 0
; NumSgprs: 4
; NumVgprs: 0
; NumAgprs: 0
; TotalNumVgprs: 0
; ScratchSize: 0
; MemoryBound: 0
; FloatMode: 240
; IeeeMode: 1
; LDSByteSize: 0 bytes/workgroup (compile time only)
; SGPRBlocks: 0
; VGPRBlocks: 0
; NumSGPRsForWavesPerEU: 4
; NumVGPRsForWavesPerEU: 1
; AccumOffset: 4
; Occupancy: 8
; WaveLimiterHint : 0
; COMPUTE_PGM_RSRC2:SCRATCH_EN: 0
; COMPUTE_PGM_RSRC2:USER_SGPR: 6
; COMPUTE_PGM_RSRC2:TRAP_HANDLER: 0
; COMPUTE_PGM_RSRC2:TGID_X_EN: 1
; COMPUTE_PGM_RSRC2:TGID_Y_EN: 0
; COMPUTE_PGM_RSRC2:TGID_Z_EN: 0
; COMPUTE_PGM_RSRC2:TIDIG_COMP_CNT: 0
; COMPUTE_PGM_RSRC3_GFX90A:ACCUM_OFFSET: 0
; COMPUTE_PGM_RSRC3_GFX90A:TG_SPLIT: 0
	.section	.text._ZN7rocprim17ROCPRIM_400000_NS6detail17trampoline_kernelINS0_14default_configENS1_38merge_sort_block_merge_config_selectorIjyEEZZNS1_27merge_sort_block_merge_implIS3_PjPyjNS1_19radix_merge_compareILb0ELb0EjNS0_19identity_decomposerEEEEE10hipError_tT0_T1_T2_jT3_P12ihipStream_tbPNSt15iterator_traitsISD_E10value_typeEPNSJ_ISE_E10value_typeEPSF_NS1_7vsmem_tEENKUlT_SD_SE_SF_E_clIS7_S7_S8_S8_EESC_SS_SD_SE_SF_EUlSS_E_NS1_11comp_targetILNS1_3genE5ELNS1_11target_archE942ELNS1_3gpuE9ELNS1_3repE0EEENS1_48merge_mergepath_partition_config_static_selectorELNS0_4arch9wavefront6targetE1EEEvSE_,"axG",@progbits,_ZN7rocprim17ROCPRIM_400000_NS6detail17trampoline_kernelINS0_14default_configENS1_38merge_sort_block_merge_config_selectorIjyEEZZNS1_27merge_sort_block_merge_implIS3_PjPyjNS1_19radix_merge_compareILb0ELb0EjNS0_19identity_decomposerEEEEE10hipError_tT0_T1_T2_jT3_P12ihipStream_tbPNSt15iterator_traitsISD_E10value_typeEPNSJ_ISE_E10value_typeEPSF_NS1_7vsmem_tEENKUlT_SD_SE_SF_E_clIS7_S7_S8_S8_EESC_SS_SD_SE_SF_EUlSS_E_NS1_11comp_targetILNS1_3genE5ELNS1_11target_archE942ELNS1_3gpuE9ELNS1_3repE0EEENS1_48merge_mergepath_partition_config_static_selectorELNS0_4arch9wavefront6targetE1EEEvSE_,comdat
	.protected	_ZN7rocprim17ROCPRIM_400000_NS6detail17trampoline_kernelINS0_14default_configENS1_38merge_sort_block_merge_config_selectorIjyEEZZNS1_27merge_sort_block_merge_implIS3_PjPyjNS1_19radix_merge_compareILb0ELb0EjNS0_19identity_decomposerEEEEE10hipError_tT0_T1_T2_jT3_P12ihipStream_tbPNSt15iterator_traitsISD_E10value_typeEPNSJ_ISE_E10value_typeEPSF_NS1_7vsmem_tEENKUlT_SD_SE_SF_E_clIS7_S7_S8_S8_EESC_SS_SD_SE_SF_EUlSS_E_NS1_11comp_targetILNS1_3genE5ELNS1_11target_archE942ELNS1_3gpuE9ELNS1_3repE0EEENS1_48merge_mergepath_partition_config_static_selectorELNS0_4arch9wavefront6targetE1EEEvSE_ ; -- Begin function _ZN7rocprim17ROCPRIM_400000_NS6detail17trampoline_kernelINS0_14default_configENS1_38merge_sort_block_merge_config_selectorIjyEEZZNS1_27merge_sort_block_merge_implIS3_PjPyjNS1_19radix_merge_compareILb0ELb0EjNS0_19identity_decomposerEEEEE10hipError_tT0_T1_T2_jT3_P12ihipStream_tbPNSt15iterator_traitsISD_E10value_typeEPNSJ_ISE_E10value_typeEPSF_NS1_7vsmem_tEENKUlT_SD_SE_SF_E_clIS7_S7_S8_S8_EESC_SS_SD_SE_SF_EUlSS_E_NS1_11comp_targetILNS1_3genE5ELNS1_11target_archE942ELNS1_3gpuE9ELNS1_3repE0EEENS1_48merge_mergepath_partition_config_static_selectorELNS0_4arch9wavefront6targetE1EEEvSE_
	.globl	_ZN7rocprim17ROCPRIM_400000_NS6detail17trampoline_kernelINS0_14default_configENS1_38merge_sort_block_merge_config_selectorIjyEEZZNS1_27merge_sort_block_merge_implIS3_PjPyjNS1_19radix_merge_compareILb0ELb0EjNS0_19identity_decomposerEEEEE10hipError_tT0_T1_T2_jT3_P12ihipStream_tbPNSt15iterator_traitsISD_E10value_typeEPNSJ_ISE_E10value_typeEPSF_NS1_7vsmem_tEENKUlT_SD_SE_SF_E_clIS7_S7_S8_S8_EESC_SS_SD_SE_SF_EUlSS_E_NS1_11comp_targetILNS1_3genE5ELNS1_11target_archE942ELNS1_3gpuE9ELNS1_3repE0EEENS1_48merge_mergepath_partition_config_static_selectorELNS0_4arch9wavefront6targetE1EEEvSE_
	.p2align	8
	.type	_ZN7rocprim17ROCPRIM_400000_NS6detail17trampoline_kernelINS0_14default_configENS1_38merge_sort_block_merge_config_selectorIjyEEZZNS1_27merge_sort_block_merge_implIS3_PjPyjNS1_19radix_merge_compareILb0ELb0EjNS0_19identity_decomposerEEEEE10hipError_tT0_T1_T2_jT3_P12ihipStream_tbPNSt15iterator_traitsISD_E10value_typeEPNSJ_ISE_E10value_typeEPSF_NS1_7vsmem_tEENKUlT_SD_SE_SF_E_clIS7_S7_S8_S8_EESC_SS_SD_SE_SF_EUlSS_E_NS1_11comp_targetILNS1_3genE5ELNS1_11target_archE942ELNS1_3gpuE9ELNS1_3repE0EEENS1_48merge_mergepath_partition_config_static_selectorELNS0_4arch9wavefront6targetE1EEEvSE_,@function
_ZN7rocprim17ROCPRIM_400000_NS6detail17trampoline_kernelINS0_14default_configENS1_38merge_sort_block_merge_config_selectorIjyEEZZNS1_27merge_sort_block_merge_implIS3_PjPyjNS1_19radix_merge_compareILb0ELb0EjNS0_19identity_decomposerEEEEE10hipError_tT0_T1_T2_jT3_P12ihipStream_tbPNSt15iterator_traitsISD_E10value_typeEPNSJ_ISE_E10value_typeEPSF_NS1_7vsmem_tEENKUlT_SD_SE_SF_E_clIS7_S7_S8_S8_EESC_SS_SD_SE_SF_EUlSS_E_NS1_11comp_targetILNS1_3genE5ELNS1_11target_archE942ELNS1_3gpuE9ELNS1_3repE0EEENS1_48merge_mergepath_partition_config_static_selectorELNS0_4arch9wavefront6targetE1EEEvSE_: ; @_ZN7rocprim17ROCPRIM_400000_NS6detail17trampoline_kernelINS0_14default_configENS1_38merge_sort_block_merge_config_selectorIjyEEZZNS1_27merge_sort_block_merge_implIS3_PjPyjNS1_19radix_merge_compareILb0ELb0EjNS0_19identity_decomposerEEEEE10hipError_tT0_T1_T2_jT3_P12ihipStream_tbPNSt15iterator_traitsISD_E10value_typeEPNSJ_ISE_E10value_typeEPSF_NS1_7vsmem_tEENKUlT_SD_SE_SF_E_clIS7_S7_S8_S8_EESC_SS_SD_SE_SF_EUlSS_E_NS1_11comp_targetILNS1_3genE5ELNS1_11target_archE942ELNS1_3gpuE9ELNS1_3repE0EEENS1_48merge_mergepath_partition_config_static_selectorELNS0_4arch9wavefront6targetE1EEEvSE_
; %bb.0:
	.section	.rodata,"a",@progbits
	.p2align	6, 0x0
	.amdhsa_kernel _ZN7rocprim17ROCPRIM_400000_NS6detail17trampoline_kernelINS0_14default_configENS1_38merge_sort_block_merge_config_selectorIjyEEZZNS1_27merge_sort_block_merge_implIS3_PjPyjNS1_19radix_merge_compareILb0ELb0EjNS0_19identity_decomposerEEEEE10hipError_tT0_T1_T2_jT3_P12ihipStream_tbPNSt15iterator_traitsISD_E10value_typeEPNSJ_ISE_E10value_typeEPSF_NS1_7vsmem_tEENKUlT_SD_SE_SF_E_clIS7_S7_S8_S8_EESC_SS_SD_SE_SF_EUlSS_E_NS1_11comp_targetILNS1_3genE5ELNS1_11target_archE942ELNS1_3gpuE9ELNS1_3repE0EEENS1_48merge_mergepath_partition_config_static_selectorELNS0_4arch9wavefront6targetE1EEEvSE_
		.amdhsa_group_segment_fixed_size 0
		.amdhsa_private_segment_fixed_size 0
		.amdhsa_kernarg_size 40
		.amdhsa_user_sgpr_count 6
		.amdhsa_user_sgpr_private_segment_buffer 1
		.amdhsa_user_sgpr_dispatch_ptr 0
		.amdhsa_user_sgpr_queue_ptr 0
		.amdhsa_user_sgpr_kernarg_segment_ptr 1
		.amdhsa_user_sgpr_dispatch_id 0
		.amdhsa_user_sgpr_flat_scratch_init 0
		.amdhsa_user_sgpr_kernarg_preload_length 0
		.amdhsa_user_sgpr_kernarg_preload_offset 0
		.amdhsa_user_sgpr_private_segment_size 0
		.amdhsa_uses_dynamic_stack 0
		.amdhsa_system_sgpr_private_segment_wavefront_offset 0
		.amdhsa_system_sgpr_workgroup_id_x 1
		.amdhsa_system_sgpr_workgroup_id_y 0
		.amdhsa_system_sgpr_workgroup_id_z 0
		.amdhsa_system_sgpr_workgroup_info 0
		.amdhsa_system_vgpr_workitem_id 0
		.amdhsa_next_free_vgpr 1
		.amdhsa_next_free_sgpr 0
		.amdhsa_accum_offset 4
		.amdhsa_reserve_vcc 0
		.amdhsa_reserve_flat_scratch 0
		.amdhsa_float_round_mode_32 0
		.amdhsa_float_round_mode_16_64 0
		.amdhsa_float_denorm_mode_32 3
		.amdhsa_float_denorm_mode_16_64 3
		.amdhsa_dx10_clamp 1
		.amdhsa_ieee_mode 1
		.amdhsa_fp16_overflow 0
		.amdhsa_tg_split 0
		.amdhsa_exception_fp_ieee_invalid_op 0
		.amdhsa_exception_fp_denorm_src 0
		.amdhsa_exception_fp_ieee_div_zero 0
		.amdhsa_exception_fp_ieee_overflow 0
		.amdhsa_exception_fp_ieee_underflow 0
		.amdhsa_exception_fp_ieee_inexact 0
		.amdhsa_exception_int_div_zero 0
	.end_amdhsa_kernel
	.section	.text._ZN7rocprim17ROCPRIM_400000_NS6detail17trampoline_kernelINS0_14default_configENS1_38merge_sort_block_merge_config_selectorIjyEEZZNS1_27merge_sort_block_merge_implIS3_PjPyjNS1_19radix_merge_compareILb0ELb0EjNS0_19identity_decomposerEEEEE10hipError_tT0_T1_T2_jT3_P12ihipStream_tbPNSt15iterator_traitsISD_E10value_typeEPNSJ_ISE_E10value_typeEPSF_NS1_7vsmem_tEENKUlT_SD_SE_SF_E_clIS7_S7_S8_S8_EESC_SS_SD_SE_SF_EUlSS_E_NS1_11comp_targetILNS1_3genE5ELNS1_11target_archE942ELNS1_3gpuE9ELNS1_3repE0EEENS1_48merge_mergepath_partition_config_static_selectorELNS0_4arch9wavefront6targetE1EEEvSE_,"axG",@progbits,_ZN7rocprim17ROCPRIM_400000_NS6detail17trampoline_kernelINS0_14default_configENS1_38merge_sort_block_merge_config_selectorIjyEEZZNS1_27merge_sort_block_merge_implIS3_PjPyjNS1_19radix_merge_compareILb0ELb0EjNS0_19identity_decomposerEEEEE10hipError_tT0_T1_T2_jT3_P12ihipStream_tbPNSt15iterator_traitsISD_E10value_typeEPNSJ_ISE_E10value_typeEPSF_NS1_7vsmem_tEENKUlT_SD_SE_SF_E_clIS7_S7_S8_S8_EESC_SS_SD_SE_SF_EUlSS_E_NS1_11comp_targetILNS1_3genE5ELNS1_11target_archE942ELNS1_3gpuE9ELNS1_3repE0EEENS1_48merge_mergepath_partition_config_static_selectorELNS0_4arch9wavefront6targetE1EEEvSE_,comdat
.Lfunc_end464:
	.size	_ZN7rocprim17ROCPRIM_400000_NS6detail17trampoline_kernelINS0_14default_configENS1_38merge_sort_block_merge_config_selectorIjyEEZZNS1_27merge_sort_block_merge_implIS3_PjPyjNS1_19radix_merge_compareILb0ELb0EjNS0_19identity_decomposerEEEEE10hipError_tT0_T1_T2_jT3_P12ihipStream_tbPNSt15iterator_traitsISD_E10value_typeEPNSJ_ISE_E10value_typeEPSF_NS1_7vsmem_tEENKUlT_SD_SE_SF_E_clIS7_S7_S8_S8_EESC_SS_SD_SE_SF_EUlSS_E_NS1_11comp_targetILNS1_3genE5ELNS1_11target_archE942ELNS1_3gpuE9ELNS1_3repE0EEENS1_48merge_mergepath_partition_config_static_selectorELNS0_4arch9wavefront6targetE1EEEvSE_, .Lfunc_end464-_ZN7rocprim17ROCPRIM_400000_NS6detail17trampoline_kernelINS0_14default_configENS1_38merge_sort_block_merge_config_selectorIjyEEZZNS1_27merge_sort_block_merge_implIS3_PjPyjNS1_19radix_merge_compareILb0ELb0EjNS0_19identity_decomposerEEEEE10hipError_tT0_T1_T2_jT3_P12ihipStream_tbPNSt15iterator_traitsISD_E10value_typeEPNSJ_ISE_E10value_typeEPSF_NS1_7vsmem_tEENKUlT_SD_SE_SF_E_clIS7_S7_S8_S8_EESC_SS_SD_SE_SF_EUlSS_E_NS1_11comp_targetILNS1_3genE5ELNS1_11target_archE942ELNS1_3gpuE9ELNS1_3repE0EEENS1_48merge_mergepath_partition_config_static_selectorELNS0_4arch9wavefront6targetE1EEEvSE_
                                        ; -- End function
	.section	.AMDGPU.csdata,"",@progbits
; Kernel info:
; codeLenInByte = 0
; NumSgprs: 4
; NumVgprs: 0
; NumAgprs: 0
; TotalNumVgprs: 0
; ScratchSize: 0
; MemoryBound: 0
; FloatMode: 240
; IeeeMode: 1
; LDSByteSize: 0 bytes/workgroup (compile time only)
; SGPRBlocks: 0
; VGPRBlocks: 0
; NumSGPRsForWavesPerEU: 4
; NumVGPRsForWavesPerEU: 1
; AccumOffset: 4
; Occupancy: 8
; WaveLimiterHint : 0
; COMPUTE_PGM_RSRC2:SCRATCH_EN: 0
; COMPUTE_PGM_RSRC2:USER_SGPR: 6
; COMPUTE_PGM_RSRC2:TRAP_HANDLER: 0
; COMPUTE_PGM_RSRC2:TGID_X_EN: 1
; COMPUTE_PGM_RSRC2:TGID_Y_EN: 0
; COMPUTE_PGM_RSRC2:TGID_Z_EN: 0
; COMPUTE_PGM_RSRC2:TIDIG_COMP_CNT: 0
; COMPUTE_PGM_RSRC3_GFX90A:ACCUM_OFFSET: 0
; COMPUTE_PGM_RSRC3_GFX90A:TG_SPLIT: 0
	.section	.text._ZN7rocprim17ROCPRIM_400000_NS6detail17trampoline_kernelINS0_14default_configENS1_38merge_sort_block_merge_config_selectorIjyEEZZNS1_27merge_sort_block_merge_implIS3_PjPyjNS1_19radix_merge_compareILb0ELb0EjNS0_19identity_decomposerEEEEE10hipError_tT0_T1_T2_jT3_P12ihipStream_tbPNSt15iterator_traitsISD_E10value_typeEPNSJ_ISE_E10value_typeEPSF_NS1_7vsmem_tEENKUlT_SD_SE_SF_E_clIS7_S7_S8_S8_EESC_SS_SD_SE_SF_EUlSS_E_NS1_11comp_targetILNS1_3genE4ELNS1_11target_archE910ELNS1_3gpuE8ELNS1_3repE0EEENS1_48merge_mergepath_partition_config_static_selectorELNS0_4arch9wavefront6targetE1EEEvSE_,"axG",@progbits,_ZN7rocprim17ROCPRIM_400000_NS6detail17trampoline_kernelINS0_14default_configENS1_38merge_sort_block_merge_config_selectorIjyEEZZNS1_27merge_sort_block_merge_implIS3_PjPyjNS1_19radix_merge_compareILb0ELb0EjNS0_19identity_decomposerEEEEE10hipError_tT0_T1_T2_jT3_P12ihipStream_tbPNSt15iterator_traitsISD_E10value_typeEPNSJ_ISE_E10value_typeEPSF_NS1_7vsmem_tEENKUlT_SD_SE_SF_E_clIS7_S7_S8_S8_EESC_SS_SD_SE_SF_EUlSS_E_NS1_11comp_targetILNS1_3genE4ELNS1_11target_archE910ELNS1_3gpuE8ELNS1_3repE0EEENS1_48merge_mergepath_partition_config_static_selectorELNS0_4arch9wavefront6targetE1EEEvSE_,comdat
	.protected	_ZN7rocprim17ROCPRIM_400000_NS6detail17trampoline_kernelINS0_14default_configENS1_38merge_sort_block_merge_config_selectorIjyEEZZNS1_27merge_sort_block_merge_implIS3_PjPyjNS1_19radix_merge_compareILb0ELb0EjNS0_19identity_decomposerEEEEE10hipError_tT0_T1_T2_jT3_P12ihipStream_tbPNSt15iterator_traitsISD_E10value_typeEPNSJ_ISE_E10value_typeEPSF_NS1_7vsmem_tEENKUlT_SD_SE_SF_E_clIS7_S7_S8_S8_EESC_SS_SD_SE_SF_EUlSS_E_NS1_11comp_targetILNS1_3genE4ELNS1_11target_archE910ELNS1_3gpuE8ELNS1_3repE0EEENS1_48merge_mergepath_partition_config_static_selectorELNS0_4arch9wavefront6targetE1EEEvSE_ ; -- Begin function _ZN7rocprim17ROCPRIM_400000_NS6detail17trampoline_kernelINS0_14default_configENS1_38merge_sort_block_merge_config_selectorIjyEEZZNS1_27merge_sort_block_merge_implIS3_PjPyjNS1_19radix_merge_compareILb0ELb0EjNS0_19identity_decomposerEEEEE10hipError_tT0_T1_T2_jT3_P12ihipStream_tbPNSt15iterator_traitsISD_E10value_typeEPNSJ_ISE_E10value_typeEPSF_NS1_7vsmem_tEENKUlT_SD_SE_SF_E_clIS7_S7_S8_S8_EESC_SS_SD_SE_SF_EUlSS_E_NS1_11comp_targetILNS1_3genE4ELNS1_11target_archE910ELNS1_3gpuE8ELNS1_3repE0EEENS1_48merge_mergepath_partition_config_static_selectorELNS0_4arch9wavefront6targetE1EEEvSE_
	.globl	_ZN7rocprim17ROCPRIM_400000_NS6detail17trampoline_kernelINS0_14default_configENS1_38merge_sort_block_merge_config_selectorIjyEEZZNS1_27merge_sort_block_merge_implIS3_PjPyjNS1_19radix_merge_compareILb0ELb0EjNS0_19identity_decomposerEEEEE10hipError_tT0_T1_T2_jT3_P12ihipStream_tbPNSt15iterator_traitsISD_E10value_typeEPNSJ_ISE_E10value_typeEPSF_NS1_7vsmem_tEENKUlT_SD_SE_SF_E_clIS7_S7_S8_S8_EESC_SS_SD_SE_SF_EUlSS_E_NS1_11comp_targetILNS1_3genE4ELNS1_11target_archE910ELNS1_3gpuE8ELNS1_3repE0EEENS1_48merge_mergepath_partition_config_static_selectorELNS0_4arch9wavefront6targetE1EEEvSE_
	.p2align	8
	.type	_ZN7rocprim17ROCPRIM_400000_NS6detail17trampoline_kernelINS0_14default_configENS1_38merge_sort_block_merge_config_selectorIjyEEZZNS1_27merge_sort_block_merge_implIS3_PjPyjNS1_19radix_merge_compareILb0ELb0EjNS0_19identity_decomposerEEEEE10hipError_tT0_T1_T2_jT3_P12ihipStream_tbPNSt15iterator_traitsISD_E10value_typeEPNSJ_ISE_E10value_typeEPSF_NS1_7vsmem_tEENKUlT_SD_SE_SF_E_clIS7_S7_S8_S8_EESC_SS_SD_SE_SF_EUlSS_E_NS1_11comp_targetILNS1_3genE4ELNS1_11target_archE910ELNS1_3gpuE8ELNS1_3repE0EEENS1_48merge_mergepath_partition_config_static_selectorELNS0_4arch9wavefront6targetE1EEEvSE_,@function
_ZN7rocprim17ROCPRIM_400000_NS6detail17trampoline_kernelINS0_14default_configENS1_38merge_sort_block_merge_config_selectorIjyEEZZNS1_27merge_sort_block_merge_implIS3_PjPyjNS1_19radix_merge_compareILb0ELb0EjNS0_19identity_decomposerEEEEE10hipError_tT0_T1_T2_jT3_P12ihipStream_tbPNSt15iterator_traitsISD_E10value_typeEPNSJ_ISE_E10value_typeEPSF_NS1_7vsmem_tEENKUlT_SD_SE_SF_E_clIS7_S7_S8_S8_EESC_SS_SD_SE_SF_EUlSS_E_NS1_11comp_targetILNS1_3genE4ELNS1_11target_archE910ELNS1_3gpuE8ELNS1_3repE0EEENS1_48merge_mergepath_partition_config_static_selectorELNS0_4arch9wavefront6targetE1EEEvSE_: ; @_ZN7rocprim17ROCPRIM_400000_NS6detail17trampoline_kernelINS0_14default_configENS1_38merge_sort_block_merge_config_selectorIjyEEZZNS1_27merge_sort_block_merge_implIS3_PjPyjNS1_19radix_merge_compareILb0ELb0EjNS0_19identity_decomposerEEEEE10hipError_tT0_T1_T2_jT3_P12ihipStream_tbPNSt15iterator_traitsISD_E10value_typeEPNSJ_ISE_E10value_typeEPSF_NS1_7vsmem_tEENKUlT_SD_SE_SF_E_clIS7_S7_S8_S8_EESC_SS_SD_SE_SF_EUlSS_E_NS1_11comp_targetILNS1_3genE4ELNS1_11target_archE910ELNS1_3gpuE8ELNS1_3repE0EEENS1_48merge_mergepath_partition_config_static_selectorELNS0_4arch9wavefront6targetE1EEEvSE_
; %bb.0:
	s_load_dword s0, s[4:5], 0x0
	v_lshl_or_b32 v0, s6, 7, v0
	s_waitcnt lgkmcnt(0)
	v_cmp_gt_u32_e32 vcc, s0, v0
	s_and_saveexec_b64 s[0:1], vcc
	s_cbranch_execz .LBB465_6
; %bb.1:
	s_load_dwordx2 s[2:3], s[4:5], 0x4
	s_load_dwordx2 s[0:1], s[4:5], 0x20
	s_waitcnt lgkmcnt(0)
	s_lshr_b32 s6, s2, 9
	s_and_b32 s6, s6, 0x7ffffe
	s_add_i32 s7, s6, -1
	s_sub_i32 s6, 0, s6
	v_and_b32_e32 v1, s6, v0
	v_lshlrev_b32_e32 v1, 10, v1
	v_min_u32_e32 v2, s3, v1
	v_add_u32_e32 v1, s2, v1
	v_min_u32_e32 v4, s3, v1
	v_add_u32_e32 v1, s2, v4
	v_and_b32_e32 v3, s7, v0
	v_min_u32_e32 v1, s3, v1
	v_sub_u32_e32 v5, v1, v2
	v_lshlrev_b32_e32 v3, 10, v3
	v_min_u32_e32 v6, v5, v3
	v_sub_u32_e32 v3, v4, v2
	v_sub_u32_e32 v1, v1, v4
	v_sub_u32_e64 v1, v6, v1 clamp
	v_min_u32_e32 v7, v6, v3
	v_cmp_lt_u32_e32 vcc, v1, v7
	s_and_saveexec_b64 s[2:3], vcc
	s_cbranch_execz .LBB465_5
; %bb.2:
	s_load_dwordx2 s[4:5], s[4:5], 0x10
	v_mov_b32_e32 v5, 0
	v_mov_b32_e32 v3, v5
	v_lshlrev_b64 v[8:9], 2, v[2:3]
	v_lshlrev_b64 v[10:11], 2, v[4:5]
	s_waitcnt lgkmcnt(0)
	v_mov_b32_e32 v12, s5
	v_add_co_u32_e32 v3, vcc, s4, v8
	v_addc_co_u32_e32 v8, vcc, v12, v9, vcc
	v_add_co_u32_e32 v9, vcc, s4, v10
	v_addc_co_u32_e32 v10, vcc, v12, v11, vcc
	s_mov_b64 s[4:5], 0
.LBB465_3:                              ; =>This Inner Loop Header: Depth=1
	v_add_u32_e32 v4, v7, v1
	v_lshrrev_b32_e32 v4, 1, v4
	v_lshlrev_b64 v[14:15], 2, v[4:5]
	v_mov_b32_e32 v13, v5
	v_xad_u32 v12, v4, -1, v6
	v_add_co_u32_e32 v14, vcc, v3, v14
	v_addc_co_u32_e32 v15, vcc, v8, v15, vcc
	v_lshlrev_b64 v[12:13], 2, v[12:13]
	v_add_co_u32_e32 v12, vcc, v9, v12
	v_addc_co_u32_e32 v13, vcc, v10, v13, vcc
	global_load_dword v11, v[14:15], off
	global_load_dword v16, v[12:13], off
	v_add_u32_e32 v12, 1, v4
	s_waitcnt vmcnt(0)
	v_cmp_gt_u32_e32 vcc, v11, v16
	v_cndmask_b32_e32 v7, v7, v4, vcc
	v_cndmask_b32_e32 v1, v12, v1, vcc
	v_cmp_ge_u32_e32 vcc, v1, v7
	s_or_b64 s[4:5], vcc, s[4:5]
	s_andn2_b64 exec, exec, s[4:5]
	s_cbranch_execnz .LBB465_3
; %bb.4:
	s_or_b64 exec, exec, s[4:5]
.LBB465_5:
	s_or_b64 exec, exec, s[2:3]
	v_add_u32_e32 v2, v1, v2
	v_mov_b32_e32 v1, 0
	v_lshlrev_b64 v[0:1], 2, v[0:1]
	v_mov_b32_e32 v3, s1
	v_add_co_u32_e32 v0, vcc, s0, v0
	v_addc_co_u32_e32 v1, vcc, v3, v1, vcc
	global_store_dword v[0:1], v2, off
.LBB465_6:
	s_endpgm
	.section	.rodata,"a",@progbits
	.p2align	6, 0x0
	.amdhsa_kernel _ZN7rocprim17ROCPRIM_400000_NS6detail17trampoline_kernelINS0_14default_configENS1_38merge_sort_block_merge_config_selectorIjyEEZZNS1_27merge_sort_block_merge_implIS3_PjPyjNS1_19radix_merge_compareILb0ELb0EjNS0_19identity_decomposerEEEEE10hipError_tT0_T1_T2_jT3_P12ihipStream_tbPNSt15iterator_traitsISD_E10value_typeEPNSJ_ISE_E10value_typeEPSF_NS1_7vsmem_tEENKUlT_SD_SE_SF_E_clIS7_S7_S8_S8_EESC_SS_SD_SE_SF_EUlSS_E_NS1_11comp_targetILNS1_3genE4ELNS1_11target_archE910ELNS1_3gpuE8ELNS1_3repE0EEENS1_48merge_mergepath_partition_config_static_selectorELNS0_4arch9wavefront6targetE1EEEvSE_
		.amdhsa_group_segment_fixed_size 0
		.amdhsa_private_segment_fixed_size 0
		.amdhsa_kernarg_size 40
		.amdhsa_user_sgpr_count 6
		.amdhsa_user_sgpr_private_segment_buffer 1
		.amdhsa_user_sgpr_dispatch_ptr 0
		.amdhsa_user_sgpr_queue_ptr 0
		.amdhsa_user_sgpr_kernarg_segment_ptr 1
		.amdhsa_user_sgpr_dispatch_id 0
		.amdhsa_user_sgpr_flat_scratch_init 0
		.amdhsa_user_sgpr_kernarg_preload_length 0
		.amdhsa_user_sgpr_kernarg_preload_offset 0
		.amdhsa_user_sgpr_private_segment_size 0
		.amdhsa_uses_dynamic_stack 0
		.amdhsa_system_sgpr_private_segment_wavefront_offset 0
		.amdhsa_system_sgpr_workgroup_id_x 1
		.amdhsa_system_sgpr_workgroup_id_y 0
		.amdhsa_system_sgpr_workgroup_id_z 0
		.amdhsa_system_sgpr_workgroup_info 0
		.amdhsa_system_vgpr_workitem_id 0
		.amdhsa_next_free_vgpr 17
		.amdhsa_next_free_sgpr 8
		.amdhsa_accum_offset 20
		.amdhsa_reserve_vcc 1
		.amdhsa_reserve_flat_scratch 0
		.amdhsa_float_round_mode_32 0
		.amdhsa_float_round_mode_16_64 0
		.amdhsa_float_denorm_mode_32 3
		.amdhsa_float_denorm_mode_16_64 3
		.amdhsa_dx10_clamp 1
		.amdhsa_ieee_mode 1
		.amdhsa_fp16_overflow 0
		.amdhsa_tg_split 0
		.amdhsa_exception_fp_ieee_invalid_op 0
		.amdhsa_exception_fp_denorm_src 0
		.amdhsa_exception_fp_ieee_div_zero 0
		.amdhsa_exception_fp_ieee_overflow 0
		.amdhsa_exception_fp_ieee_underflow 0
		.amdhsa_exception_fp_ieee_inexact 0
		.amdhsa_exception_int_div_zero 0
	.end_amdhsa_kernel
	.section	.text._ZN7rocprim17ROCPRIM_400000_NS6detail17trampoline_kernelINS0_14default_configENS1_38merge_sort_block_merge_config_selectorIjyEEZZNS1_27merge_sort_block_merge_implIS3_PjPyjNS1_19radix_merge_compareILb0ELb0EjNS0_19identity_decomposerEEEEE10hipError_tT0_T1_T2_jT3_P12ihipStream_tbPNSt15iterator_traitsISD_E10value_typeEPNSJ_ISE_E10value_typeEPSF_NS1_7vsmem_tEENKUlT_SD_SE_SF_E_clIS7_S7_S8_S8_EESC_SS_SD_SE_SF_EUlSS_E_NS1_11comp_targetILNS1_3genE4ELNS1_11target_archE910ELNS1_3gpuE8ELNS1_3repE0EEENS1_48merge_mergepath_partition_config_static_selectorELNS0_4arch9wavefront6targetE1EEEvSE_,"axG",@progbits,_ZN7rocprim17ROCPRIM_400000_NS6detail17trampoline_kernelINS0_14default_configENS1_38merge_sort_block_merge_config_selectorIjyEEZZNS1_27merge_sort_block_merge_implIS3_PjPyjNS1_19radix_merge_compareILb0ELb0EjNS0_19identity_decomposerEEEEE10hipError_tT0_T1_T2_jT3_P12ihipStream_tbPNSt15iterator_traitsISD_E10value_typeEPNSJ_ISE_E10value_typeEPSF_NS1_7vsmem_tEENKUlT_SD_SE_SF_E_clIS7_S7_S8_S8_EESC_SS_SD_SE_SF_EUlSS_E_NS1_11comp_targetILNS1_3genE4ELNS1_11target_archE910ELNS1_3gpuE8ELNS1_3repE0EEENS1_48merge_mergepath_partition_config_static_selectorELNS0_4arch9wavefront6targetE1EEEvSE_,comdat
.Lfunc_end465:
	.size	_ZN7rocprim17ROCPRIM_400000_NS6detail17trampoline_kernelINS0_14default_configENS1_38merge_sort_block_merge_config_selectorIjyEEZZNS1_27merge_sort_block_merge_implIS3_PjPyjNS1_19radix_merge_compareILb0ELb0EjNS0_19identity_decomposerEEEEE10hipError_tT0_T1_T2_jT3_P12ihipStream_tbPNSt15iterator_traitsISD_E10value_typeEPNSJ_ISE_E10value_typeEPSF_NS1_7vsmem_tEENKUlT_SD_SE_SF_E_clIS7_S7_S8_S8_EESC_SS_SD_SE_SF_EUlSS_E_NS1_11comp_targetILNS1_3genE4ELNS1_11target_archE910ELNS1_3gpuE8ELNS1_3repE0EEENS1_48merge_mergepath_partition_config_static_selectorELNS0_4arch9wavefront6targetE1EEEvSE_, .Lfunc_end465-_ZN7rocprim17ROCPRIM_400000_NS6detail17trampoline_kernelINS0_14default_configENS1_38merge_sort_block_merge_config_selectorIjyEEZZNS1_27merge_sort_block_merge_implIS3_PjPyjNS1_19radix_merge_compareILb0ELb0EjNS0_19identity_decomposerEEEEE10hipError_tT0_T1_T2_jT3_P12ihipStream_tbPNSt15iterator_traitsISD_E10value_typeEPNSJ_ISE_E10value_typeEPSF_NS1_7vsmem_tEENKUlT_SD_SE_SF_E_clIS7_S7_S8_S8_EESC_SS_SD_SE_SF_EUlSS_E_NS1_11comp_targetILNS1_3genE4ELNS1_11target_archE910ELNS1_3gpuE8ELNS1_3repE0EEENS1_48merge_mergepath_partition_config_static_selectorELNS0_4arch9wavefront6targetE1EEEvSE_
                                        ; -- End function
	.section	.AMDGPU.csdata,"",@progbits
; Kernel info:
; codeLenInByte = 360
; NumSgprs: 12
; NumVgprs: 17
; NumAgprs: 0
; TotalNumVgprs: 17
; ScratchSize: 0
; MemoryBound: 0
; FloatMode: 240
; IeeeMode: 1
; LDSByteSize: 0 bytes/workgroup (compile time only)
; SGPRBlocks: 1
; VGPRBlocks: 2
; NumSGPRsForWavesPerEU: 12
; NumVGPRsForWavesPerEU: 17
; AccumOffset: 20
; Occupancy: 8
; WaveLimiterHint : 0
; COMPUTE_PGM_RSRC2:SCRATCH_EN: 0
; COMPUTE_PGM_RSRC2:USER_SGPR: 6
; COMPUTE_PGM_RSRC2:TRAP_HANDLER: 0
; COMPUTE_PGM_RSRC2:TGID_X_EN: 1
; COMPUTE_PGM_RSRC2:TGID_Y_EN: 0
; COMPUTE_PGM_RSRC2:TGID_Z_EN: 0
; COMPUTE_PGM_RSRC2:TIDIG_COMP_CNT: 0
; COMPUTE_PGM_RSRC3_GFX90A:ACCUM_OFFSET: 4
; COMPUTE_PGM_RSRC3_GFX90A:TG_SPLIT: 0
	.section	.text._ZN7rocprim17ROCPRIM_400000_NS6detail17trampoline_kernelINS0_14default_configENS1_38merge_sort_block_merge_config_selectorIjyEEZZNS1_27merge_sort_block_merge_implIS3_PjPyjNS1_19radix_merge_compareILb0ELb0EjNS0_19identity_decomposerEEEEE10hipError_tT0_T1_T2_jT3_P12ihipStream_tbPNSt15iterator_traitsISD_E10value_typeEPNSJ_ISE_E10value_typeEPSF_NS1_7vsmem_tEENKUlT_SD_SE_SF_E_clIS7_S7_S8_S8_EESC_SS_SD_SE_SF_EUlSS_E_NS1_11comp_targetILNS1_3genE3ELNS1_11target_archE908ELNS1_3gpuE7ELNS1_3repE0EEENS1_48merge_mergepath_partition_config_static_selectorELNS0_4arch9wavefront6targetE1EEEvSE_,"axG",@progbits,_ZN7rocprim17ROCPRIM_400000_NS6detail17trampoline_kernelINS0_14default_configENS1_38merge_sort_block_merge_config_selectorIjyEEZZNS1_27merge_sort_block_merge_implIS3_PjPyjNS1_19radix_merge_compareILb0ELb0EjNS0_19identity_decomposerEEEEE10hipError_tT0_T1_T2_jT3_P12ihipStream_tbPNSt15iterator_traitsISD_E10value_typeEPNSJ_ISE_E10value_typeEPSF_NS1_7vsmem_tEENKUlT_SD_SE_SF_E_clIS7_S7_S8_S8_EESC_SS_SD_SE_SF_EUlSS_E_NS1_11comp_targetILNS1_3genE3ELNS1_11target_archE908ELNS1_3gpuE7ELNS1_3repE0EEENS1_48merge_mergepath_partition_config_static_selectorELNS0_4arch9wavefront6targetE1EEEvSE_,comdat
	.protected	_ZN7rocprim17ROCPRIM_400000_NS6detail17trampoline_kernelINS0_14default_configENS1_38merge_sort_block_merge_config_selectorIjyEEZZNS1_27merge_sort_block_merge_implIS3_PjPyjNS1_19radix_merge_compareILb0ELb0EjNS0_19identity_decomposerEEEEE10hipError_tT0_T1_T2_jT3_P12ihipStream_tbPNSt15iterator_traitsISD_E10value_typeEPNSJ_ISE_E10value_typeEPSF_NS1_7vsmem_tEENKUlT_SD_SE_SF_E_clIS7_S7_S8_S8_EESC_SS_SD_SE_SF_EUlSS_E_NS1_11comp_targetILNS1_3genE3ELNS1_11target_archE908ELNS1_3gpuE7ELNS1_3repE0EEENS1_48merge_mergepath_partition_config_static_selectorELNS0_4arch9wavefront6targetE1EEEvSE_ ; -- Begin function _ZN7rocprim17ROCPRIM_400000_NS6detail17trampoline_kernelINS0_14default_configENS1_38merge_sort_block_merge_config_selectorIjyEEZZNS1_27merge_sort_block_merge_implIS3_PjPyjNS1_19radix_merge_compareILb0ELb0EjNS0_19identity_decomposerEEEEE10hipError_tT0_T1_T2_jT3_P12ihipStream_tbPNSt15iterator_traitsISD_E10value_typeEPNSJ_ISE_E10value_typeEPSF_NS1_7vsmem_tEENKUlT_SD_SE_SF_E_clIS7_S7_S8_S8_EESC_SS_SD_SE_SF_EUlSS_E_NS1_11comp_targetILNS1_3genE3ELNS1_11target_archE908ELNS1_3gpuE7ELNS1_3repE0EEENS1_48merge_mergepath_partition_config_static_selectorELNS0_4arch9wavefront6targetE1EEEvSE_
	.globl	_ZN7rocprim17ROCPRIM_400000_NS6detail17trampoline_kernelINS0_14default_configENS1_38merge_sort_block_merge_config_selectorIjyEEZZNS1_27merge_sort_block_merge_implIS3_PjPyjNS1_19radix_merge_compareILb0ELb0EjNS0_19identity_decomposerEEEEE10hipError_tT0_T1_T2_jT3_P12ihipStream_tbPNSt15iterator_traitsISD_E10value_typeEPNSJ_ISE_E10value_typeEPSF_NS1_7vsmem_tEENKUlT_SD_SE_SF_E_clIS7_S7_S8_S8_EESC_SS_SD_SE_SF_EUlSS_E_NS1_11comp_targetILNS1_3genE3ELNS1_11target_archE908ELNS1_3gpuE7ELNS1_3repE0EEENS1_48merge_mergepath_partition_config_static_selectorELNS0_4arch9wavefront6targetE1EEEvSE_
	.p2align	8
	.type	_ZN7rocprim17ROCPRIM_400000_NS6detail17trampoline_kernelINS0_14default_configENS1_38merge_sort_block_merge_config_selectorIjyEEZZNS1_27merge_sort_block_merge_implIS3_PjPyjNS1_19radix_merge_compareILb0ELb0EjNS0_19identity_decomposerEEEEE10hipError_tT0_T1_T2_jT3_P12ihipStream_tbPNSt15iterator_traitsISD_E10value_typeEPNSJ_ISE_E10value_typeEPSF_NS1_7vsmem_tEENKUlT_SD_SE_SF_E_clIS7_S7_S8_S8_EESC_SS_SD_SE_SF_EUlSS_E_NS1_11comp_targetILNS1_3genE3ELNS1_11target_archE908ELNS1_3gpuE7ELNS1_3repE0EEENS1_48merge_mergepath_partition_config_static_selectorELNS0_4arch9wavefront6targetE1EEEvSE_,@function
_ZN7rocprim17ROCPRIM_400000_NS6detail17trampoline_kernelINS0_14default_configENS1_38merge_sort_block_merge_config_selectorIjyEEZZNS1_27merge_sort_block_merge_implIS3_PjPyjNS1_19radix_merge_compareILb0ELb0EjNS0_19identity_decomposerEEEEE10hipError_tT0_T1_T2_jT3_P12ihipStream_tbPNSt15iterator_traitsISD_E10value_typeEPNSJ_ISE_E10value_typeEPSF_NS1_7vsmem_tEENKUlT_SD_SE_SF_E_clIS7_S7_S8_S8_EESC_SS_SD_SE_SF_EUlSS_E_NS1_11comp_targetILNS1_3genE3ELNS1_11target_archE908ELNS1_3gpuE7ELNS1_3repE0EEENS1_48merge_mergepath_partition_config_static_selectorELNS0_4arch9wavefront6targetE1EEEvSE_: ; @_ZN7rocprim17ROCPRIM_400000_NS6detail17trampoline_kernelINS0_14default_configENS1_38merge_sort_block_merge_config_selectorIjyEEZZNS1_27merge_sort_block_merge_implIS3_PjPyjNS1_19radix_merge_compareILb0ELb0EjNS0_19identity_decomposerEEEEE10hipError_tT0_T1_T2_jT3_P12ihipStream_tbPNSt15iterator_traitsISD_E10value_typeEPNSJ_ISE_E10value_typeEPSF_NS1_7vsmem_tEENKUlT_SD_SE_SF_E_clIS7_S7_S8_S8_EESC_SS_SD_SE_SF_EUlSS_E_NS1_11comp_targetILNS1_3genE3ELNS1_11target_archE908ELNS1_3gpuE7ELNS1_3repE0EEENS1_48merge_mergepath_partition_config_static_selectorELNS0_4arch9wavefront6targetE1EEEvSE_
; %bb.0:
	.section	.rodata,"a",@progbits
	.p2align	6, 0x0
	.amdhsa_kernel _ZN7rocprim17ROCPRIM_400000_NS6detail17trampoline_kernelINS0_14default_configENS1_38merge_sort_block_merge_config_selectorIjyEEZZNS1_27merge_sort_block_merge_implIS3_PjPyjNS1_19radix_merge_compareILb0ELb0EjNS0_19identity_decomposerEEEEE10hipError_tT0_T1_T2_jT3_P12ihipStream_tbPNSt15iterator_traitsISD_E10value_typeEPNSJ_ISE_E10value_typeEPSF_NS1_7vsmem_tEENKUlT_SD_SE_SF_E_clIS7_S7_S8_S8_EESC_SS_SD_SE_SF_EUlSS_E_NS1_11comp_targetILNS1_3genE3ELNS1_11target_archE908ELNS1_3gpuE7ELNS1_3repE0EEENS1_48merge_mergepath_partition_config_static_selectorELNS0_4arch9wavefront6targetE1EEEvSE_
		.amdhsa_group_segment_fixed_size 0
		.amdhsa_private_segment_fixed_size 0
		.amdhsa_kernarg_size 40
		.amdhsa_user_sgpr_count 6
		.amdhsa_user_sgpr_private_segment_buffer 1
		.amdhsa_user_sgpr_dispatch_ptr 0
		.amdhsa_user_sgpr_queue_ptr 0
		.amdhsa_user_sgpr_kernarg_segment_ptr 1
		.amdhsa_user_sgpr_dispatch_id 0
		.amdhsa_user_sgpr_flat_scratch_init 0
		.amdhsa_user_sgpr_kernarg_preload_length 0
		.amdhsa_user_sgpr_kernarg_preload_offset 0
		.amdhsa_user_sgpr_private_segment_size 0
		.amdhsa_uses_dynamic_stack 0
		.amdhsa_system_sgpr_private_segment_wavefront_offset 0
		.amdhsa_system_sgpr_workgroup_id_x 1
		.amdhsa_system_sgpr_workgroup_id_y 0
		.amdhsa_system_sgpr_workgroup_id_z 0
		.amdhsa_system_sgpr_workgroup_info 0
		.amdhsa_system_vgpr_workitem_id 0
		.amdhsa_next_free_vgpr 1
		.amdhsa_next_free_sgpr 0
		.amdhsa_accum_offset 4
		.amdhsa_reserve_vcc 0
		.amdhsa_reserve_flat_scratch 0
		.amdhsa_float_round_mode_32 0
		.amdhsa_float_round_mode_16_64 0
		.amdhsa_float_denorm_mode_32 3
		.amdhsa_float_denorm_mode_16_64 3
		.amdhsa_dx10_clamp 1
		.amdhsa_ieee_mode 1
		.amdhsa_fp16_overflow 0
		.amdhsa_tg_split 0
		.amdhsa_exception_fp_ieee_invalid_op 0
		.amdhsa_exception_fp_denorm_src 0
		.amdhsa_exception_fp_ieee_div_zero 0
		.amdhsa_exception_fp_ieee_overflow 0
		.amdhsa_exception_fp_ieee_underflow 0
		.amdhsa_exception_fp_ieee_inexact 0
		.amdhsa_exception_int_div_zero 0
	.end_amdhsa_kernel
	.section	.text._ZN7rocprim17ROCPRIM_400000_NS6detail17trampoline_kernelINS0_14default_configENS1_38merge_sort_block_merge_config_selectorIjyEEZZNS1_27merge_sort_block_merge_implIS3_PjPyjNS1_19radix_merge_compareILb0ELb0EjNS0_19identity_decomposerEEEEE10hipError_tT0_T1_T2_jT3_P12ihipStream_tbPNSt15iterator_traitsISD_E10value_typeEPNSJ_ISE_E10value_typeEPSF_NS1_7vsmem_tEENKUlT_SD_SE_SF_E_clIS7_S7_S8_S8_EESC_SS_SD_SE_SF_EUlSS_E_NS1_11comp_targetILNS1_3genE3ELNS1_11target_archE908ELNS1_3gpuE7ELNS1_3repE0EEENS1_48merge_mergepath_partition_config_static_selectorELNS0_4arch9wavefront6targetE1EEEvSE_,"axG",@progbits,_ZN7rocprim17ROCPRIM_400000_NS6detail17trampoline_kernelINS0_14default_configENS1_38merge_sort_block_merge_config_selectorIjyEEZZNS1_27merge_sort_block_merge_implIS3_PjPyjNS1_19radix_merge_compareILb0ELb0EjNS0_19identity_decomposerEEEEE10hipError_tT0_T1_T2_jT3_P12ihipStream_tbPNSt15iterator_traitsISD_E10value_typeEPNSJ_ISE_E10value_typeEPSF_NS1_7vsmem_tEENKUlT_SD_SE_SF_E_clIS7_S7_S8_S8_EESC_SS_SD_SE_SF_EUlSS_E_NS1_11comp_targetILNS1_3genE3ELNS1_11target_archE908ELNS1_3gpuE7ELNS1_3repE0EEENS1_48merge_mergepath_partition_config_static_selectorELNS0_4arch9wavefront6targetE1EEEvSE_,comdat
.Lfunc_end466:
	.size	_ZN7rocprim17ROCPRIM_400000_NS6detail17trampoline_kernelINS0_14default_configENS1_38merge_sort_block_merge_config_selectorIjyEEZZNS1_27merge_sort_block_merge_implIS3_PjPyjNS1_19radix_merge_compareILb0ELb0EjNS0_19identity_decomposerEEEEE10hipError_tT0_T1_T2_jT3_P12ihipStream_tbPNSt15iterator_traitsISD_E10value_typeEPNSJ_ISE_E10value_typeEPSF_NS1_7vsmem_tEENKUlT_SD_SE_SF_E_clIS7_S7_S8_S8_EESC_SS_SD_SE_SF_EUlSS_E_NS1_11comp_targetILNS1_3genE3ELNS1_11target_archE908ELNS1_3gpuE7ELNS1_3repE0EEENS1_48merge_mergepath_partition_config_static_selectorELNS0_4arch9wavefront6targetE1EEEvSE_, .Lfunc_end466-_ZN7rocprim17ROCPRIM_400000_NS6detail17trampoline_kernelINS0_14default_configENS1_38merge_sort_block_merge_config_selectorIjyEEZZNS1_27merge_sort_block_merge_implIS3_PjPyjNS1_19radix_merge_compareILb0ELb0EjNS0_19identity_decomposerEEEEE10hipError_tT0_T1_T2_jT3_P12ihipStream_tbPNSt15iterator_traitsISD_E10value_typeEPNSJ_ISE_E10value_typeEPSF_NS1_7vsmem_tEENKUlT_SD_SE_SF_E_clIS7_S7_S8_S8_EESC_SS_SD_SE_SF_EUlSS_E_NS1_11comp_targetILNS1_3genE3ELNS1_11target_archE908ELNS1_3gpuE7ELNS1_3repE0EEENS1_48merge_mergepath_partition_config_static_selectorELNS0_4arch9wavefront6targetE1EEEvSE_
                                        ; -- End function
	.section	.AMDGPU.csdata,"",@progbits
; Kernel info:
; codeLenInByte = 0
; NumSgprs: 4
; NumVgprs: 0
; NumAgprs: 0
; TotalNumVgprs: 0
; ScratchSize: 0
; MemoryBound: 0
; FloatMode: 240
; IeeeMode: 1
; LDSByteSize: 0 bytes/workgroup (compile time only)
; SGPRBlocks: 0
; VGPRBlocks: 0
; NumSGPRsForWavesPerEU: 4
; NumVGPRsForWavesPerEU: 1
; AccumOffset: 4
; Occupancy: 8
; WaveLimiterHint : 0
; COMPUTE_PGM_RSRC2:SCRATCH_EN: 0
; COMPUTE_PGM_RSRC2:USER_SGPR: 6
; COMPUTE_PGM_RSRC2:TRAP_HANDLER: 0
; COMPUTE_PGM_RSRC2:TGID_X_EN: 1
; COMPUTE_PGM_RSRC2:TGID_Y_EN: 0
; COMPUTE_PGM_RSRC2:TGID_Z_EN: 0
; COMPUTE_PGM_RSRC2:TIDIG_COMP_CNT: 0
; COMPUTE_PGM_RSRC3_GFX90A:ACCUM_OFFSET: 0
; COMPUTE_PGM_RSRC3_GFX90A:TG_SPLIT: 0
	.section	.text._ZN7rocprim17ROCPRIM_400000_NS6detail17trampoline_kernelINS0_14default_configENS1_38merge_sort_block_merge_config_selectorIjyEEZZNS1_27merge_sort_block_merge_implIS3_PjPyjNS1_19radix_merge_compareILb0ELb0EjNS0_19identity_decomposerEEEEE10hipError_tT0_T1_T2_jT3_P12ihipStream_tbPNSt15iterator_traitsISD_E10value_typeEPNSJ_ISE_E10value_typeEPSF_NS1_7vsmem_tEENKUlT_SD_SE_SF_E_clIS7_S7_S8_S8_EESC_SS_SD_SE_SF_EUlSS_E_NS1_11comp_targetILNS1_3genE2ELNS1_11target_archE906ELNS1_3gpuE6ELNS1_3repE0EEENS1_48merge_mergepath_partition_config_static_selectorELNS0_4arch9wavefront6targetE1EEEvSE_,"axG",@progbits,_ZN7rocprim17ROCPRIM_400000_NS6detail17trampoline_kernelINS0_14default_configENS1_38merge_sort_block_merge_config_selectorIjyEEZZNS1_27merge_sort_block_merge_implIS3_PjPyjNS1_19radix_merge_compareILb0ELb0EjNS0_19identity_decomposerEEEEE10hipError_tT0_T1_T2_jT3_P12ihipStream_tbPNSt15iterator_traitsISD_E10value_typeEPNSJ_ISE_E10value_typeEPSF_NS1_7vsmem_tEENKUlT_SD_SE_SF_E_clIS7_S7_S8_S8_EESC_SS_SD_SE_SF_EUlSS_E_NS1_11comp_targetILNS1_3genE2ELNS1_11target_archE906ELNS1_3gpuE6ELNS1_3repE0EEENS1_48merge_mergepath_partition_config_static_selectorELNS0_4arch9wavefront6targetE1EEEvSE_,comdat
	.protected	_ZN7rocprim17ROCPRIM_400000_NS6detail17trampoline_kernelINS0_14default_configENS1_38merge_sort_block_merge_config_selectorIjyEEZZNS1_27merge_sort_block_merge_implIS3_PjPyjNS1_19radix_merge_compareILb0ELb0EjNS0_19identity_decomposerEEEEE10hipError_tT0_T1_T2_jT3_P12ihipStream_tbPNSt15iterator_traitsISD_E10value_typeEPNSJ_ISE_E10value_typeEPSF_NS1_7vsmem_tEENKUlT_SD_SE_SF_E_clIS7_S7_S8_S8_EESC_SS_SD_SE_SF_EUlSS_E_NS1_11comp_targetILNS1_3genE2ELNS1_11target_archE906ELNS1_3gpuE6ELNS1_3repE0EEENS1_48merge_mergepath_partition_config_static_selectorELNS0_4arch9wavefront6targetE1EEEvSE_ ; -- Begin function _ZN7rocprim17ROCPRIM_400000_NS6detail17trampoline_kernelINS0_14default_configENS1_38merge_sort_block_merge_config_selectorIjyEEZZNS1_27merge_sort_block_merge_implIS3_PjPyjNS1_19radix_merge_compareILb0ELb0EjNS0_19identity_decomposerEEEEE10hipError_tT0_T1_T2_jT3_P12ihipStream_tbPNSt15iterator_traitsISD_E10value_typeEPNSJ_ISE_E10value_typeEPSF_NS1_7vsmem_tEENKUlT_SD_SE_SF_E_clIS7_S7_S8_S8_EESC_SS_SD_SE_SF_EUlSS_E_NS1_11comp_targetILNS1_3genE2ELNS1_11target_archE906ELNS1_3gpuE6ELNS1_3repE0EEENS1_48merge_mergepath_partition_config_static_selectorELNS0_4arch9wavefront6targetE1EEEvSE_
	.globl	_ZN7rocprim17ROCPRIM_400000_NS6detail17trampoline_kernelINS0_14default_configENS1_38merge_sort_block_merge_config_selectorIjyEEZZNS1_27merge_sort_block_merge_implIS3_PjPyjNS1_19radix_merge_compareILb0ELb0EjNS0_19identity_decomposerEEEEE10hipError_tT0_T1_T2_jT3_P12ihipStream_tbPNSt15iterator_traitsISD_E10value_typeEPNSJ_ISE_E10value_typeEPSF_NS1_7vsmem_tEENKUlT_SD_SE_SF_E_clIS7_S7_S8_S8_EESC_SS_SD_SE_SF_EUlSS_E_NS1_11comp_targetILNS1_3genE2ELNS1_11target_archE906ELNS1_3gpuE6ELNS1_3repE0EEENS1_48merge_mergepath_partition_config_static_selectorELNS0_4arch9wavefront6targetE1EEEvSE_
	.p2align	8
	.type	_ZN7rocprim17ROCPRIM_400000_NS6detail17trampoline_kernelINS0_14default_configENS1_38merge_sort_block_merge_config_selectorIjyEEZZNS1_27merge_sort_block_merge_implIS3_PjPyjNS1_19radix_merge_compareILb0ELb0EjNS0_19identity_decomposerEEEEE10hipError_tT0_T1_T2_jT3_P12ihipStream_tbPNSt15iterator_traitsISD_E10value_typeEPNSJ_ISE_E10value_typeEPSF_NS1_7vsmem_tEENKUlT_SD_SE_SF_E_clIS7_S7_S8_S8_EESC_SS_SD_SE_SF_EUlSS_E_NS1_11comp_targetILNS1_3genE2ELNS1_11target_archE906ELNS1_3gpuE6ELNS1_3repE0EEENS1_48merge_mergepath_partition_config_static_selectorELNS0_4arch9wavefront6targetE1EEEvSE_,@function
_ZN7rocprim17ROCPRIM_400000_NS6detail17trampoline_kernelINS0_14default_configENS1_38merge_sort_block_merge_config_selectorIjyEEZZNS1_27merge_sort_block_merge_implIS3_PjPyjNS1_19radix_merge_compareILb0ELb0EjNS0_19identity_decomposerEEEEE10hipError_tT0_T1_T2_jT3_P12ihipStream_tbPNSt15iterator_traitsISD_E10value_typeEPNSJ_ISE_E10value_typeEPSF_NS1_7vsmem_tEENKUlT_SD_SE_SF_E_clIS7_S7_S8_S8_EESC_SS_SD_SE_SF_EUlSS_E_NS1_11comp_targetILNS1_3genE2ELNS1_11target_archE906ELNS1_3gpuE6ELNS1_3repE0EEENS1_48merge_mergepath_partition_config_static_selectorELNS0_4arch9wavefront6targetE1EEEvSE_: ; @_ZN7rocprim17ROCPRIM_400000_NS6detail17trampoline_kernelINS0_14default_configENS1_38merge_sort_block_merge_config_selectorIjyEEZZNS1_27merge_sort_block_merge_implIS3_PjPyjNS1_19radix_merge_compareILb0ELb0EjNS0_19identity_decomposerEEEEE10hipError_tT0_T1_T2_jT3_P12ihipStream_tbPNSt15iterator_traitsISD_E10value_typeEPNSJ_ISE_E10value_typeEPSF_NS1_7vsmem_tEENKUlT_SD_SE_SF_E_clIS7_S7_S8_S8_EESC_SS_SD_SE_SF_EUlSS_E_NS1_11comp_targetILNS1_3genE2ELNS1_11target_archE906ELNS1_3gpuE6ELNS1_3repE0EEENS1_48merge_mergepath_partition_config_static_selectorELNS0_4arch9wavefront6targetE1EEEvSE_
; %bb.0:
	.section	.rodata,"a",@progbits
	.p2align	6, 0x0
	.amdhsa_kernel _ZN7rocprim17ROCPRIM_400000_NS6detail17trampoline_kernelINS0_14default_configENS1_38merge_sort_block_merge_config_selectorIjyEEZZNS1_27merge_sort_block_merge_implIS3_PjPyjNS1_19radix_merge_compareILb0ELb0EjNS0_19identity_decomposerEEEEE10hipError_tT0_T1_T2_jT3_P12ihipStream_tbPNSt15iterator_traitsISD_E10value_typeEPNSJ_ISE_E10value_typeEPSF_NS1_7vsmem_tEENKUlT_SD_SE_SF_E_clIS7_S7_S8_S8_EESC_SS_SD_SE_SF_EUlSS_E_NS1_11comp_targetILNS1_3genE2ELNS1_11target_archE906ELNS1_3gpuE6ELNS1_3repE0EEENS1_48merge_mergepath_partition_config_static_selectorELNS0_4arch9wavefront6targetE1EEEvSE_
		.amdhsa_group_segment_fixed_size 0
		.amdhsa_private_segment_fixed_size 0
		.amdhsa_kernarg_size 40
		.amdhsa_user_sgpr_count 6
		.amdhsa_user_sgpr_private_segment_buffer 1
		.amdhsa_user_sgpr_dispatch_ptr 0
		.amdhsa_user_sgpr_queue_ptr 0
		.amdhsa_user_sgpr_kernarg_segment_ptr 1
		.amdhsa_user_sgpr_dispatch_id 0
		.amdhsa_user_sgpr_flat_scratch_init 0
		.amdhsa_user_sgpr_kernarg_preload_length 0
		.amdhsa_user_sgpr_kernarg_preload_offset 0
		.amdhsa_user_sgpr_private_segment_size 0
		.amdhsa_uses_dynamic_stack 0
		.amdhsa_system_sgpr_private_segment_wavefront_offset 0
		.amdhsa_system_sgpr_workgroup_id_x 1
		.amdhsa_system_sgpr_workgroup_id_y 0
		.amdhsa_system_sgpr_workgroup_id_z 0
		.amdhsa_system_sgpr_workgroup_info 0
		.amdhsa_system_vgpr_workitem_id 0
		.amdhsa_next_free_vgpr 1
		.amdhsa_next_free_sgpr 0
		.amdhsa_accum_offset 4
		.amdhsa_reserve_vcc 0
		.amdhsa_reserve_flat_scratch 0
		.amdhsa_float_round_mode_32 0
		.amdhsa_float_round_mode_16_64 0
		.amdhsa_float_denorm_mode_32 3
		.amdhsa_float_denorm_mode_16_64 3
		.amdhsa_dx10_clamp 1
		.amdhsa_ieee_mode 1
		.amdhsa_fp16_overflow 0
		.amdhsa_tg_split 0
		.amdhsa_exception_fp_ieee_invalid_op 0
		.amdhsa_exception_fp_denorm_src 0
		.amdhsa_exception_fp_ieee_div_zero 0
		.amdhsa_exception_fp_ieee_overflow 0
		.amdhsa_exception_fp_ieee_underflow 0
		.amdhsa_exception_fp_ieee_inexact 0
		.amdhsa_exception_int_div_zero 0
	.end_amdhsa_kernel
	.section	.text._ZN7rocprim17ROCPRIM_400000_NS6detail17trampoline_kernelINS0_14default_configENS1_38merge_sort_block_merge_config_selectorIjyEEZZNS1_27merge_sort_block_merge_implIS3_PjPyjNS1_19radix_merge_compareILb0ELb0EjNS0_19identity_decomposerEEEEE10hipError_tT0_T1_T2_jT3_P12ihipStream_tbPNSt15iterator_traitsISD_E10value_typeEPNSJ_ISE_E10value_typeEPSF_NS1_7vsmem_tEENKUlT_SD_SE_SF_E_clIS7_S7_S8_S8_EESC_SS_SD_SE_SF_EUlSS_E_NS1_11comp_targetILNS1_3genE2ELNS1_11target_archE906ELNS1_3gpuE6ELNS1_3repE0EEENS1_48merge_mergepath_partition_config_static_selectorELNS0_4arch9wavefront6targetE1EEEvSE_,"axG",@progbits,_ZN7rocprim17ROCPRIM_400000_NS6detail17trampoline_kernelINS0_14default_configENS1_38merge_sort_block_merge_config_selectorIjyEEZZNS1_27merge_sort_block_merge_implIS3_PjPyjNS1_19radix_merge_compareILb0ELb0EjNS0_19identity_decomposerEEEEE10hipError_tT0_T1_T2_jT3_P12ihipStream_tbPNSt15iterator_traitsISD_E10value_typeEPNSJ_ISE_E10value_typeEPSF_NS1_7vsmem_tEENKUlT_SD_SE_SF_E_clIS7_S7_S8_S8_EESC_SS_SD_SE_SF_EUlSS_E_NS1_11comp_targetILNS1_3genE2ELNS1_11target_archE906ELNS1_3gpuE6ELNS1_3repE0EEENS1_48merge_mergepath_partition_config_static_selectorELNS0_4arch9wavefront6targetE1EEEvSE_,comdat
.Lfunc_end467:
	.size	_ZN7rocprim17ROCPRIM_400000_NS6detail17trampoline_kernelINS0_14default_configENS1_38merge_sort_block_merge_config_selectorIjyEEZZNS1_27merge_sort_block_merge_implIS3_PjPyjNS1_19radix_merge_compareILb0ELb0EjNS0_19identity_decomposerEEEEE10hipError_tT0_T1_T2_jT3_P12ihipStream_tbPNSt15iterator_traitsISD_E10value_typeEPNSJ_ISE_E10value_typeEPSF_NS1_7vsmem_tEENKUlT_SD_SE_SF_E_clIS7_S7_S8_S8_EESC_SS_SD_SE_SF_EUlSS_E_NS1_11comp_targetILNS1_3genE2ELNS1_11target_archE906ELNS1_3gpuE6ELNS1_3repE0EEENS1_48merge_mergepath_partition_config_static_selectorELNS0_4arch9wavefront6targetE1EEEvSE_, .Lfunc_end467-_ZN7rocprim17ROCPRIM_400000_NS6detail17trampoline_kernelINS0_14default_configENS1_38merge_sort_block_merge_config_selectorIjyEEZZNS1_27merge_sort_block_merge_implIS3_PjPyjNS1_19radix_merge_compareILb0ELb0EjNS0_19identity_decomposerEEEEE10hipError_tT0_T1_T2_jT3_P12ihipStream_tbPNSt15iterator_traitsISD_E10value_typeEPNSJ_ISE_E10value_typeEPSF_NS1_7vsmem_tEENKUlT_SD_SE_SF_E_clIS7_S7_S8_S8_EESC_SS_SD_SE_SF_EUlSS_E_NS1_11comp_targetILNS1_3genE2ELNS1_11target_archE906ELNS1_3gpuE6ELNS1_3repE0EEENS1_48merge_mergepath_partition_config_static_selectorELNS0_4arch9wavefront6targetE1EEEvSE_
                                        ; -- End function
	.section	.AMDGPU.csdata,"",@progbits
; Kernel info:
; codeLenInByte = 0
; NumSgprs: 4
; NumVgprs: 0
; NumAgprs: 0
; TotalNumVgprs: 0
; ScratchSize: 0
; MemoryBound: 0
; FloatMode: 240
; IeeeMode: 1
; LDSByteSize: 0 bytes/workgroup (compile time only)
; SGPRBlocks: 0
; VGPRBlocks: 0
; NumSGPRsForWavesPerEU: 4
; NumVGPRsForWavesPerEU: 1
; AccumOffset: 4
; Occupancy: 8
; WaveLimiterHint : 0
; COMPUTE_PGM_RSRC2:SCRATCH_EN: 0
; COMPUTE_PGM_RSRC2:USER_SGPR: 6
; COMPUTE_PGM_RSRC2:TRAP_HANDLER: 0
; COMPUTE_PGM_RSRC2:TGID_X_EN: 1
; COMPUTE_PGM_RSRC2:TGID_Y_EN: 0
; COMPUTE_PGM_RSRC2:TGID_Z_EN: 0
; COMPUTE_PGM_RSRC2:TIDIG_COMP_CNT: 0
; COMPUTE_PGM_RSRC3_GFX90A:ACCUM_OFFSET: 0
; COMPUTE_PGM_RSRC3_GFX90A:TG_SPLIT: 0
	.section	.text._ZN7rocprim17ROCPRIM_400000_NS6detail17trampoline_kernelINS0_14default_configENS1_38merge_sort_block_merge_config_selectorIjyEEZZNS1_27merge_sort_block_merge_implIS3_PjPyjNS1_19radix_merge_compareILb0ELb0EjNS0_19identity_decomposerEEEEE10hipError_tT0_T1_T2_jT3_P12ihipStream_tbPNSt15iterator_traitsISD_E10value_typeEPNSJ_ISE_E10value_typeEPSF_NS1_7vsmem_tEENKUlT_SD_SE_SF_E_clIS7_S7_S8_S8_EESC_SS_SD_SE_SF_EUlSS_E_NS1_11comp_targetILNS1_3genE9ELNS1_11target_archE1100ELNS1_3gpuE3ELNS1_3repE0EEENS1_48merge_mergepath_partition_config_static_selectorELNS0_4arch9wavefront6targetE1EEEvSE_,"axG",@progbits,_ZN7rocprim17ROCPRIM_400000_NS6detail17trampoline_kernelINS0_14default_configENS1_38merge_sort_block_merge_config_selectorIjyEEZZNS1_27merge_sort_block_merge_implIS3_PjPyjNS1_19radix_merge_compareILb0ELb0EjNS0_19identity_decomposerEEEEE10hipError_tT0_T1_T2_jT3_P12ihipStream_tbPNSt15iterator_traitsISD_E10value_typeEPNSJ_ISE_E10value_typeEPSF_NS1_7vsmem_tEENKUlT_SD_SE_SF_E_clIS7_S7_S8_S8_EESC_SS_SD_SE_SF_EUlSS_E_NS1_11comp_targetILNS1_3genE9ELNS1_11target_archE1100ELNS1_3gpuE3ELNS1_3repE0EEENS1_48merge_mergepath_partition_config_static_selectorELNS0_4arch9wavefront6targetE1EEEvSE_,comdat
	.protected	_ZN7rocprim17ROCPRIM_400000_NS6detail17trampoline_kernelINS0_14default_configENS1_38merge_sort_block_merge_config_selectorIjyEEZZNS1_27merge_sort_block_merge_implIS3_PjPyjNS1_19radix_merge_compareILb0ELb0EjNS0_19identity_decomposerEEEEE10hipError_tT0_T1_T2_jT3_P12ihipStream_tbPNSt15iterator_traitsISD_E10value_typeEPNSJ_ISE_E10value_typeEPSF_NS1_7vsmem_tEENKUlT_SD_SE_SF_E_clIS7_S7_S8_S8_EESC_SS_SD_SE_SF_EUlSS_E_NS1_11comp_targetILNS1_3genE9ELNS1_11target_archE1100ELNS1_3gpuE3ELNS1_3repE0EEENS1_48merge_mergepath_partition_config_static_selectorELNS0_4arch9wavefront6targetE1EEEvSE_ ; -- Begin function _ZN7rocprim17ROCPRIM_400000_NS6detail17trampoline_kernelINS0_14default_configENS1_38merge_sort_block_merge_config_selectorIjyEEZZNS1_27merge_sort_block_merge_implIS3_PjPyjNS1_19radix_merge_compareILb0ELb0EjNS0_19identity_decomposerEEEEE10hipError_tT0_T1_T2_jT3_P12ihipStream_tbPNSt15iterator_traitsISD_E10value_typeEPNSJ_ISE_E10value_typeEPSF_NS1_7vsmem_tEENKUlT_SD_SE_SF_E_clIS7_S7_S8_S8_EESC_SS_SD_SE_SF_EUlSS_E_NS1_11comp_targetILNS1_3genE9ELNS1_11target_archE1100ELNS1_3gpuE3ELNS1_3repE0EEENS1_48merge_mergepath_partition_config_static_selectorELNS0_4arch9wavefront6targetE1EEEvSE_
	.globl	_ZN7rocprim17ROCPRIM_400000_NS6detail17trampoline_kernelINS0_14default_configENS1_38merge_sort_block_merge_config_selectorIjyEEZZNS1_27merge_sort_block_merge_implIS3_PjPyjNS1_19radix_merge_compareILb0ELb0EjNS0_19identity_decomposerEEEEE10hipError_tT0_T1_T2_jT3_P12ihipStream_tbPNSt15iterator_traitsISD_E10value_typeEPNSJ_ISE_E10value_typeEPSF_NS1_7vsmem_tEENKUlT_SD_SE_SF_E_clIS7_S7_S8_S8_EESC_SS_SD_SE_SF_EUlSS_E_NS1_11comp_targetILNS1_3genE9ELNS1_11target_archE1100ELNS1_3gpuE3ELNS1_3repE0EEENS1_48merge_mergepath_partition_config_static_selectorELNS0_4arch9wavefront6targetE1EEEvSE_
	.p2align	8
	.type	_ZN7rocprim17ROCPRIM_400000_NS6detail17trampoline_kernelINS0_14default_configENS1_38merge_sort_block_merge_config_selectorIjyEEZZNS1_27merge_sort_block_merge_implIS3_PjPyjNS1_19radix_merge_compareILb0ELb0EjNS0_19identity_decomposerEEEEE10hipError_tT0_T1_T2_jT3_P12ihipStream_tbPNSt15iterator_traitsISD_E10value_typeEPNSJ_ISE_E10value_typeEPSF_NS1_7vsmem_tEENKUlT_SD_SE_SF_E_clIS7_S7_S8_S8_EESC_SS_SD_SE_SF_EUlSS_E_NS1_11comp_targetILNS1_3genE9ELNS1_11target_archE1100ELNS1_3gpuE3ELNS1_3repE0EEENS1_48merge_mergepath_partition_config_static_selectorELNS0_4arch9wavefront6targetE1EEEvSE_,@function
_ZN7rocprim17ROCPRIM_400000_NS6detail17trampoline_kernelINS0_14default_configENS1_38merge_sort_block_merge_config_selectorIjyEEZZNS1_27merge_sort_block_merge_implIS3_PjPyjNS1_19radix_merge_compareILb0ELb0EjNS0_19identity_decomposerEEEEE10hipError_tT0_T1_T2_jT3_P12ihipStream_tbPNSt15iterator_traitsISD_E10value_typeEPNSJ_ISE_E10value_typeEPSF_NS1_7vsmem_tEENKUlT_SD_SE_SF_E_clIS7_S7_S8_S8_EESC_SS_SD_SE_SF_EUlSS_E_NS1_11comp_targetILNS1_3genE9ELNS1_11target_archE1100ELNS1_3gpuE3ELNS1_3repE0EEENS1_48merge_mergepath_partition_config_static_selectorELNS0_4arch9wavefront6targetE1EEEvSE_: ; @_ZN7rocprim17ROCPRIM_400000_NS6detail17trampoline_kernelINS0_14default_configENS1_38merge_sort_block_merge_config_selectorIjyEEZZNS1_27merge_sort_block_merge_implIS3_PjPyjNS1_19radix_merge_compareILb0ELb0EjNS0_19identity_decomposerEEEEE10hipError_tT0_T1_T2_jT3_P12ihipStream_tbPNSt15iterator_traitsISD_E10value_typeEPNSJ_ISE_E10value_typeEPSF_NS1_7vsmem_tEENKUlT_SD_SE_SF_E_clIS7_S7_S8_S8_EESC_SS_SD_SE_SF_EUlSS_E_NS1_11comp_targetILNS1_3genE9ELNS1_11target_archE1100ELNS1_3gpuE3ELNS1_3repE0EEENS1_48merge_mergepath_partition_config_static_selectorELNS0_4arch9wavefront6targetE1EEEvSE_
; %bb.0:
	.section	.rodata,"a",@progbits
	.p2align	6, 0x0
	.amdhsa_kernel _ZN7rocprim17ROCPRIM_400000_NS6detail17trampoline_kernelINS0_14default_configENS1_38merge_sort_block_merge_config_selectorIjyEEZZNS1_27merge_sort_block_merge_implIS3_PjPyjNS1_19radix_merge_compareILb0ELb0EjNS0_19identity_decomposerEEEEE10hipError_tT0_T1_T2_jT3_P12ihipStream_tbPNSt15iterator_traitsISD_E10value_typeEPNSJ_ISE_E10value_typeEPSF_NS1_7vsmem_tEENKUlT_SD_SE_SF_E_clIS7_S7_S8_S8_EESC_SS_SD_SE_SF_EUlSS_E_NS1_11comp_targetILNS1_3genE9ELNS1_11target_archE1100ELNS1_3gpuE3ELNS1_3repE0EEENS1_48merge_mergepath_partition_config_static_selectorELNS0_4arch9wavefront6targetE1EEEvSE_
		.amdhsa_group_segment_fixed_size 0
		.amdhsa_private_segment_fixed_size 0
		.amdhsa_kernarg_size 40
		.amdhsa_user_sgpr_count 6
		.amdhsa_user_sgpr_private_segment_buffer 1
		.amdhsa_user_sgpr_dispatch_ptr 0
		.amdhsa_user_sgpr_queue_ptr 0
		.amdhsa_user_sgpr_kernarg_segment_ptr 1
		.amdhsa_user_sgpr_dispatch_id 0
		.amdhsa_user_sgpr_flat_scratch_init 0
		.amdhsa_user_sgpr_kernarg_preload_length 0
		.amdhsa_user_sgpr_kernarg_preload_offset 0
		.amdhsa_user_sgpr_private_segment_size 0
		.amdhsa_uses_dynamic_stack 0
		.amdhsa_system_sgpr_private_segment_wavefront_offset 0
		.amdhsa_system_sgpr_workgroup_id_x 1
		.amdhsa_system_sgpr_workgroup_id_y 0
		.amdhsa_system_sgpr_workgroup_id_z 0
		.amdhsa_system_sgpr_workgroup_info 0
		.amdhsa_system_vgpr_workitem_id 0
		.amdhsa_next_free_vgpr 1
		.amdhsa_next_free_sgpr 0
		.amdhsa_accum_offset 4
		.amdhsa_reserve_vcc 0
		.amdhsa_reserve_flat_scratch 0
		.amdhsa_float_round_mode_32 0
		.amdhsa_float_round_mode_16_64 0
		.amdhsa_float_denorm_mode_32 3
		.amdhsa_float_denorm_mode_16_64 3
		.amdhsa_dx10_clamp 1
		.amdhsa_ieee_mode 1
		.amdhsa_fp16_overflow 0
		.amdhsa_tg_split 0
		.amdhsa_exception_fp_ieee_invalid_op 0
		.amdhsa_exception_fp_denorm_src 0
		.amdhsa_exception_fp_ieee_div_zero 0
		.amdhsa_exception_fp_ieee_overflow 0
		.amdhsa_exception_fp_ieee_underflow 0
		.amdhsa_exception_fp_ieee_inexact 0
		.amdhsa_exception_int_div_zero 0
	.end_amdhsa_kernel
	.section	.text._ZN7rocprim17ROCPRIM_400000_NS6detail17trampoline_kernelINS0_14default_configENS1_38merge_sort_block_merge_config_selectorIjyEEZZNS1_27merge_sort_block_merge_implIS3_PjPyjNS1_19radix_merge_compareILb0ELb0EjNS0_19identity_decomposerEEEEE10hipError_tT0_T1_T2_jT3_P12ihipStream_tbPNSt15iterator_traitsISD_E10value_typeEPNSJ_ISE_E10value_typeEPSF_NS1_7vsmem_tEENKUlT_SD_SE_SF_E_clIS7_S7_S8_S8_EESC_SS_SD_SE_SF_EUlSS_E_NS1_11comp_targetILNS1_3genE9ELNS1_11target_archE1100ELNS1_3gpuE3ELNS1_3repE0EEENS1_48merge_mergepath_partition_config_static_selectorELNS0_4arch9wavefront6targetE1EEEvSE_,"axG",@progbits,_ZN7rocprim17ROCPRIM_400000_NS6detail17trampoline_kernelINS0_14default_configENS1_38merge_sort_block_merge_config_selectorIjyEEZZNS1_27merge_sort_block_merge_implIS3_PjPyjNS1_19radix_merge_compareILb0ELb0EjNS0_19identity_decomposerEEEEE10hipError_tT0_T1_T2_jT3_P12ihipStream_tbPNSt15iterator_traitsISD_E10value_typeEPNSJ_ISE_E10value_typeEPSF_NS1_7vsmem_tEENKUlT_SD_SE_SF_E_clIS7_S7_S8_S8_EESC_SS_SD_SE_SF_EUlSS_E_NS1_11comp_targetILNS1_3genE9ELNS1_11target_archE1100ELNS1_3gpuE3ELNS1_3repE0EEENS1_48merge_mergepath_partition_config_static_selectorELNS0_4arch9wavefront6targetE1EEEvSE_,comdat
.Lfunc_end468:
	.size	_ZN7rocprim17ROCPRIM_400000_NS6detail17trampoline_kernelINS0_14default_configENS1_38merge_sort_block_merge_config_selectorIjyEEZZNS1_27merge_sort_block_merge_implIS3_PjPyjNS1_19radix_merge_compareILb0ELb0EjNS0_19identity_decomposerEEEEE10hipError_tT0_T1_T2_jT3_P12ihipStream_tbPNSt15iterator_traitsISD_E10value_typeEPNSJ_ISE_E10value_typeEPSF_NS1_7vsmem_tEENKUlT_SD_SE_SF_E_clIS7_S7_S8_S8_EESC_SS_SD_SE_SF_EUlSS_E_NS1_11comp_targetILNS1_3genE9ELNS1_11target_archE1100ELNS1_3gpuE3ELNS1_3repE0EEENS1_48merge_mergepath_partition_config_static_selectorELNS0_4arch9wavefront6targetE1EEEvSE_, .Lfunc_end468-_ZN7rocprim17ROCPRIM_400000_NS6detail17trampoline_kernelINS0_14default_configENS1_38merge_sort_block_merge_config_selectorIjyEEZZNS1_27merge_sort_block_merge_implIS3_PjPyjNS1_19radix_merge_compareILb0ELb0EjNS0_19identity_decomposerEEEEE10hipError_tT0_T1_T2_jT3_P12ihipStream_tbPNSt15iterator_traitsISD_E10value_typeEPNSJ_ISE_E10value_typeEPSF_NS1_7vsmem_tEENKUlT_SD_SE_SF_E_clIS7_S7_S8_S8_EESC_SS_SD_SE_SF_EUlSS_E_NS1_11comp_targetILNS1_3genE9ELNS1_11target_archE1100ELNS1_3gpuE3ELNS1_3repE0EEENS1_48merge_mergepath_partition_config_static_selectorELNS0_4arch9wavefront6targetE1EEEvSE_
                                        ; -- End function
	.section	.AMDGPU.csdata,"",@progbits
; Kernel info:
; codeLenInByte = 0
; NumSgprs: 4
; NumVgprs: 0
; NumAgprs: 0
; TotalNumVgprs: 0
; ScratchSize: 0
; MemoryBound: 0
; FloatMode: 240
; IeeeMode: 1
; LDSByteSize: 0 bytes/workgroup (compile time only)
; SGPRBlocks: 0
; VGPRBlocks: 0
; NumSGPRsForWavesPerEU: 4
; NumVGPRsForWavesPerEU: 1
; AccumOffset: 4
; Occupancy: 8
; WaveLimiterHint : 0
; COMPUTE_PGM_RSRC2:SCRATCH_EN: 0
; COMPUTE_PGM_RSRC2:USER_SGPR: 6
; COMPUTE_PGM_RSRC2:TRAP_HANDLER: 0
; COMPUTE_PGM_RSRC2:TGID_X_EN: 1
; COMPUTE_PGM_RSRC2:TGID_Y_EN: 0
; COMPUTE_PGM_RSRC2:TGID_Z_EN: 0
; COMPUTE_PGM_RSRC2:TIDIG_COMP_CNT: 0
; COMPUTE_PGM_RSRC3_GFX90A:ACCUM_OFFSET: 0
; COMPUTE_PGM_RSRC3_GFX90A:TG_SPLIT: 0
	.section	.text._ZN7rocprim17ROCPRIM_400000_NS6detail17trampoline_kernelINS0_14default_configENS1_38merge_sort_block_merge_config_selectorIjyEEZZNS1_27merge_sort_block_merge_implIS3_PjPyjNS1_19radix_merge_compareILb0ELb0EjNS0_19identity_decomposerEEEEE10hipError_tT0_T1_T2_jT3_P12ihipStream_tbPNSt15iterator_traitsISD_E10value_typeEPNSJ_ISE_E10value_typeEPSF_NS1_7vsmem_tEENKUlT_SD_SE_SF_E_clIS7_S7_S8_S8_EESC_SS_SD_SE_SF_EUlSS_E_NS1_11comp_targetILNS1_3genE8ELNS1_11target_archE1030ELNS1_3gpuE2ELNS1_3repE0EEENS1_48merge_mergepath_partition_config_static_selectorELNS0_4arch9wavefront6targetE1EEEvSE_,"axG",@progbits,_ZN7rocprim17ROCPRIM_400000_NS6detail17trampoline_kernelINS0_14default_configENS1_38merge_sort_block_merge_config_selectorIjyEEZZNS1_27merge_sort_block_merge_implIS3_PjPyjNS1_19radix_merge_compareILb0ELb0EjNS0_19identity_decomposerEEEEE10hipError_tT0_T1_T2_jT3_P12ihipStream_tbPNSt15iterator_traitsISD_E10value_typeEPNSJ_ISE_E10value_typeEPSF_NS1_7vsmem_tEENKUlT_SD_SE_SF_E_clIS7_S7_S8_S8_EESC_SS_SD_SE_SF_EUlSS_E_NS1_11comp_targetILNS1_3genE8ELNS1_11target_archE1030ELNS1_3gpuE2ELNS1_3repE0EEENS1_48merge_mergepath_partition_config_static_selectorELNS0_4arch9wavefront6targetE1EEEvSE_,comdat
	.protected	_ZN7rocprim17ROCPRIM_400000_NS6detail17trampoline_kernelINS0_14default_configENS1_38merge_sort_block_merge_config_selectorIjyEEZZNS1_27merge_sort_block_merge_implIS3_PjPyjNS1_19radix_merge_compareILb0ELb0EjNS0_19identity_decomposerEEEEE10hipError_tT0_T1_T2_jT3_P12ihipStream_tbPNSt15iterator_traitsISD_E10value_typeEPNSJ_ISE_E10value_typeEPSF_NS1_7vsmem_tEENKUlT_SD_SE_SF_E_clIS7_S7_S8_S8_EESC_SS_SD_SE_SF_EUlSS_E_NS1_11comp_targetILNS1_3genE8ELNS1_11target_archE1030ELNS1_3gpuE2ELNS1_3repE0EEENS1_48merge_mergepath_partition_config_static_selectorELNS0_4arch9wavefront6targetE1EEEvSE_ ; -- Begin function _ZN7rocprim17ROCPRIM_400000_NS6detail17trampoline_kernelINS0_14default_configENS1_38merge_sort_block_merge_config_selectorIjyEEZZNS1_27merge_sort_block_merge_implIS3_PjPyjNS1_19radix_merge_compareILb0ELb0EjNS0_19identity_decomposerEEEEE10hipError_tT0_T1_T2_jT3_P12ihipStream_tbPNSt15iterator_traitsISD_E10value_typeEPNSJ_ISE_E10value_typeEPSF_NS1_7vsmem_tEENKUlT_SD_SE_SF_E_clIS7_S7_S8_S8_EESC_SS_SD_SE_SF_EUlSS_E_NS1_11comp_targetILNS1_3genE8ELNS1_11target_archE1030ELNS1_3gpuE2ELNS1_3repE0EEENS1_48merge_mergepath_partition_config_static_selectorELNS0_4arch9wavefront6targetE1EEEvSE_
	.globl	_ZN7rocprim17ROCPRIM_400000_NS6detail17trampoline_kernelINS0_14default_configENS1_38merge_sort_block_merge_config_selectorIjyEEZZNS1_27merge_sort_block_merge_implIS3_PjPyjNS1_19radix_merge_compareILb0ELb0EjNS0_19identity_decomposerEEEEE10hipError_tT0_T1_T2_jT3_P12ihipStream_tbPNSt15iterator_traitsISD_E10value_typeEPNSJ_ISE_E10value_typeEPSF_NS1_7vsmem_tEENKUlT_SD_SE_SF_E_clIS7_S7_S8_S8_EESC_SS_SD_SE_SF_EUlSS_E_NS1_11comp_targetILNS1_3genE8ELNS1_11target_archE1030ELNS1_3gpuE2ELNS1_3repE0EEENS1_48merge_mergepath_partition_config_static_selectorELNS0_4arch9wavefront6targetE1EEEvSE_
	.p2align	8
	.type	_ZN7rocprim17ROCPRIM_400000_NS6detail17trampoline_kernelINS0_14default_configENS1_38merge_sort_block_merge_config_selectorIjyEEZZNS1_27merge_sort_block_merge_implIS3_PjPyjNS1_19radix_merge_compareILb0ELb0EjNS0_19identity_decomposerEEEEE10hipError_tT0_T1_T2_jT3_P12ihipStream_tbPNSt15iterator_traitsISD_E10value_typeEPNSJ_ISE_E10value_typeEPSF_NS1_7vsmem_tEENKUlT_SD_SE_SF_E_clIS7_S7_S8_S8_EESC_SS_SD_SE_SF_EUlSS_E_NS1_11comp_targetILNS1_3genE8ELNS1_11target_archE1030ELNS1_3gpuE2ELNS1_3repE0EEENS1_48merge_mergepath_partition_config_static_selectorELNS0_4arch9wavefront6targetE1EEEvSE_,@function
_ZN7rocprim17ROCPRIM_400000_NS6detail17trampoline_kernelINS0_14default_configENS1_38merge_sort_block_merge_config_selectorIjyEEZZNS1_27merge_sort_block_merge_implIS3_PjPyjNS1_19radix_merge_compareILb0ELb0EjNS0_19identity_decomposerEEEEE10hipError_tT0_T1_T2_jT3_P12ihipStream_tbPNSt15iterator_traitsISD_E10value_typeEPNSJ_ISE_E10value_typeEPSF_NS1_7vsmem_tEENKUlT_SD_SE_SF_E_clIS7_S7_S8_S8_EESC_SS_SD_SE_SF_EUlSS_E_NS1_11comp_targetILNS1_3genE8ELNS1_11target_archE1030ELNS1_3gpuE2ELNS1_3repE0EEENS1_48merge_mergepath_partition_config_static_selectorELNS0_4arch9wavefront6targetE1EEEvSE_: ; @_ZN7rocprim17ROCPRIM_400000_NS6detail17trampoline_kernelINS0_14default_configENS1_38merge_sort_block_merge_config_selectorIjyEEZZNS1_27merge_sort_block_merge_implIS3_PjPyjNS1_19radix_merge_compareILb0ELb0EjNS0_19identity_decomposerEEEEE10hipError_tT0_T1_T2_jT3_P12ihipStream_tbPNSt15iterator_traitsISD_E10value_typeEPNSJ_ISE_E10value_typeEPSF_NS1_7vsmem_tEENKUlT_SD_SE_SF_E_clIS7_S7_S8_S8_EESC_SS_SD_SE_SF_EUlSS_E_NS1_11comp_targetILNS1_3genE8ELNS1_11target_archE1030ELNS1_3gpuE2ELNS1_3repE0EEENS1_48merge_mergepath_partition_config_static_selectorELNS0_4arch9wavefront6targetE1EEEvSE_
; %bb.0:
	.section	.rodata,"a",@progbits
	.p2align	6, 0x0
	.amdhsa_kernel _ZN7rocprim17ROCPRIM_400000_NS6detail17trampoline_kernelINS0_14default_configENS1_38merge_sort_block_merge_config_selectorIjyEEZZNS1_27merge_sort_block_merge_implIS3_PjPyjNS1_19radix_merge_compareILb0ELb0EjNS0_19identity_decomposerEEEEE10hipError_tT0_T1_T2_jT3_P12ihipStream_tbPNSt15iterator_traitsISD_E10value_typeEPNSJ_ISE_E10value_typeEPSF_NS1_7vsmem_tEENKUlT_SD_SE_SF_E_clIS7_S7_S8_S8_EESC_SS_SD_SE_SF_EUlSS_E_NS1_11comp_targetILNS1_3genE8ELNS1_11target_archE1030ELNS1_3gpuE2ELNS1_3repE0EEENS1_48merge_mergepath_partition_config_static_selectorELNS0_4arch9wavefront6targetE1EEEvSE_
		.amdhsa_group_segment_fixed_size 0
		.amdhsa_private_segment_fixed_size 0
		.amdhsa_kernarg_size 40
		.amdhsa_user_sgpr_count 6
		.amdhsa_user_sgpr_private_segment_buffer 1
		.amdhsa_user_sgpr_dispatch_ptr 0
		.amdhsa_user_sgpr_queue_ptr 0
		.amdhsa_user_sgpr_kernarg_segment_ptr 1
		.amdhsa_user_sgpr_dispatch_id 0
		.amdhsa_user_sgpr_flat_scratch_init 0
		.amdhsa_user_sgpr_kernarg_preload_length 0
		.amdhsa_user_sgpr_kernarg_preload_offset 0
		.amdhsa_user_sgpr_private_segment_size 0
		.amdhsa_uses_dynamic_stack 0
		.amdhsa_system_sgpr_private_segment_wavefront_offset 0
		.amdhsa_system_sgpr_workgroup_id_x 1
		.amdhsa_system_sgpr_workgroup_id_y 0
		.amdhsa_system_sgpr_workgroup_id_z 0
		.amdhsa_system_sgpr_workgroup_info 0
		.amdhsa_system_vgpr_workitem_id 0
		.amdhsa_next_free_vgpr 1
		.amdhsa_next_free_sgpr 0
		.amdhsa_accum_offset 4
		.amdhsa_reserve_vcc 0
		.amdhsa_reserve_flat_scratch 0
		.amdhsa_float_round_mode_32 0
		.amdhsa_float_round_mode_16_64 0
		.amdhsa_float_denorm_mode_32 3
		.amdhsa_float_denorm_mode_16_64 3
		.amdhsa_dx10_clamp 1
		.amdhsa_ieee_mode 1
		.amdhsa_fp16_overflow 0
		.amdhsa_tg_split 0
		.amdhsa_exception_fp_ieee_invalid_op 0
		.amdhsa_exception_fp_denorm_src 0
		.amdhsa_exception_fp_ieee_div_zero 0
		.amdhsa_exception_fp_ieee_overflow 0
		.amdhsa_exception_fp_ieee_underflow 0
		.amdhsa_exception_fp_ieee_inexact 0
		.amdhsa_exception_int_div_zero 0
	.end_amdhsa_kernel
	.section	.text._ZN7rocprim17ROCPRIM_400000_NS6detail17trampoline_kernelINS0_14default_configENS1_38merge_sort_block_merge_config_selectorIjyEEZZNS1_27merge_sort_block_merge_implIS3_PjPyjNS1_19radix_merge_compareILb0ELb0EjNS0_19identity_decomposerEEEEE10hipError_tT0_T1_T2_jT3_P12ihipStream_tbPNSt15iterator_traitsISD_E10value_typeEPNSJ_ISE_E10value_typeEPSF_NS1_7vsmem_tEENKUlT_SD_SE_SF_E_clIS7_S7_S8_S8_EESC_SS_SD_SE_SF_EUlSS_E_NS1_11comp_targetILNS1_3genE8ELNS1_11target_archE1030ELNS1_3gpuE2ELNS1_3repE0EEENS1_48merge_mergepath_partition_config_static_selectorELNS0_4arch9wavefront6targetE1EEEvSE_,"axG",@progbits,_ZN7rocprim17ROCPRIM_400000_NS6detail17trampoline_kernelINS0_14default_configENS1_38merge_sort_block_merge_config_selectorIjyEEZZNS1_27merge_sort_block_merge_implIS3_PjPyjNS1_19radix_merge_compareILb0ELb0EjNS0_19identity_decomposerEEEEE10hipError_tT0_T1_T2_jT3_P12ihipStream_tbPNSt15iterator_traitsISD_E10value_typeEPNSJ_ISE_E10value_typeEPSF_NS1_7vsmem_tEENKUlT_SD_SE_SF_E_clIS7_S7_S8_S8_EESC_SS_SD_SE_SF_EUlSS_E_NS1_11comp_targetILNS1_3genE8ELNS1_11target_archE1030ELNS1_3gpuE2ELNS1_3repE0EEENS1_48merge_mergepath_partition_config_static_selectorELNS0_4arch9wavefront6targetE1EEEvSE_,comdat
.Lfunc_end469:
	.size	_ZN7rocprim17ROCPRIM_400000_NS6detail17trampoline_kernelINS0_14default_configENS1_38merge_sort_block_merge_config_selectorIjyEEZZNS1_27merge_sort_block_merge_implIS3_PjPyjNS1_19radix_merge_compareILb0ELb0EjNS0_19identity_decomposerEEEEE10hipError_tT0_T1_T2_jT3_P12ihipStream_tbPNSt15iterator_traitsISD_E10value_typeEPNSJ_ISE_E10value_typeEPSF_NS1_7vsmem_tEENKUlT_SD_SE_SF_E_clIS7_S7_S8_S8_EESC_SS_SD_SE_SF_EUlSS_E_NS1_11comp_targetILNS1_3genE8ELNS1_11target_archE1030ELNS1_3gpuE2ELNS1_3repE0EEENS1_48merge_mergepath_partition_config_static_selectorELNS0_4arch9wavefront6targetE1EEEvSE_, .Lfunc_end469-_ZN7rocprim17ROCPRIM_400000_NS6detail17trampoline_kernelINS0_14default_configENS1_38merge_sort_block_merge_config_selectorIjyEEZZNS1_27merge_sort_block_merge_implIS3_PjPyjNS1_19radix_merge_compareILb0ELb0EjNS0_19identity_decomposerEEEEE10hipError_tT0_T1_T2_jT3_P12ihipStream_tbPNSt15iterator_traitsISD_E10value_typeEPNSJ_ISE_E10value_typeEPSF_NS1_7vsmem_tEENKUlT_SD_SE_SF_E_clIS7_S7_S8_S8_EESC_SS_SD_SE_SF_EUlSS_E_NS1_11comp_targetILNS1_3genE8ELNS1_11target_archE1030ELNS1_3gpuE2ELNS1_3repE0EEENS1_48merge_mergepath_partition_config_static_selectorELNS0_4arch9wavefront6targetE1EEEvSE_
                                        ; -- End function
	.section	.AMDGPU.csdata,"",@progbits
; Kernel info:
; codeLenInByte = 0
; NumSgprs: 4
; NumVgprs: 0
; NumAgprs: 0
; TotalNumVgprs: 0
; ScratchSize: 0
; MemoryBound: 0
; FloatMode: 240
; IeeeMode: 1
; LDSByteSize: 0 bytes/workgroup (compile time only)
; SGPRBlocks: 0
; VGPRBlocks: 0
; NumSGPRsForWavesPerEU: 4
; NumVGPRsForWavesPerEU: 1
; AccumOffset: 4
; Occupancy: 8
; WaveLimiterHint : 0
; COMPUTE_PGM_RSRC2:SCRATCH_EN: 0
; COMPUTE_PGM_RSRC2:USER_SGPR: 6
; COMPUTE_PGM_RSRC2:TRAP_HANDLER: 0
; COMPUTE_PGM_RSRC2:TGID_X_EN: 1
; COMPUTE_PGM_RSRC2:TGID_Y_EN: 0
; COMPUTE_PGM_RSRC2:TGID_Z_EN: 0
; COMPUTE_PGM_RSRC2:TIDIG_COMP_CNT: 0
; COMPUTE_PGM_RSRC3_GFX90A:ACCUM_OFFSET: 0
; COMPUTE_PGM_RSRC3_GFX90A:TG_SPLIT: 0
	.section	.text._ZN7rocprim17ROCPRIM_400000_NS6detail17trampoline_kernelINS0_14default_configENS1_38merge_sort_block_merge_config_selectorIjyEEZZNS1_27merge_sort_block_merge_implIS3_PjPyjNS1_19radix_merge_compareILb0ELb0EjNS0_19identity_decomposerEEEEE10hipError_tT0_T1_T2_jT3_P12ihipStream_tbPNSt15iterator_traitsISD_E10value_typeEPNSJ_ISE_E10value_typeEPSF_NS1_7vsmem_tEENKUlT_SD_SE_SF_E_clIS7_S7_S8_S8_EESC_SS_SD_SE_SF_EUlSS_E0_NS1_11comp_targetILNS1_3genE0ELNS1_11target_archE4294967295ELNS1_3gpuE0ELNS1_3repE0EEENS1_38merge_mergepath_config_static_selectorELNS0_4arch9wavefront6targetE1EEEvSE_,"axG",@progbits,_ZN7rocprim17ROCPRIM_400000_NS6detail17trampoline_kernelINS0_14default_configENS1_38merge_sort_block_merge_config_selectorIjyEEZZNS1_27merge_sort_block_merge_implIS3_PjPyjNS1_19radix_merge_compareILb0ELb0EjNS0_19identity_decomposerEEEEE10hipError_tT0_T1_T2_jT3_P12ihipStream_tbPNSt15iterator_traitsISD_E10value_typeEPNSJ_ISE_E10value_typeEPSF_NS1_7vsmem_tEENKUlT_SD_SE_SF_E_clIS7_S7_S8_S8_EESC_SS_SD_SE_SF_EUlSS_E0_NS1_11comp_targetILNS1_3genE0ELNS1_11target_archE4294967295ELNS1_3gpuE0ELNS1_3repE0EEENS1_38merge_mergepath_config_static_selectorELNS0_4arch9wavefront6targetE1EEEvSE_,comdat
	.protected	_ZN7rocprim17ROCPRIM_400000_NS6detail17trampoline_kernelINS0_14default_configENS1_38merge_sort_block_merge_config_selectorIjyEEZZNS1_27merge_sort_block_merge_implIS3_PjPyjNS1_19radix_merge_compareILb0ELb0EjNS0_19identity_decomposerEEEEE10hipError_tT0_T1_T2_jT3_P12ihipStream_tbPNSt15iterator_traitsISD_E10value_typeEPNSJ_ISE_E10value_typeEPSF_NS1_7vsmem_tEENKUlT_SD_SE_SF_E_clIS7_S7_S8_S8_EESC_SS_SD_SE_SF_EUlSS_E0_NS1_11comp_targetILNS1_3genE0ELNS1_11target_archE4294967295ELNS1_3gpuE0ELNS1_3repE0EEENS1_38merge_mergepath_config_static_selectorELNS0_4arch9wavefront6targetE1EEEvSE_ ; -- Begin function _ZN7rocprim17ROCPRIM_400000_NS6detail17trampoline_kernelINS0_14default_configENS1_38merge_sort_block_merge_config_selectorIjyEEZZNS1_27merge_sort_block_merge_implIS3_PjPyjNS1_19radix_merge_compareILb0ELb0EjNS0_19identity_decomposerEEEEE10hipError_tT0_T1_T2_jT3_P12ihipStream_tbPNSt15iterator_traitsISD_E10value_typeEPNSJ_ISE_E10value_typeEPSF_NS1_7vsmem_tEENKUlT_SD_SE_SF_E_clIS7_S7_S8_S8_EESC_SS_SD_SE_SF_EUlSS_E0_NS1_11comp_targetILNS1_3genE0ELNS1_11target_archE4294967295ELNS1_3gpuE0ELNS1_3repE0EEENS1_38merge_mergepath_config_static_selectorELNS0_4arch9wavefront6targetE1EEEvSE_
	.globl	_ZN7rocprim17ROCPRIM_400000_NS6detail17trampoline_kernelINS0_14default_configENS1_38merge_sort_block_merge_config_selectorIjyEEZZNS1_27merge_sort_block_merge_implIS3_PjPyjNS1_19radix_merge_compareILb0ELb0EjNS0_19identity_decomposerEEEEE10hipError_tT0_T1_T2_jT3_P12ihipStream_tbPNSt15iterator_traitsISD_E10value_typeEPNSJ_ISE_E10value_typeEPSF_NS1_7vsmem_tEENKUlT_SD_SE_SF_E_clIS7_S7_S8_S8_EESC_SS_SD_SE_SF_EUlSS_E0_NS1_11comp_targetILNS1_3genE0ELNS1_11target_archE4294967295ELNS1_3gpuE0ELNS1_3repE0EEENS1_38merge_mergepath_config_static_selectorELNS0_4arch9wavefront6targetE1EEEvSE_
	.p2align	8
	.type	_ZN7rocprim17ROCPRIM_400000_NS6detail17trampoline_kernelINS0_14default_configENS1_38merge_sort_block_merge_config_selectorIjyEEZZNS1_27merge_sort_block_merge_implIS3_PjPyjNS1_19radix_merge_compareILb0ELb0EjNS0_19identity_decomposerEEEEE10hipError_tT0_T1_T2_jT3_P12ihipStream_tbPNSt15iterator_traitsISD_E10value_typeEPNSJ_ISE_E10value_typeEPSF_NS1_7vsmem_tEENKUlT_SD_SE_SF_E_clIS7_S7_S8_S8_EESC_SS_SD_SE_SF_EUlSS_E0_NS1_11comp_targetILNS1_3genE0ELNS1_11target_archE4294967295ELNS1_3gpuE0ELNS1_3repE0EEENS1_38merge_mergepath_config_static_selectorELNS0_4arch9wavefront6targetE1EEEvSE_,@function
_ZN7rocprim17ROCPRIM_400000_NS6detail17trampoline_kernelINS0_14default_configENS1_38merge_sort_block_merge_config_selectorIjyEEZZNS1_27merge_sort_block_merge_implIS3_PjPyjNS1_19radix_merge_compareILb0ELb0EjNS0_19identity_decomposerEEEEE10hipError_tT0_T1_T2_jT3_P12ihipStream_tbPNSt15iterator_traitsISD_E10value_typeEPNSJ_ISE_E10value_typeEPSF_NS1_7vsmem_tEENKUlT_SD_SE_SF_E_clIS7_S7_S8_S8_EESC_SS_SD_SE_SF_EUlSS_E0_NS1_11comp_targetILNS1_3genE0ELNS1_11target_archE4294967295ELNS1_3gpuE0ELNS1_3repE0EEENS1_38merge_mergepath_config_static_selectorELNS0_4arch9wavefront6targetE1EEEvSE_: ; @_ZN7rocprim17ROCPRIM_400000_NS6detail17trampoline_kernelINS0_14default_configENS1_38merge_sort_block_merge_config_selectorIjyEEZZNS1_27merge_sort_block_merge_implIS3_PjPyjNS1_19radix_merge_compareILb0ELb0EjNS0_19identity_decomposerEEEEE10hipError_tT0_T1_T2_jT3_P12ihipStream_tbPNSt15iterator_traitsISD_E10value_typeEPNSJ_ISE_E10value_typeEPSF_NS1_7vsmem_tEENKUlT_SD_SE_SF_E_clIS7_S7_S8_S8_EESC_SS_SD_SE_SF_EUlSS_E0_NS1_11comp_targetILNS1_3genE0ELNS1_11target_archE4294967295ELNS1_3gpuE0ELNS1_3repE0EEENS1_38merge_mergepath_config_static_selectorELNS0_4arch9wavefront6targetE1EEEvSE_
; %bb.0:
	.section	.rodata,"a",@progbits
	.p2align	6, 0x0
	.amdhsa_kernel _ZN7rocprim17ROCPRIM_400000_NS6detail17trampoline_kernelINS0_14default_configENS1_38merge_sort_block_merge_config_selectorIjyEEZZNS1_27merge_sort_block_merge_implIS3_PjPyjNS1_19radix_merge_compareILb0ELb0EjNS0_19identity_decomposerEEEEE10hipError_tT0_T1_T2_jT3_P12ihipStream_tbPNSt15iterator_traitsISD_E10value_typeEPNSJ_ISE_E10value_typeEPSF_NS1_7vsmem_tEENKUlT_SD_SE_SF_E_clIS7_S7_S8_S8_EESC_SS_SD_SE_SF_EUlSS_E0_NS1_11comp_targetILNS1_3genE0ELNS1_11target_archE4294967295ELNS1_3gpuE0ELNS1_3repE0EEENS1_38merge_mergepath_config_static_selectorELNS0_4arch9wavefront6targetE1EEEvSE_
		.amdhsa_group_segment_fixed_size 0
		.amdhsa_private_segment_fixed_size 0
		.amdhsa_kernarg_size 64
		.amdhsa_user_sgpr_count 6
		.amdhsa_user_sgpr_private_segment_buffer 1
		.amdhsa_user_sgpr_dispatch_ptr 0
		.amdhsa_user_sgpr_queue_ptr 0
		.amdhsa_user_sgpr_kernarg_segment_ptr 1
		.amdhsa_user_sgpr_dispatch_id 0
		.amdhsa_user_sgpr_flat_scratch_init 0
		.amdhsa_user_sgpr_kernarg_preload_length 0
		.amdhsa_user_sgpr_kernarg_preload_offset 0
		.amdhsa_user_sgpr_private_segment_size 0
		.amdhsa_uses_dynamic_stack 0
		.amdhsa_system_sgpr_private_segment_wavefront_offset 0
		.amdhsa_system_sgpr_workgroup_id_x 1
		.amdhsa_system_sgpr_workgroup_id_y 0
		.amdhsa_system_sgpr_workgroup_id_z 0
		.amdhsa_system_sgpr_workgroup_info 0
		.amdhsa_system_vgpr_workitem_id 0
		.amdhsa_next_free_vgpr 1
		.amdhsa_next_free_sgpr 0
		.amdhsa_accum_offset 4
		.amdhsa_reserve_vcc 0
		.amdhsa_reserve_flat_scratch 0
		.amdhsa_float_round_mode_32 0
		.amdhsa_float_round_mode_16_64 0
		.amdhsa_float_denorm_mode_32 3
		.amdhsa_float_denorm_mode_16_64 3
		.amdhsa_dx10_clamp 1
		.amdhsa_ieee_mode 1
		.amdhsa_fp16_overflow 0
		.amdhsa_tg_split 0
		.amdhsa_exception_fp_ieee_invalid_op 0
		.amdhsa_exception_fp_denorm_src 0
		.amdhsa_exception_fp_ieee_div_zero 0
		.amdhsa_exception_fp_ieee_overflow 0
		.amdhsa_exception_fp_ieee_underflow 0
		.amdhsa_exception_fp_ieee_inexact 0
		.amdhsa_exception_int_div_zero 0
	.end_amdhsa_kernel
	.section	.text._ZN7rocprim17ROCPRIM_400000_NS6detail17trampoline_kernelINS0_14default_configENS1_38merge_sort_block_merge_config_selectorIjyEEZZNS1_27merge_sort_block_merge_implIS3_PjPyjNS1_19radix_merge_compareILb0ELb0EjNS0_19identity_decomposerEEEEE10hipError_tT0_T1_T2_jT3_P12ihipStream_tbPNSt15iterator_traitsISD_E10value_typeEPNSJ_ISE_E10value_typeEPSF_NS1_7vsmem_tEENKUlT_SD_SE_SF_E_clIS7_S7_S8_S8_EESC_SS_SD_SE_SF_EUlSS_E0_NS1_11comp_targetILNS1_3genE0ELNS1_11target_archE4294967295ELNS1_3gpuE0ELNS1_3repE0EEENS1_38merge_mergepath_config_static_selectorELNS0_4arch9wavefront6targetE1EEEvSE_,"axG",@progbits,_ZN7rocprim17ROCPRIM_400000_NS6detail17trampoline_kernelINS0_14default_configENS1_38merge_sort_block_merge_config_selectorIjyEEZZNS1_27merge_sort_block_merge_implIS3_PjPyjNS1_19radix_merge_compareILb0ELb0EjNS0_19identity_decomposerEEEEE10hipError_tT0_T1_T2_jT3_P12ihipStream_tbPNSt15iterator_traitsISD_E10value_typeEPNSJ_ISE_E10value_typeEPSF_NS1_7vsmem_tEENKUlT_SD_SE_SF_E_clIS7_S7_S8_S8_EESC_SS_SD_SE_SF_EUlSS_E0_NS1_11comp_targetILNS1_3genE0ELNS1_11target_archE4294967295ELNS1_3gpuE0ELNS1_3repE0EEENS1_38merge_mergepath_config_static_selectorELNS0_4arch9wavefront6targetE1EEEvSE_,comdat
.Lfunc_end470:
	.size	_ZN7rocprim17ROCPRIM_400000_NS6detail17trampoline_kernelINS0_14default_configENS1_38merge_sort_block_merge_config_selectorIjyEEZZNS1_27merge_sort_block_merge_implIS3_PjPyjNS1_19radix_merge_compareILb0ELb0EjNS0_19identity_decomposerEEEEE10hipError_tT0_T1_T2_jT3_P12ihipStream_tbPNSt15iterator_traitsISD_E10value_typeEPNSJ_ISE_E10value_typeEPSF_NS1_7vsmem_tEENKUlT_SD_SE_SF_E_clIS7_S7_S8_S8_EESC_SS_SD_SE_SF_EUlSS_E0_NS1_11comp_targetILNS1_3genE0ELNS1_11target_archE4294967295ELNS1_3gpuE0ELNS1_3repE0EEENS1_38merge_mergepath_config_static_selectorELNS0_4arch9wavefront6targetE1EEEvSE_, .Lfunc_end470-_ZN7rocprim17ROCPRIM_400000_NS6detail17trampoline_kernelINS0_14default_configENS1_38merge_sort_block_merge_config_selectorIjyEEZZNS1_27merge_sort_block_merge_implIS3_PjPyjNS1_19radix_merge_compareILb0ELb0EjNS0_19identity_decomposerEEEEE10hipError_tT0_T1_T2_jT3_P12ihipStream_tbPNSt15iterator_traitsISD_E10value_typeEPNSJ_ISE_E10value_typeEPSF_NS1_7vsmem_tEENKUlT_SD_SE_SF_E_clIS7_S7_S8_S8_EESC_SS_SD_SE_SF_EUlSS_E0_NS1_11comp_targetILNS1_3genE0ELNS1_11target_archE4294967295ELNS1_3gpuE0ELNS1_3repE0EEENS1_38merge_mergepath_config_static_selectorELNS0_4arch9wavefront6targetE1EEEvSE_
                                        ; -- End function
	.section	.AMDGPU.csdata,"",@progbits
; Kernel info:
; codeLenInByte = 0
; NumSgprs: 4
; NumVgprs: 0
; NumAgprs: 0
; TotalNumVgprs: 0
; ScratchSize: 0
; MemoryBound: 0
; FloatMode: 240
; IeeeMode: 1
; LDSByteSize: 0 bytes/workgroup (compile time only)
; SGPRBlocks: 0
; VGPRBlocks: 0
; NumSGPRsForWavesPerEU: 4
; NumVGPRsForWavesPerEU: 1
; AccumOffset: 4
; Occupancy: 8
; WaveLimiterHint : 0
; COMPUTE_PGM_RSRC2:SCRATCH_EN: 0
; COMPUTE_PGM_RSRC2:USER_SGPR: 6
; COMPUTE_PGM_RSRC2:TRAP_HANDLER: 0
; COMPUTE_PGM_RSRC2:TGID_X_EN: 1
; COMPUTE_PGM_RSRC2:TGID_Y_EN: 0
; COMPUTE_PGM_RSRC2:TGID_Z_EN: 0
; COMPUTE_PGM_RSRC2:TIDIG_COMP_CNT: 0
; COMPUTE_PGM_RSRC3_GFX90A:ACCUM_OFFSET: 0
; COMPUTE_PGM_RSRC3_GFX90A:TG_SPLIT: 0
	.section	.text._ZN7rocprim17ROCPRIM_400000_NS6detail17trampoline_kernelINS0_14default_configENS1_38merge_sort_block_merge_config_selectorIjyEEZZNS1_27merge_sort_block_merge_implIS3_PjPyjNS1_19radix_merge_compareILb0ELb0EjNS0_19identity_decomposerEEEEE10hipError_tT0_T1_T2_jT3_P12ihipStream_tbPNSt15iterator_traitsISD_E10value_typeEPNSJ_ISE_E10value_typeEPSF_NS1_7vsmem_tEENKUlT_SD_SE_SF_E_clIS7_S7_S8_S8_EESC_SS_SD_SE_SF_EUlSS_E0_NS1_11comp_targetILNS1_3genE10ELNS1_11target_archE1201ELNS1_3gpuE5ELNS1_3repE0EEENS1_38merge_mergepath_config_static_selectorELNS0_4arch9wavefront6targetE1EEEvSE_,"axG",@progbits,_ZN7rocprim17ROCPRIM_400000_NS6detail17trampoline_kernelINS0_14default_configENS1_38merge_sort_block_merge_config_selectorIjyEEZZNS1_27merge_sort_block_merge_implIS3_PjPyjNS1_19radix_merge_compareILb0ELb0EjNS0_19identity_decomposerEEEEE10hipError_tT0_T1_T2_jT3_P12ihipStream_tbPNSt15iterator_traitsISD_E10value_typeEPNSJ_ISE_E10value_typeEPSF_NS1_7vsmem_tEENKUlT_SD_SE_SF_E_clIS7_S7_S8_S8_EESC_SS_SD_SE_SF_EUlSS_E0_NS1_11comp_targetILNS1_3genE10ELNS1_11target_archE1201ELNS1_3gpuE5ELNS1_3repE0EEENS1_38merge_mergepath_config_static_selectorELNS0_4arch9wavefront6targetE1EEEvSE_,comdat
	.protected	_ZN7rocprim17ROCPRIM_400000_NS6detail17trampoline_kernelINS0_14default_configENS1_38merge_sort_block_merge_config_selectorIjyEEZZNS1_27merge_sort_block_merge_implIS3_PjPyjNS1_19radix_merge_compareILb0ELb0EjNS0_19identity_decomposerEEEEE10hipError_tT0_T1_T2_jT3_P12ihipStream_tbPNSt15iterator_traitsISD_E10value_typeEPNSJ_ISE_E10value_typeEPSF_NS1_7vsmem_tEENKUlT_SD_SE_SF_E_clIS7_S7_S8_S8_EESC_SS_SD_SE_SF_EUlSS_E0_NS1_11comp_targetILNS1_3genE10ELNS1_11target_archE1201ELNS1_3gpuE5ELNS1_3repE0EEENS1_38merge_mergepath_config_static_selectorELNS0_4arch9wavefront6targetE1EEEvSE_ ; -- Begin function _ZN7rocprim17ROCPRIM_400000_NS6detail17trampoline_kernelINS0_14default_configENS1_38merge_sort_block_merge_config_selectorIjyEEZZNS1_27merge_sort_block_merge_implIS3_PjPyjNS1_19radix_merge_compareILb0ELb0EjNS0_19identity_decomposerEEEEE10hipError_tT0_T1_T2_jT3_P12ihipStream_tbPNSt15iterator_traitsISD_E10value_typeEPNSJ_ISE_E10value_typeEPSF_NS1_7vsmem_tEENKUlT_SD_SE_SF_E_clIS7_S7_S8_S8_EESC_SS_SD_SE_SF_EUlSS_E0_NS1_11comp_targetILNS1_3genE10ELNS1_11target_archE1201ELNS1_3gpuE5ELNS1_3repE0EEENS1_38merge_mergepath_config_static_selectorELNS0_4arch9wavefront6targetE1EEEvSE_
	.globl	_ZN7rocprim17ROCPRIM_400000_NS6detail17trampoline_kernelINS0_14default_configENS1_38merge_sort_block_merge_config_selectorIjyEEZZNS1_27merge_sort_block_merge_implIS3_PjPyjNS1_19radix_merge_compareILb0ELb0EjNS0_19identity_decomposerEEEEE10hipError_tT0_T1_T2_jT3_P12ihipStream_tbPNSt15iterator_traitsISD_E10value_typeEPNSJ_ISE_E10value_typeEPSF_NS1_7vsmem_tEENKUlT_SD_SE_SF_E_clIS7_S7_S8_S8_EESC_SS_SD_SE_SF_EUlSS_E0_NS1_11comp_targetILNS1_3genE10ELNS1_11target_archE1201ELNS1_3gpuE5ELNS1_3repE0EEENS1_38merge_mergepath_config_static_selectorELNS0_4arch9wavefront6targetE1EEEvSE_
	.p2align	8
	.type	_ZN7rocprim17ROCPRIM_400000_NS6detail17trampoline_kernelINS0_14default_configENS1_38merge_sort_block_merge_config_selectorIjyEEZZNS1_27merge_sort_block_merge_implIS3_PjPyjNS1_19radix_merge_compareILb0ELb0EjNS0_19identity_decomposerEEEEE10hipError_tT0_T1_T2_jT3_P12ihipStream_tbPNSt15iterator_traitsISD_E10value_typeEPNSJ_ISE_E10value_typeEPSF_NS1_7vsmem_tEENKUlT_SD_SE_SF_E_clIS7_S7_S8_S8_EESC_SS_SD_SE_SF_EUlSS_E0_NS1_11comp_targetILNS1_3genE10ELNS1_11target_archE1201ELNS1_3gpuE5ELNS1_3repE0EEENS1_38merge_mergepath_config_static_selectorELNS0_4arch9wavefront6targetE1EEEvSE_,@function
_ZN7rocprim17ROCPRIM_400000_NS6detail17trampoline_kernelINS0_14default_configENS1_38merge_sort_block_merge_config_selectorIjyEEZZNS1_27merge_sort_block_merge_implIS3_PjPyjNS1_19radix_merge_compareILb0ELb0EjNS0_19identity_decomposerEEEEE10hipError_tT0_T1_T2_jT3_P12ihipStream_tbPNSt15iterator_traitsISD_E10value_typeEPNSJ_ISE_E10value_typeEPSF_NS1_7vsmem_tEENKUlT_SD_SE_SF_E_clIS7_S7_S8_S8_EESC_SS_SD_SE_SF_EUlSS_E0_NS1_11comp_targetILNS1_3genE10ELNS1_11target_archE1201ELNS1_3gpuE5ELNS1_3repE0EEENS1_38merge_mergepath_config_static_selectorELNS0_4arch9wavefront6targetE1EEEvSE_: ; @_ZN7rocprim17ROCPRIM_400000_NS6detail17trampoline_kernelINS0_14default_configENS1_38merge_sort_block_merge_config_selectorIjyEEZZNS1_27merge_sort_block_merge_implIS3_PjPyjNS1_19radix_merge_compareILb0ELb0EjNS0_19identity_decomposerEEEEE10hipError_tT0_T1_T2_jT3_P12ihipStream_tbPNSt15iterator_traitsISD_E10value_typeEPNSJ_ISE_E10value_typeEPSF_NS1_7vsmem_tEENKUlT_SD_SE_SF_E_clIS7_S7_S8_S8_EESC_SS_SD_SE_SF_EUlSS_E0_NS1_11comp_targetILNS1_3genE10ELNS1_11target_archE1201ELNS1_3gpuE5ELNS1_3repE0EEENS1_38merge_mergepath_config_static_selectorELNS0_4arch9wavefront6targetE1EEEvSE_
; %bb.0:
	.section	.rodata,"a",@progbits
	.p2align	6, 0x0
	.amdhsa_kernel _ZN7rocprim17ROCPRIM_400000_NS6detail17trampoline_kernelINS0_14default_configENS1_38merge_sort_block_merge_config_selectorIjyEEZZNS1_27merge_sort_block_merge_implIS3_PjPyjNS1_19radix_merge_compareILb0ELb0EjNS0_19identity_decomposerEEEEE10hipError_tT0_T1_T2_jT3_P12ihipStream_tbPNSt15iterator_traitsISD_E10value_typeEPNSJ_ISE_E10value_typeEPSF_NS1_7vsmem_tEENKUlT_SD_SE_SF_E_clIS7_S7_S8_S8_EESC_SS_SD_SE_SF_EUlSS_E0_NS1_11comp_targetILNS1_3genE10ELNS1_11target_archE1201ELNS1_3gpuE5ELNS1_3repE0EEENS1_38merge_mergepath_config_static_selectorELNS0_4arch9wavefront6targetE1EEEvSE_
		.amdhsa_group_segment_fixed_size 0
		.amdhsa_private_segment_fixed_size 0
		.amdhsa_kernarg_size 64
		.amdhsa_user_sgpr_count 6
		.amdhsa_user_sgpr_private_segment_buffer 1
		.amdhsa_user_sgpr_dispatch_ptr 0
		.amdhsa_user_sgpr_queue_ptr 0
		.amdhsa_user_sgpr_kernarg_segment_ptr 1
		.amdhsa_user_sgpr_dispatch_id 0
		.amdhsa_user_sgpr_flat_scratch_init 0
		.amdhsa_user_sgpr_kernarg_preload_length 0
		.amdhsa_user_sgpr_kernarg_preload_offset 0
		.amdhsa_user_sgpr_private_segment_size 0
		.amdhsa_uses_dynamic_stack 0
		.amdhsa_system_sgpr_private_segment_wavefront_offset 0
		.amdhsa_system_sgpr_workgroup_id_x 1
		.amdhsa_system_sgpr_workgroup_id_y 0
		.amdhsa_system_sgpr_workgroup_id_z 0
		.amdhsa_system_sgpr_workgroup_info 0
		.amdhsa_system_vgpr_workitem_id 0
		.amdhsa_next_free_vgpr 1
		.amdhsa_next_free_sgpr 0
		.amdhsa_accum_offset 4
		.amdhsa_reserve_vcc 0
		.amdhsa_reserve_flat_scratch 0
		.amdhsa_float_round_mode_32 0
		.amdhsa_float_round_mode_16_64 0
		.amdhsa_float_denorm_mode_32 3
		.amdhsa_float_denorm_mode_16_64 3
		.amdhsa_dx10_clamp 1
		.amdhsa_ieee_mode 1
		.amdhsa_fp16_overflow 0
		.amdhsa_tg_split 0
		.amdhsa_exception_fp_ieee_invalid_op 0
		.amdhsa_exception_fp_denorm_src 0
		.amdhsa_exception_fp_ieee_div_zero 0
		.amdhsa_exception_fp_ieee_overflow 0
		.amdhsa_exception_fp_ieee_underflow 0
		.amdhsa_exception_fp_ieee_inexact 0
		.amdhsa_exception_int_div_zero 0
	.end_amdhsa_kernel
	.section	.text._ZN7rocprim17ROCPRIM_400000_NS6detail17trampoline_kernelINS0_14default_configENS1_38merge_sort_block_merge_config_selectorIjyEEZZNS1_27merge_sort_block_merge_implIS3_PjPyjNS1_19radix_merge_compareILb0ELb0EjNS0_19identity_decomposerEEEEE10hipError_tT0_T1_T2_jT3_P12ihipStream_tbPNSt15iterator_traitsISD_E10value_typeEPNSJ_ISE_E10value_typeEPSF_NS1_7vsmem_tEENKUlT_SD_SE_SF_E_clIS7_S7_S8_S8_EESC_SS_SD_SE_SF_EUlSS_E0_NS1_11comp_targetILNS1_3genE10ELNS1_11target_archE1201ELNS1_3gpuE5ELNS1_3repE0EEENS1_38merge_mergepath_config_static_selectorELNS0_4arch9wavefront6targetE1EEEvSE_,"axG",@progbits,_ZN7rocprim17ROCPRIM_400000_NS6detail17trampoline_kernelINS0_14default_configENS1_38merge_sort_block_merge_config_selectorIjyEEZZNS1_27merge_sort_block_merge_implIS3_PjPyjNS1_19radix_merge_compareILb0ELb0EjNS0_19identity_decomposerEEEEE10hipError_tT0_T1_T2_jT3_P12ihipStream_tbPNSt15iterator_traitsISD_E10value_typeEPNSJ_ISE_E10value_typeEPSF_NS1_7vsmem_tEENKUlT_SD_SE_SF_E_clIS7_S7_S8_S8_EESC_SS_SD_SE_SF_EUlSS_E0_NS1_11comp_targetILNS1_3genE10ELNS1_11target_archE1201ELNS1_3gpuE5ELNS1_3repE0EEENS1_38merge_mergepath_config_static_selectorELNS0_4arch9wavefront6targetE1EEEvSE_,comdat
.Lfunc_end471:
	.size	_ZN7rocprim17ROCPRIM_400000_NS6detail17trampoline_kernelINS0_14default_configENS1_38merge_sort_block_merge_config_selectorIjyEEZZNS1_27merge_sort_block_merge_implIS3_PjPyjNS1_19radix_merge_compareILb0ELb0EjNS0_19identity_decomposerEEEEE10hipError_tT0_T1_T2_jT3_P12ihipStream_tbPNSt15iterator_traitsISD_E10value_typeEPNSJ_ISE_E10value_typeEPSF_NS1_7vsmem_tEENKUlT_SD_SE_SF_E_clIS7_S7_S8_S8_EESC_SS_SD_SE_SF_EUlSS_E0_NS1_11comp_targetILNS1_3genE10ELNS1_11target_archE1201ELNS1_3gpuE5ELNS1_3repE0EEENS1_38merge_mergepath_config_static_selectorELNS0_4arch9wavefront6targetE1EEEvSE_, .Lfunc_end471-_ZN7rocprim17ROCPRIM_400000_NS6detail17trampoline_kernelINS0_14default_configENS1_38merge_sort_block_merge_config_selectorIjyEEZZNS1_27merge_sort_block_merge_implIS3_PjPyjNS1_19radix_merge_compareILb0ELb0EjNS0_19identity_decomposerEEEEE10hipError_tT0_T1_T2_jT3_P12ihipStream_tbPNSt15iterator_traitsISD_E10value_typeEPNSJ_ISE_E10value_typeEPSF_NS1_7vsmem_tEENKUlT_SD_SE_SF_E_clIS7_S7_S8_S8_EESC_SS_SD_SE_SF_EUlSS_E0_NS1_11comp_targetILNS1_3genE10ELNS1_11target_archE1201ELNS1_3gpuE5ELNS1_3repE0EEENS1_38merge_mergepath_config_static_selectorELNS0_4arch9wavefront6targetE1EEEvSE_
                                        ; -- End function
	.section	.AMDGPU.csdata,"",@progbits
; Kernel info:
; codeLenInByte = 0
; NumSgprs: 4
; NumVgprs: 0
; NumAgprs: 0
; TotalNumVgprs: 0
; ScratchSize: 0
; MemoryBound: 0
; FloatMode: 240
; IeeeMode: 1
; LDSByteSize: 0 bytes/workgroup (compile time only)
; SGPRBlocks: 0
; VGPRBlocks: 0
; NumSGPRsForWavesPerEU: 4
; NumVGPRsForWavesPerEU: 1
; AccumOffset: 4
; Occupancy: 8
; WaveLimiterHint : 0
; COMPUTE_PGM_RSRC2:SCRATCH_EN: 0
; COMPUTE_PGM_RSRC2:USER_SGPR: 6
; COMPUTE_PGM_RSRC2:TRAP_HANDLER: 0
; COMPUTE_PGM_RSRC2:TGID_X_EN: 1
; COMPUTE_PGM_RSRC2:TGID_Y_EN: 0
; COMPUTE_PGM_RSRC2:TGID_Z_EN: 0
; COMPUTE_PGM_RSRC2:TIDIG_COMP_CNT: 0
; COMPUTE_PGM_RSRC3_GFX90A:ACCUM_OFFSET: 0
; COMPUTE_PGM_RSRC3_GFX90A:TG_SPLIT: 0
	.section	.text._ZN7rocprim17ROCPRIM_400000_NS6detail17trampoline_kernelINS0_14default_configENS1_38merge_sort_block_merge_config_selectorIjyEEZZNS1_27merge_sort_block_merge_implIS3_PjPyjNS1_19radix_merge_compareILb0ELb0EjNS0_19identity_decomposerEEEEE10hipError_tT0_T1_T2_jT3_P12ihipStream_tbPNSt15iterator_traitsISD_E10value_typeEPNSJ_ISE_E10value_typeEPSF_NS1_7vsmem_tEENKUlT_SD_SE_SF_E_clIS7_S7_S8_S8_EESC_SS_SD_SE_SF_EUlSS_E0_NS1_11comp_targetILNS1_3genE5ELNS1_11target_archE942ELNS1_3gpuE9ELNS1_3repE0EEENS1_38merge_mergepath_config_static_selectorELNS0_4arch9wavefront6targetE1EEEvSE_,"axG",@progbits,_ZN7rocprim17ROCPRIM_400000_NS6detail17trampoline_kernelINS0_14default_configENS1_38merge_sort_block_merge_config_selectorIjyEEZZNS1_27merge_sort_block_merge_implIS3_PjPyjNS1_19radix_merge_compareILb0ELb0EjNS0_19identity_decomposerEEEEE10hipError_tT0_T1_T2_jT3_P12ihipStream_tbPNSt15iterator_traitsISD_E10value_typeEPNSJ_ISE_E10value_typeEPSF_NS1_7vsmem_tEENKUlT_SD_SE_SF_E_clIS7_S7_S8_S8_EESC_SS_SD_SE_SF_EUlSS_E0_NS1_11comp_targetILNS1_3genE5ELNS1_11target_archE942ELNS1_3gpuE9ELNS1_3repE0EEENS1_38merge_mergepath_config_static_selectorELNS0_4arch9wavefront6targetE1EEEvSE_,comdat
	.protected	_ZN7rocprim17ROCPRIM_400000_NS6detail17trampoline_kernelINS0_14default_configENS1_38merge_sort_block_merge_config_selectorIjyEEZZNS1_27merge_sort_block_merge_implIS3_PjPyjNS1_19radix_merge_compareILb0ELb0EjNS0_19identity_decomposerEEEEE10hipError_tT0_T1_T2_jT3_P12ihipStream_tbPNSt15iterator_traitsISD_E10value_typeEPNSJ_ISE_E10value_typeEPSF_NS1_7vsmem_tEENKUlT_SD_SE_SF_E_clIS7_S7_S8_S8_EESC_SS_SD_SE_SF_EUlSS_E0_NS1_11comp_targetILNS1_3genE5ELNS1_11target_archE942ELNS1_3gpuE9ELNS1_3repE0EEENS1_38merge_mergepath_config_static_selectorELNS0_4arch9wavefront6targetE1EEEvSE_ ; -- Begin function _ZN7rocprim17ROCPRIM_400000_NS6detail17trampoline_kernelINS0_14default_configENS1_38merge_sort_block_merge_config_selectorIjyEEZZNS1_27merge_sort_block_merge_implIS3_PjPyjNS1_19radix_merge_compareILb0ELb0EjNS0_19identity_decomposerEEEEE10hipError_tT0_T1_T2_jT3_P12ihipStream_tbPNSt15iterator_traitsISD_E10value_typeEPNSJ_ISE_E10value_typeEPSF_NS1_7vsmem_tEENKUlT_SD_SE_SF_E_clIS7_S7_S8_S8_EESC_SS_SD_SE_SF_EUlSS_E0_NS1_11comp_targetILNS1_3genE5ELNS1_11target_archE942ELNS1_3gpuE9ELNS1_3repE0EEENS1_38merge_mergepath_config_static_selectorELNS0_4arch9wavefront6targetE1EEEvSE_
	.globl	_ZN7rocprim17ROCPRIM_400000_NS6detail17trampoline_kernelINS0_14default_configENS1_38merge_sort_block_merge_config_selectorIjyEEZZNS1_27merge_sort_block_merge_implIS3_PjPyjNS1_19radix_merge_compareILb0ELb0EjNS0_19identity_decomposerEEEEE10hipError_tT0_T1_T2_jT3_P12ihipStream_tbPNSt15iterator_traitsISD_E10value_typeEPNSJ_ISE_E10value_typeEPSF_NS1_7vsmem_tEENKUlT_SD_SE_SF_E_clIS7_S7_S8_S8_EESC_SS_SD_SE_SF_EUlSS_E0_NS1_11comp_targetILNS1_3genE5ELNS1_11target_archE942ELNS1_3gpuE9ELNS1_3repE0EEENS1_38merge_mergepath_config_static_selectorELNS0_4arch9wavefront6targetE1EEEvSE_
	.p2align	8
	.type	_ZN7rocprim17ROCPRIM_400000_NS6detail17trampoline_kernelINS0_14default_configENS1_38merge_sort_block_merge_config_selectorIjyEEZZNS1_27merge_sort_block_merge_implIS3_PjPyjNS1_19radix_merge_compareILb0ELb0EjNS0_19identity_decomposerEEEEE10hipError_tT0_T1_T2_jT3_P12ihipStream_tbPNSt15iterator_traitsISD_E10value_typeEPNSJ_ISE_E10value_typeEPSF_NS1_7vsmem_tEENKUlT_SD_SE_SF_E_clIS7_S7_S8_S8_EESC_SS_SD_SE_SF_EUlSS_E0_NS1_11comp_targetILNS1_3genE5ELNS1_11target_archE942ELNS1_3gpuE9ELNS1_3repE0EEENS1_38merge_mergepath_config_static_selectorELNS0_4arch9wavefront6targetE1EEEvSE_,@function
_ZN7rocprim17ROCPRIM_400000_NS6detail17trampoline_kernelINS0_14default_configENS1_38merge_sort_block_merge_config_selectorIjyEEZZNS1_27merge_sort_block_merge_implIS3_PjPyjNS1_19radix_merge_compareILb0ELb0EjNS0_19identity_decomposerEEEEE10hipError_tT0_T1_T2_jT3_P12ihipStream_tbPNSt15iterator_traitsISD_E10value_typeEPNSJ_ISE_E10value_typeEPSF_NS1_7vsmem_tEENKUlT_SD_SE_SF_E_clIS7_S7_S8_S8_EESC_SS_SD_SE_SF_EUlSS_E0_NS1_11comp_targetILNS1_3genE5ELNS1_11target_archE942ELNS1_3gpuE9ELNS1_3repE0EEENS1_38merge_mergepath_config_static_selectorELNS0_4arch9wavefront6targetE1EEEvSE_: ; @_ZN7rocprim17ROCPRIM_400000_NS6detail17trampoline_kernelINS0_14default_configENS1_38merge_sort_block_merge_config_selectorIjyEEZZNS1_27merge_sort_block_merge_implIS3_PjPyjNS1_19radix_merge_compareILb0ELb0EjNS0_19identity_decomposerEEEEE10hipError_tT0_T1_T2_jT3_P12ihipStream_tbPNSt15iterator_traitsISD_E10value_typeEPNSJ_ISE_E10value_typeEPSF_NS1_7vsmem_tEENKUlT_SD_SE_SF_E_clIS7_S7_S8_S8_EESC_SS_SD_SE_SF_EUlSS_E0_NS1_11comp_targetILNS1_3genE5ELNS1_11target_archE942ELNS1_3gpuE9ELNS1_3repE0EEENS1_38merge_mergepath_config_static_selectorELNS0_4arch9wavefront6targetE1EEEvSE_
; %bb.0:
	.section	.rodata,"a",@progbits
	.p2align	6, 0x0
	.amdhsa_kernel _ZN7rocprim17ROCPRIM_400000_NS6detail17trampoline_kernelINS0_14default_configENS1_38merge_sort_block_merge_config_selectorIjyEEZZNS1_27merge_sort_block_merge_implIS3_PjPyjNS1_19radix_merge_compareILb0ELb0EjNS0_19identity_decomposerEEEEE10hipError_tT0_T1_T2_jT3_P12ihipStream_tbPNSt15iterator_traitsISD_E10value_typeEPNSJ_ISE_E10value_typeEPSF_NS1_7vsmem_tEENKUlT_SD_SE_SF_E_clIS7_S7_S8_S8_EESC_SS_SD_SE_SF_EUlSS_E0_NS1_11comp_targetILNS1_3genE5ELNS1_11target_archE942ELNS1_3gpuE9ELNS1_3repE0EEENS1_38merge_mergepath_config_static_selectorELNS0_4arch9wavefront6targetE1EEEvSE_
		.amdhsa_group_segment_fixed_size 0
		.amdhsa_private_segment_fixed_size 0
		.amdhsa_kernarg_size 64
		.amdhsa_user_sgpr_count 6
		.amdhsa_user_sgpr_private_segment_buffer 1
		.amdhsa_user_sgpr_dispatch_ptr 0
		.amdhsa_user_sgpr_queue_ptr 0
		.amdhsa_user_sgpr_kernarg_segment_ptr 1
		.amdhsa_user_sgpr_dispatch_id 0
		.amdhsa_user_sgpr_flat_scratch_init 0
		.amdhsa_user_sgpr_kernarg_preload_length 0
		.amdhsa_user_sgpr_kernarg_preload_offset 0
		.amdhsa_user_sgpr_private_segment_size 0
		.amdhsa_uses_dynamic_stack 0
		.amdhsa_system_sgpr_private_segment_wavefront_offset 0
		.amdhsa_system_sgpr_workgroup_id_x 1
		.amdhsa_system_sgpr_workgroup_id_y 0
		.amdhsa_system_sgpr_workgroup_id_z 0
		.amdhsa_system_sgpr_workgroup_info 0
		.amdhsa_system_vgpr_workitem_id 0
		.amdhsa_next_free_vgpr 1
		.amdhsa_next_free_sgpr 0
		.amdhsa_accum_offset 4
		.amdhsa_reserve_vcc 0
		.amdhsa_reserve_flat_scratch 0
		.amdhsa_float_round_mode_32 0
		.amdhsa_float_round_mode_16_64 0
		.amdhsa_float_denorm_mode_32 3
		.amdhsa_float_denorm_mode_16_64 3
		.amdhsa_dx10_clamp 1
		.amdhsa_ieee_mode 1
		.amdhsa_fp16_overflow 0
		.amdhsa_tg_split 0
		.amdhsa_exception_fp_ieee_invalid_op 0
		.amdhsa_exception_fp_denorm_src 0
		.amdhsa_exception_fp_ieee_div_zero 0
		.amdhsa_exception_fp_ieee_overflow 0
		.amdhsa_exception_fp_ieee_underflow 0
		.amdhsa_exception_fp_ieee_inexact 0
		.amdhsa_exception_int_div_zero 0
	.end_amdhsa_kernel
	.section	.text._ZN7rocprim17ROCPRIM_400000_NS6detail17trampoline_kernelINS0_14default_configENS1_38merge_sort_block_merge_config_selectorIjyEEZZNS1_27merge_sort_block_merge_implIS3_PjPyjNS1_19radix_merge_compareILb0ELb0EjNS0_19identity_decomposerEEEEE10hipError_tT0_T1_T2_jT3_P12ihipStream_tbPNSt15iterator_traitsISD_E10value_typeEPNSJ_ISE_E10value_typeEPSF_NS1_7vsmem_tEENKUlT_SD_SE_SF_E_clIS7_S7_S8_S8_EESC_SS_SD_SE_SF_EUlSS_E0_NS1_11comp_targetILNS1_3genE5ELNS1_11target_archE942ELNS1_3gpuE9ELNS1_3repE0EEENS1_38merge_mergepath_config_static_selectorELNS0_4arch9wavefront6targetE1EEEvSE_,"axG",@progbits,_ZN7rocprim17ROCPRIM_400000_NS6detail17trampoline_kernelINS0_14default_configENS1_38merge_sort_block_merge_config_selectorIjyEEZZNS1_27merge_sort_block_merge_implIS3_PjPyjNS1_19radix_merge_compareILb0ELb0EjNS0_19identity_decomposerEEEEE10hipError_tT0_T1_T2_jT3_P12ihipStream_tbPNSt15iterator_traitsISD_E10value_typeEPNSJ_ISE_E10value_typeEPSF_NS1_7vsmem_tEENKUlT_SD_SE_SF_E_clIS7_S7_S8_S8_EESC_SS_SD_SE_SF_EUlSS_E0_NS1_11comp_targetILNS1_3genE5ELNS1_11target_archE942ELNS1_3gpuE9ELNS1_3repE0EEENS1_38merge_mergepath_config_static_selectorELNS0_4arch9wavefront6targetE1EEEvSE_,comdat
.Lfunc_end472:
	.size	_ZN7rocprim17ROCPRIM_400000_NS6detail17trampoline_kernelINS0_14default_configENS1_38merge_sort_block_merge_config_selectorIjyEEZZNS1_27merge_sort_block_merge_implIS3_PjPyjNS1_19radix_merge_compareILb0ELb0EjNS0_19identity_decomposerEEEEE10hipError_tT0_T1_T2_jT3_P12ihipStream_tbPNSt15iterator_traitsISD_E10value_typeEPNSJ_ISE_E10value_typeEPSF_NS1_7vsmem_tEENKUlT_SD_SE_SF_E_clIS7_S7_S8_S8_EESC_SS_SD_SE_SF_EUlSS_E0_NS1_11comp_targetILNS1_3genE5ELNS1_11target_archE942ELNS1_3gpuE9ELNS1_3repE0EEENS1_38merge_mergepath_config_static_selectorELNS0_4arch9wavefront6targetE1EEEvSE_, .Lfunc_end472-_ZN7rocprim17ROCPRIM_400000_NS6detail17trampoline_kernelINS0_14default_configENS1_38merge_sort_block_merge_config_selectorIjyEEZZNS1_27merge_sort_block_merge_implIS3_PjPyjNS1_19radix_merge_compareILb0ELb0EjNS0_19identity_decomposerEEEEE10hipError_tT0_T1_T2_jT3_P12ihipStream_tbPNSt15iterator_traitsISD_E10value_typeEPNSJ_ISE_E10value_typeEPSF_NS1_7vsmem_tEENKUlT_SD_SE_SF_E_clIS7_S7_S8_S8_EESC_SS_SD_SE_SF_EUlSS_E0_NS1_11comp_targetILNS1_3genE5ELNS1_11target_archE942ELNS1_3gpuE9ELNS1_3repE0EEENS1_38merge_mergepath_config_static_selectorELNS0_4arch9wavefront6targetE1EEEvSE_
                                        ; -- End function
	.section	.AMDGPU.csdata,"",@progbits
; Kernel info:
; codeLenInByte = 0
; NumSgprs: 4
; NumVgprs: 0
; NumAgprs: 0
; TotalNumVgprs: 0
; ScratchSize: 0
; MemoryBound: 0
; FloatMode: 240
; IeeeMode: 1
; LDSByteSize: 0 bytes/workgroup (compile time only)
; SGPRBlocks: 0
; VGPRBlocks: 0
; NumSGPRsForWavesPerEU: 4
; NumVGPRsForWavesPerEU: 1
; AccumOffset: 4
; Occupancy: 8
; WaveLimiterHint : 0
; COMPUTE_PGM_RSRC2:SCRATCH_EN: 0
; COMPUTE_PGM_RSRC2:USER_SGPR: 6
; COMPUTE_PGM_RSRC2:TRAP_HANDLER: 0
; COMPUTE_PGM_RSRC2:TGID_X_EN: 1
; COMPUTE_PGM_RSRC2:TGID_Y_EN: 0
; COMPUTE_PGM_RSRC2:TGID_Z_EN: 0
; COMPUTE_PGM_RSRC2:TIDIG_COMP_CNT: 0
; COMPUTE_PGM_RSRC3_GFX90A:ACCUM_OFFSET: 0
; COMPUTE_PGM_RSRC3_GFX90A:TG_SPLIT: 0
	.section	.text._ZN7rocprim17ROCPRIM_400000_NS6detail17trampoline_kernelINS0_14default_configENS1_38merge_sort_block_merge_config_selectorIjyEEZZNS1_27merge_sort_block_merge_implIS3_PjPyjNS1_19radix_merge_compareILb0ELb0EjNS0_19identity_decomposerEEEEE10hipError_tT0_T1_T2_jT3_P12ihipStream_tbPNSt15iterator_traitsISD_E10value_typeEPNSJ_ISE_E10value_typeEPSF_NS1_7vsmem_tEENKUlT_SD_SE_SF_E_clIS7_S7_S8_S8_EESC_SS_SD_SE_SF_EUlSS_E0_NS1_11comp_targetILNS1_3genE4ELNS1_11target_archE910ELNS1_3gpuE8ELNS1_3repE0EEENS1_38merge_mergepath_config_static_selectorELNS0_4arch9wavefront6targetE1EEEvSE_,"axG",@progbits,_ZN7rocprim17ROCPRIM_400000_NS6detail17trampoline_kernelINS0_14default_configENS1_38merge_sort_block_merge_config_selectorIjyEEZZNS1_27merge_sort_block_merge_implIS3_PjPyjNS1_19radix_merge_compareILb0ELb0EjNS0_19identity_decomposerEEEEE10hipError_tT0_T1_T2_jT3_P12ihipStream_tbPNSt15iterator_traitsISD_E10value_typeEPNSJ_ISE_E10value_typeEPSF_NS1_7vsmem_tEENKUlT_SD_SE_SF_E_clIS7_S7_S8_S8_EESC_SS_SD_SE_SF_EUlSS_E0_NS1_11comp_targetILNS1_3genE4ELNS1_11target_archE910ELNS1_3gpuE8ELNS1_3repE0EEENS1_38merge_mergepath_config_static_selectorELNS0_4arch9wavefront6targetE1EEEvSE_,comdat
	.protected	_ZN7rocprim17ROCPRIM_400000_NS6detail17trampoline_kernelINS0_14default_configENS1_38merge_sort_block_merge_config_selectorIjyEEZZNS1_27merge_sort_block_merge_implIS3_PjPyjNS1_19radix_merge_compareILb0ELb0EjNS0_19identity_decomposerEEEEE10hipError_tT0_T1_T2_jT3_P12ihipStream_tbPNSt15iterator_traitsISD_E10value_typeEPNSJ_ISE_E10value_typeEPSF_NS1_7vsmem_tEENKUlT_SD_SE_SF_E_clIS7_S7_S8_S8_EESC_SS_SD_SE_SF_EUlSS_E0_NS1_11comp_targetILNS1_3genE4ELNS1_11target_archE910ELNS1_3gpuE8ELNS1_3repE0EEENS1_38merge_mergepath_config_static_selectorELNS0_4arch9wavefront6targetE1EEEvSE_ ; -- Begin function _ZN7rocprim17ROCPRIM_400000_NS6detail17trampoline_kernelINS0_14default_configENS1_38merge_sort_block_merge_config_selectorIjyEEZZNS1_27merge_sort_block_merge_implIS3_PjPyjNS1_19radix_merge_compareILb0ELb0EjNS0_19identity_decomposerEEEEE10hipError_tT0_T1_T2_jT3_P12ihipStream_tbPNSt15iterator_traitsISD_E10value_typeEPNSJ_ISE_E10value_typeEPSF_NS1_7vsmem_tEENKUlT_SD_SE_SF_E_clIS7_S7_S8_S8_EESC_SS_SD_SE_SF_EUlSS_E0_NS1_11comp_targetILNS1_3genE4ELNS1_11target_archE910ELNS1_3gpuE8ELNS1_3repE0EEENS1_38merge_mergepath_config_static_selectorELNS0_4arch9wavefront6targetE1EEEvSE_
	.globl	_ZN7rocprim17ROCPRIM_400000_NS6detail17trampoline_kernelINS0_14default_configENS1_38merge_sort_block_merge_config_selectorIjyEEZZNS1_27merge_sort_block_merge_implIS3_PjPyjNS1_19radix_merge_compareILb0ELb0EjNS0_19identity_decomposerEEEEE10hipError_tT0_T1_T2_jT3_P12ihipStream_tbPNSt15iterator_traitsISD_E10value_typeEPNSJ_ISE_E10value_typeEPSF_NS1_7vsmem_tEENKUlT_SD_SE_SF_E_clIS7_S7_S8_S8_EESC_SS_SD_SE_SF_EUlSS_E0_NS1_11comp_targetILNS1_3genE4ELNS1_11target_archE910ELNS1_3gpuE8ELNS1_3repE0EEENS1_38merge_mergepath_config_static_selectorELNS0_4arch9wavefront6targetE1EEEvSE_
	.p2align	8
	.type	_ZN7rocprim17ROCPRIM_400000_NS6detail17trampoline_kernelINS0_14default_configENS1_38merge_sort_block_merge_config_selectorIjyEEZZNS1_27merge_sort_block_merge_implIS3_PjPyjNS1_19radix_merge_compareILb0ELb0EjNS0_19identity_decomposerEEEEE10hipError_tT0_T1_T2_jT3_P12ihipStream_tbPNSt15iterator_traitsISD_E10value_typeEPNSJ_ISE_E10value_typeEPSF_NS1_7vsmem_tEENKUlT_SD_SE_SF_E_clIS7_S7_S8_S8_EESC_SS_SD_SE_SF_EUlSS_E0_NS1_11comp_targetILNS1_3genE4ELNS1_11target_archE910ELNS1_3gpuE8ELNS1_3repE0EEENS1_38merge_mergepath_config_static_selectorELNS0_4arch9wavefront6targetE1EEEvSE_,@function
_ZN7rocprim17ROCPRIM_400000_NS6detail17trampoline_kernelINS0_14default_configENS1_38merge_sort_block_merge_config_selectorIjyEEZZNS1_27merge_sort_block_merge_implIS3_PjPyjNS1_19radix_merge_compareILb0ELb0EjNS0_19identity_decomposerEEEEE10hipError_tT0_T1_T2_jT3_P12ihipStream_tbPNSt15iterator_traitsISD_E10value_typeEPNSJ_ISE_E10value_typeEPSF_NS1_7vsmem_tEENKUlT_SD_SE_SF_E_clIS7_S7_S8_S8_EESC_SS_SD_SE_SF_EUlSS_E0_NS1_11comp_targetILNS1_3genE4ELNS1_11target_archE910ELNS1_3gpuE8ELNS1_3repE0EEENS1_38merge_mergepath_config_static_selectorELNS0_4arch9wavefront6targetE1EEEvSE_: ; @_ZN7rocprim17ROCPRIM_400000_NS6detail17trampoline_kernelINS0_14default_configENS1_38merge_sort_block_merge_config_selectorIjyEEZZNS1_27merge_sort_block_merge_implIS3_PjPyjNS1_19radix_merge_compareILb0ELb0EjNS0_19identity_decomposerEEEEE10hipError_tT0_T1_T2_jT3_P12ihipStream_tbPNSt15iterator_traitsISD_E10value_typeEPNSJ_ISE_E10value_typeEPSF_NS1_7vsmem_tEENKUlT_SD_SE_SF_E_clIS7_S7_S8_S8_EESC_SS_SD_SE_SF_EUlSS_E0_NS1_11comp_targetILNS1_3genE4ELNS1_11target_archE910ELNS1_3gpuE8ELNS1_3repE0EEENS1_38merge_mergepath_config_static_selectorELNS0_4arch9wavefront6targetE1EEEvSE_
; %bb.0:
	s_load_dwordx2 s[22:23], s[4:5], 0x40
	s_load_dword s2, s[4:5], 0x30
	s_add_u32 s0, s4, 64
	s_addc_u32 s1, s5, 0
	s_waitcnt lgkmcnt(0)
	s_mul_i32 s3, s23, s8
	s_add_i32 s3, s3, s7
	s_mul_i32 s3, s3, s22
	s_add_i32 s20, s3, s6
	s_cmp_ge_u32 s20, s2
	s_cbranch_scc1 .LBB473_46
; %bb.1:
	s_load_dwordx8 s[8:15], s[4:5], 0x10
	s_load_dwordx2 s[26:27], s[4:5], 0x8
	s_load_dwordx2 s[2:3], s[4:5], 0x38
	s_mov_b32 s21, 0
	v_mov_b32_e32 v3, 0
	s_waitcnt lgkmcnt(0)
	s_lshr_b32 s7, s14, 10
	s_cmp_lg_u32 s20, s7
	s_cselect_b64 s[18:19], -1, 0
	s_lshl_b64 s[4:5], s[20:21], 2
	s_add_u32 s2, s2, s4
	s_addc_u32 s3, s3, s5
	s_lshr_b32 s4, s15, 9
	s_and_b32 s4, s4, 0x7ffffe
	s_load_dwordx2 s[2:3], s[2:3], 0x0
	s_sub_i32 s5, 0, s4
	s_and_b32 s4, s20, s5
	s_lshl_b32 s17, s4, 10
	s_lshl_b32 s16, s20, 10
	;; [unrolled: 1-line block ×3, first 2 shown]
	s_sub_i32 s23, s16, s17
	s_add_i32 s24, s4, s15
	s_add_i32 s23, s24, s23
	s_waitcnt lgkmcnt(0)
	s_sub_i32 s4, s23, s2
	s_sub_i32 s23, s23, s3
	;; [unrolled: 1-line block ×3, first 2 shown]
	s_min_u32 s4, s14, s4
	s_addk_i32 s23, 0x400
	s_or_b32 s5, s20, s5
	s_min_u32 s24, s14, s17
	s_add_i32 s17, s17, s15
	s_cmp_eq_u32 s5, -1
	s_cselect_b32 s3, s24, s3
	s_cselect_b32 s5, s17, s23
	s_sub_i32 s15, s3, s2
	s_mov_b32 s3, s21
	s_min_u32 s17, s5, s14
	s_lshl_b64 s[24:25], s[2:3], 2
	s_add_u32 s24, s26, s24
	s_mov_b32 s5, s21
	s_addc_u32 s25, s27, s25
	s_lshl_b64 s[28:29], s[4:5], 2
	s_add_u32 s21, s26, s28
	s_addc_u32 s23, s27, s29
	s_cmp_lt_u32 s6, s22
	s_cselect_b32 s6, 12, 18
	global_load_dword v1, v3, s[0:1] offset:14
	s_add_u32 s0, s0, s6
	s_addc_u32 s1, s1, 0
	global_load_ushort v2, v3, s[0:1]
	s_cmp_eq_u32 s20, s7
	s_waitcnt vmcnt(1)
	v_lshrrev_b32_e32 v4, 16, v1
	v_and_b32_e32 v1, 0xffff, v1
	v_mul_lo_u32 v1, v1, v4
	s_waitcnt vmcnt(0)
	v_mul_lo_u32 v19, v1, v2
	v_add_u32_e32 v16, v19, v0
	v_lshlrev_b32_e32 v1, 2, v0
	v_add_u32_e32 v14, v16, v19
	s_cbranch_scc1 .LBB473_3
; %bb.2:
	v_mov_b32_e32 v2, s25
	v_add_co_u32_e32 v6, vcc, s24, v1
	v_addc_co_u32_e32 v7, vcc, 0, v2, vcc
	v_subrev_u32_e32 v2, s15, v0
	v_lshlrev_b64 v[4:5], 2, v[2:3]
	v_mov_b32_e32 v2, s23
	v_add_co_u32_e32 v4, vcc, s21, v4
	v_addc_co_u32_e32 v2, vcc, v2, v5, vcc
	v_cmp_gt_u32_e32 vcc, s15, v0
	v_cndmask_b32_e32 v5, v2, v7, vcc
	v_cndmask_b32_e32 v4, v4, v6, vcc
	v_mov_b32_e32 v17, v3
	global_load_dword v10, v[4:5], off
	v_lshlrev_b64 v[4:5], 2, v[16:17]
	v_mov_b32_e32 v2, s25
	v_add_co_u32_e32 v6, vcc, s24, v4
	v_addc_co_u32_e32 v7, vcc, v2, v5, vcc
	v_subrev_u32_e32 v2, s15, v16
	v_lshlrev_b64 v[4:5], 2, v[2:3]
	v_mov_b32_e32 v2, s23
	v_add_co_u32_e32 v4, vcc, s21, v4
	v_addc_co_u32_e32 v2, vcc, v2, v5, vcc
	v_cmp_gt_u32_e32 vcc, s15, v16
	v_cndmask_b32_e32 v5, v2, v7, vcc
	v_cndmask_b32_e32 v4, v4, v6, vcc
	v_mov_b32_e32 v15, v3
	global_load_dword v11, v[4:5], off
	v_lshlrev_b64 v[4:5], 2, v[14:15]
	v_mov_b32_e32 v2, s25
	v_add_co_u32_e32 v4, vcc, s24, v4
	v_addc_co_u32_e32 v5, vcc, v2, v5, vcc
	v_subrev_u32_e32 v2, s15, v14
	v_lshlrev_b64 v[2:3], 2, v[2:3]
	v_mov_b32_e32 v6, s23
	v_add_co_u32_e32 v2, vcc, s21, v2
	v_addc_co_u32_e32 v3, vcc, v6, v3, vcc
	v_cmp_gt_u32_e32 vcc, s15, v14
	v_cndmask_b32_e32 v3, v3, v5, vcc
	v_cndmask_b32_e32 v2, v2, v4, vcc
	global_load_dword v12, v[2:3], off
	v_add_u32_e32 v2, v14, v19
	s_mov_b64 s[0:1], -1
	s_sub_i32 s17, s17, s4
	s_cbranch_execz .LBB473_4
	s_branch .LBB473_9
.LBB473_3:
	s_mov_b64 s[0:1], 0
                                        ; implicit-def: $vgpr10_vgpr11_vgpr12_vgpr13
                                        ; implicit-def: $vgpr2
	s_sub_i32 s17, s17, s4
.LBB473_4:
	s_add_i32 s6, s17, s15
	v_cmp_gt_u32_e32 vcc, s6, v0
                                        ; implicit-def: $vgpr10_vgpr11_vgpr12_vgpr13
	s_and_saveexec_b64 s[0:1], vcc
	s_cbranch_execnz .LBB473_47
; %bb.5:
	s_or_b64 exec, exec, s[0:1]
	v_cmp_gt_u32_e32 vcc, s6, v16
	s_and_saveexec_b64 s[0:1], vcc
	s_cbranch_execnz .LBB473_48
.LBB473_6:
	s_or_b64 exec, exec, s[0:1]
	v_cmp_gt_u32_e32 vcc, s6, v14
	s_and_saveexec_b64 s[0:1], vcc
	s_cbranch_execz .LBB473_8
.LBB473_7:
	v_mov_b32_e32 v15, 0
	v_lshlrev_b64 v[2:3], 2, v[14:15]
	v_mov_b32_e32 v4, s25
	v_add_co_u32_e32 v5, vcc, s24, v2
	v_addc_co_u32_e32 v4, vcc, v4, v3, vcc
	v_subrev_u32_e32 v2, s15, v14
	v_mov_b32_e32 v3, v15
	v_lshlrev_b64 v[2:3], 2, v[2:3]
	v_mov_b32_e32 v6, s23
	v_add_co_u32_e32 v2, vcc, s21, v2
	v_addc_co_u32_e32 v3, vcc, v6, v3, vcc
	v_cmp_gt_u32_e32 vcc, s15, v14
	v_cndmask_b32_e32 v3, v3, v4, vcc
	v_cndmask_b32_e32 v2, v2, v5, vcc
	global_load_dword v12, v[2:3], off
.LBB473_8:
	s_or_b64 exec, exec, s[0:1]
	v_add_u32_e32 v2, v14, v19
	v_cmp_gt_u32_e64 s[0:1], s6, v2
.LBB473_9:
	s_and_saveexec_b64 s[6:7], s[0:1]
	s_cbranch_execz .LBB473_11
; %bb.10:
	v_mov_b32_e32 v3, 0
	v_lshlrev_b64 v[4:5], 2, v[2:3]
	v_mov_b32_e32 v6, s25
	v_add_co_u32_e32 v4, vcc, s24, v4
	v_addc_co_u32_e32 v5, vcc, v6, v5, vcc
	v_cmp_gt_u32_e32 vcc, s15, v2
	v_subrev_u32_e32 v2, s15, v2
	v_lshlrev_b64 v[2:3], 2, v[2:3]
	v_mov_b32_e32 v6, s23
	v_add_co_u32_e64 v2, s[0:1], s21, v2
	v_addc_co_u32_e64 v3, s[0:1], v6, v3, s[0:1]
	v_cndmask_b32_e32 v3, v3, v5, vcc
	v_cndmask_b32_e32 v2, v2, v4, vcc
	global_load_dword v13, v[2:3], off
.LBB473_11:
	s_or_b64 exec, exec, s[6:7]
	s_lshl_b64 s[0:1], s[2:3], 3
	s_add_u32 s6, s10, s0
	s_addc_u32 s7, s11, s1
	s_lshl_b64 s[0:1], s[4:5], 3
	s_add_u32 s4, s10, s0
	s_addc_u32 s5, s11, s1
	s_andn2_b64 vcc, exec, s[18:19]
	v_lshlrev_b32_e32 v18, 3, v0
	s_waitcnt vmcnt(0)
	ds_write2st64_b32 v1, v10, v11 offset1:4
	ds_write2st64_b32 v1, v12, v13 offset0:8 offset1:12
	s_cbranch_vccnz .LBB473_13
; %bb.12:
	v_mov_b32_e32 v9, 0
	v_mov_b32_e32 v2, s7
	v_add_co_u32_e32 v4, vcc, s6, v18
	v_subrev_u32_e32 v8, s15, v0
	v_addc_co_u32_e32 v5, vcc, 0, v2, vcc
	v_lshlrev_b64 v[2:3], 3, v[8:9]
	v_mov_b32_e32 v6, s5
	v_add_co_u32_e32 v2, vcc, s4, v2
	v_addc_co_u32_e32 v3, vcc, v6, v3, vcc
	v_cmp_gt_u32_e32 vcc, s15, v0
	v_mov_b32_e32 v17, v9
	v_cndmask_b32_e32 v3, v3, v5, vcc
	v_cndmask_b32_e32 v2, v2, v4, vcc
	v_lshlrev_b64 v[4:5], 3, v[16:17]
	v_mov_b32_e32 v6, s7
	v_add_co_u32_e32 v7, vcc, s6, v4
	v_subrev_u32_e32 v8, s15, v16
	v_addc_co_u32_e32 v6, vcc, v6, v5, vcc
	v_lshlrev_b64 v[4:5], 3, v[8:9]
	v_mov_b32_e32 v8, s5
	v_add_co_u32_e32 v4, vcc, s4, v4
	v_addc_co_u32_e32 v5, vcc, v8, v5, vcc
	v_cmp_gt_u32_e32 vcc, s15, v16
	v_mov_b32_e32 v15, v9
	v_cndmask_b32_e32 v5, v5, v6, vcc
	v_cndmask_b32_e32 v4, v4, v7, vcc
	v_lshlrev_b64 v[6:7], 3, v[14:15]
	v_mov_b32_e32 v8, s7
	v_add_co_u32_e32 v15, vcc, s6, v6
	v_addc_co_u32_e32 v17, vcc, v8, v7, vcc
	v_subrev_u32_e32 v8, s15, v14
	v_lshlrev_b64 v[6:7], 3, v[8:9]
	v_mov_b32_e32 v8, s5
	v_add_co_u32_e32 v6, vcc, s4, v6
	v_addc_co_u32_e32 v7, vcc, v8, v7, vcc
	v_add_u32_e32 v8, v14, v19
	v_cmp_gt_u32_e32 vcc, s15, v14
	v_lshlrev_b64 v[20:21], 3, v[8:9]
	v_cndmask_b32_e32 v7, v7, v17, vcc
	v_cndmask_b32_e32 v6, v6, v15, vcc
	v_mov_b32_e32 v15, s7
	v_add_co_u32_e32 v17, vcc, s6, v20
	v_addc_co_u32_e32 v15, vcc, v15, v21, vcc
	v_cmp_gt_u32_e32 vcc, s15, v8
	v_subrev_u32_e32 v8, s15, v8
	v_lshlrev_b64 v[8:9], 3, v[8:9]
	v_mov_b32_e32 v20, s5
	v_add_co_u32_e64 v8, s[0:1], s4, v8
	v_addc_co_u32_e64 v9, s[0:1], v20, v9, s[0:1]
	v_cndmask_b32_e32 v9, v9, v15, vcc
	v_cndmask_b32_e32 v8, v8, v17, vcc
	global_load_dwordx2 v[2:3], v[2:3], off
	s_add_i32 s20, s17, s15
	global_load_dwordx2 v[4:5], v[4:5], off
	s_nop 0
	global_load_dwordx2 v[6:7], v[6:7], off
	s_nop 0
	global_load_dwordx2 v[8:9], v[8:9], off
	s_cbranch_execz .LBB473_14
	s_branch .LBB473_21
.LBB473_13:
                                        ; implicit-def: $vgpr2_vgpr3_vgpr4_vgpr5_vgpr6_vgpr7_vgpr8_vgpr9
                                        ; implicit-def: $sgpr20
.LBB473_14:
	s_add_i32 s20, s17, s15
	v_cmp_gt_u32_e32 vcc, s20, v0
                                        ; implicit-def: $vgpr2_vgpr3_vgpr4_vgpr5_vgpr6_vgpr7_vgpr8_vgpr9
	s_and_saveexec_b64 s[0:1], vcc
	s_cbranch_execnz .LBB473_49
; %bb.15:
	s_or_b64 exec, exec, s[0:1]
	v_cmp_gt_u32_e32 vcc, s20, v16
	s_and_saveexec_b64 s[2:3], vcc
	s_cbranch_execnz .LBB473_50
.LBB473_16:
	s_or_b64 exec, exec, s[2:3]
	v_cmp_gt_u32_e32 vcc, s20, v14
	s_and_saveexec_b64 s[0:1], vcc
	s_cbranch_execz .LBB473_18
.LBB473_17:
	v_mov_b32_e32 v15, 0
	s_waitcnt vmcnt(1)
	v_lshlrev_b64 v[6:7], 3, v[14:15]
	v_mov_b32_e32 v16, s7
	v_add_co_u32_e32 v17, vcc, s6, v6
	v_addc_co_u32_e32 v16, vcc, v16, v7, vcc
	v_subrev_u32_e32 v6, s15, v14
	v_mov_b32_e32 v7, v15
	v_lshlrev_b64 v[6:7], 3, v[6:7]
	v_mov_b32_e32 v15, s5
	v_add_co_u32_e32 v6, vcc, s4, v6
	v_addc_co_u32_e32 v7, vcc, v15, v7, vcc
	v_cmp_gt_u32_e32 vcc, s15, v14
	v_cndmask_b32_e32 v7, v7, v16, vcc
	v_cndmask_b32_e32 v6, v6, v17, vcc
	global_load_dwordx2 v[6:7], v[6:7], off
.LBB473_18:
	s_or_b64 exec, exec, s[0:1]
	v_add_u32_e32 v14, v14, v19
	v_cmp_gt_u32_e32 vcc, s20, v14
	s_and_saveexec_b64 s[2:3], vcc
	s_cbranch_execz .LBB473_20
; %bb.19:
	v_mov_b32_e32 v15, 0
	s_waitcnt vmcnt(0)
	v_lshlrev_b64 v[8:9], 3, v[14:15]
	v_mov_b32_e32 v16, s7
	v_add_co_u32_e32 v17, vcc, s6, v8
	v_addc_co_u32_e32 v16, vcc, v16, v9, vcc
	v_cmp_gt_u32_e32 vcc, s15, v14
	v_subrev_u32_e32 v14, s15, v14
	v_lshlrev_b64 v[8:9], 3, v[14:15]
	v_mov_b32_e32 v14, s5
	v_add_co_u32_e64 v8, s[0:1], s4, v8
	v_addc_co_u32_e64 v9, s[0:1], v14, v9, s[0:1]
	v_cndmask_b32_e32 v9, v9, v16, vcc
	v_cndmask_b32_e32 v8, v8, v17, vcc
	global_load_dwordx2 v[8:9], v[8:9], off
.LBB473_20:
	s_or_b64 exec, exec, s[2:3]
.LBB473_21:
	v_min_u32_e32 v15, s20, v1
	v_sub_u32_e64 v14, v15, s17 clamp
	v_min_u32_e32 v16, s15, v15
	v_cmp_lt_u32_e32 vcc, v14, v16
	s_waitcnt lgkmcnt(0)
	s_barrier
	s_and_saveexec_b64 s[0:1], vcc
	s_cbranch_execz .LBB473_25
; %bb.22:
	v_lshlrev_b32_e32 v17, 2, v15
	v_lshl_add_u32 v17, s15, 2, v17
	s_mov_b64 s[2:3], 0
.LBB473_23:                             ; =>This Inner Loop Header: Depth=1
	v_add_u32_e32 v19, v16, v14
	v_lshrrev_b32_e32 v19, 1, v19
	v_not_b32_e32 v20, v19
	v_lshlrev_b32_e32 v21, 2, v19
	v_lshl_add_u32 v20, v20, 2, v17
	ds_read_b32 v21, v21
	ds_read_b32 v20, v20
	v_add_u32_e32 v22, 1, v19
	s_waitcnt lgkmcnt(0)
	v_cmp_gt_u32_e32 vcc, v21, v20
	v_cndmask_b32_e32 v16, v16, v19, vcc
	v_cndmask_b32_e32 v14, v22, v14, vcc
	v_cmp_ge_u32_e32 vcc, v14, v16
	s_or_b64 s[2:3], vcc, s[2:3]
	s_andn2_b64 exec, exec, s[2:3]
	s_cbranch_execnz .LBB473_23
; %bb.24:
	s_or_b64 exec, exec, s[2:3]
.LBB473_25:
	s_or_b64 exec, exec, s[0:1]
	v_sub_u32_e32 v15, v15, v14
	v_add_u32_e32 v20, s15, v15
	v_cmp_ge_u32_e32 vcc, s15, v14
	v_cmp_ge_u32_e64 s[0:1], s20, v20
	s_or_b64 s[0:1], vcc, s[0:1]
                                        ; implicit-def: $vgpr19
                                        ; implicit-def: $vgpr17
                                        ; implicit-def: $vgpr16
                                        ; implicit-def: $vgpr15
	s_and_saveexec_b64 s[10:11], s[0:1]
	s_cbranch_execz .LBB473_31
; %bb.26:
	v_cmp_gt_u32_e32 vcc, s15, v14
                                        ; implicit-def: $vgpr10
	s_and_saveexec_b64 s[0:1], vcc
	s_cbranch_execz .LBB473_28
; %bb.27:
	v_lshlrev_b32_e32 v10, 2, v14
	ds_read_b32 v10, v10
.LBB473_28:
	s_or_b64 exec, exec, s[0:1]
	v_cmp_le_u32_e64 s[0:1], s20, v20
	v_cmp_gt_u32_e64 s[2:3], s20, v20
                                        ; implicit-def: $vgpr11
	s_and_saveexec_b64 s[4:5], s[2:3]
	s_cbranch_execz .LBB473_30
; %bb.29:
	v_lshlrev_b32_e32 v11, 2, v20
	ds_read_b32 v11, v11
.LBB473_30:
	s_or_b64 exec, exec, s[4:5]
	s_waitcnt lgkmcnt(0)
	v_cmp_le_u32_e64 s[2:3], v10, v11
	s_and_b64 s[2:3], vcc, s[2:3]
	s_or_b64 vcc, s[0:1], s[2:3]
	v_mov_b32_e32 v12, s20
	v_mov_b32_e32 v13, s15
	v_cndmask_b32_e32 v15, v20, v14, vcc
	v_cndmask_b32_e32 v16, v12, v13, vcc
	v_add_u32_e32 v17, 1, v15
	v_add_u32_e32 v16, -1, v16
	v_min_u32_e32 v16, v17, v16
	v_lshlrev_b32_e32 v16, 2, v16
	ds_read_b32 v16, v16
	v_cndmask_b32_e32 v14, v14, v17, vcc
	v_cndmask_b32_e32 v20, v17, v20, vcc
	v_cmp_gt_u32_e64 s[2:3], s15, v14
	v_cmp_le_u32_e64 s[0:1], s20, v20
	s_waitcnt lgkmcnt(0)
	v_cndmask_b32_e32 v19, v16, v11, vcc
	v_cndmask_b32_e32 v21, v10, v16, vcc
	v_cmp_le_u32_e64 s[4:5], v21, v19
	s_and_b64 s[2:3], s[2:3], s[4:5]
	s_or_b64 s[0:1], s[0:1], s[2:3]
	v_cndmask_b32_e64 v16, v20, v14, s[0:1]
	v_cndmask_b32_e64 v17, v12, v13, s[0:1]
	v_add_u32_e32 v22, 1, v16
	v_add_u32_e32 v17, -1, v17
	v_min_u32_e32 v17, v22, v17
	v_lshlrev_b32_e32 v17, 2, v17
	ds_read_b32 v17, v17
	v_cndmask_b32_e64 v14, v14, v22, s[0:1]
	v_cndmask_b32_e64 v20, v22, v20, s[0:1]
	v_cmp_gt_u32_e64 s[4:5], s15, v14
	v_cmp_le_u32_e64 s[2:3], s20, v20
	s_waitcnt lgkmcnt(0)
	v_cndmask_b32_e64 v23, v17, v19, s[0:1]
	v_cndmask_b32_e64 v24, v21, v17, s[0:1]
	v_cmp_le_u32_e64 s[6:7], v24, v23
	s_and_b64 s[4:5], s[4:5], s[6:7]
	s_or_b64 s[2:3], s[2:3], s[4:5]
	v_cndmask_b32_e64 v17, v20, v14, s[2:3]
	v_cndmask_b32_e64 v12, v12, v13, s[2:3]
	v_add_u32_e32 v13, 1, v17
	v_add_u32_e32 v12, -1, v12
	v_min_u32_e32 v12, v13, v12
	v_lshlrev_b32_e32 v12, 2, v12
	ds_read_b32 v22, v12
	v_cndmask_b32_e32 v10, v11, v10, vcc
	v_cndmask_b32_e64 v11, v19, v21, s[0:1]
	v_cndmask_b32_e64 v19, v13, v20, s[2:3]
	;; [unrolled: 1-line block ×3, first 2 shown]
	s_waitcnt lgkmcnt(0)
	v_cndmask_b32_e64 v21, v22, v23, s[2:3]
	v_cndmask_b32_e64 v22, v24, v22, s[2:3]
	;; [unrolled: 1-line block ×3, first 2 shown]
	v_cmp_gt_u32_e64 s[0:1], s15, v13
	v_cmp_le_u32_e64 s[2:3], v22, v21
	v_cmp_le_u32_e32 vcc, s20, v19
	s_and_b64 s[0:1], s[0:1], s[2:3]
	s_or_b64 vcc, vcc, s[0:1]
	v_cndmask_b32_e32 v19, v19, v13, vcc
	v_cndmask_b32_e32 v13, v21, v22, vcc
.LBB473_31:
	s_or_b64 exec, exec, s[10:11]
	v_add_u32_e32 v24, v1, v1
	s_barrier
	s_waitcnt vmcnt(0)
	ds_write2st64_b64 v24, v[2:3], v[4:5] offset1:4
	ds_write2st64_b64 v24, v[6:7], v[8:9] offset0:8 offset1:12
	v_lshlrev_b32_e32 v2, 3, v15
	v_lshlrev_b32_e32 v3, 3, v16
	;; [unrolled: 1-line block ×4, first 2 shown]
	s_waitcnt lgkmcnt(0)
	s_barrier
	ds_read_b64 v[6:7], v2
	ds_read_b64 v[8:9], v3
	;; [unrolled: 1-line block ×4, first 2 shown]
	s_mov_b32 s17, 0
	s_lshl_b64 s[0:1], s[16:17], 2
	v_lshrrev_b32_e32 v14, 3, v0
	s_add_u32 s0, s8, s0
	v_add_u32_e32 v16, v14, v1
	s_addc_u32 s1, s9, s1
	v_lshlrev_b32_e32 v17, 2, v16
	s_waitcnt lgkmcnt(0)
	s_barrier
	s_barrier
	ds_write2_b32 v17, v10, v11 offset1:1
	ds_write2_b32 v17, v12, v13 offset0:2 offset1:3
	v_or_b32_e32 v23, 0x100, v0
	v_or_b32_e32 v22, 0x200, v0
	;; [unrolled: 1-line block ×3, first 2 shown]
	v_mov_b32_e32 v11, s1
	v_add_co_u32_e32 v10, vcc, s0, v1
	v_lshrrev_b32_e32 v14, 5, v0
	v_lshrrev_b32_e32 v12, 5, v23
	;; [unrolled: 1-line block ×4, first 2 shown]
	v_addc_co_u32_e32 v11, vcc, 0, v11, vcc
	v_lshl_add_u32 v15, v14, 2, v1
	v_lshl_add_u32 v25, v12, 2, v1
	;; [unrolled: 1-line block ×4, first 2 shown]
	s_and_b64 vcc, exec, s[18:19]
	v_lshl_add_u32 v1, v12, 3, v24
	v_lshl_add_u32 v19, v13, 3, v24
	;; [unrolled: 1-line block ×3, first 2 shown]
	s_waitcnt lgkmcnt(0)
	s_cbranch_vccz .LBB473_33
; %bb.32:
	s_barrier
	ds_read_b32 v12, v15
	ds_read_b32 v13, v25 offset:1024
	ds_read_b32 v28, v26 offset:2048
	;; [unrolled: 1-line block ×3, first 2 shown]
	s_lshl_b64 s[0:1], s[16:17], 3
	s_add_u32 s0, s12, s0
	s_waitcnt lgkmcnt(3)
	global_store_dword v[10:11], v12, off
	s_waitcnt lgkmcnt(2)
	global_store_dword v[10:11], v13, off offset:1024
	s_waitcnt lgkmcnt(1)
	global_store_dword v[10:11], v28, off offset:2048
	;; [unrolled: 2-line block ×3, first 2 shown]
	v_lshlrev_b32_e32 v12, 3, v16
	s_barrier
	ds_write2_b64 v12, v[6:7], v[8:9] offset1:1
	ds_write2_b64 v12, v[2:3], v[4:5] offset0:2 offset1:3
	v_lshl_add_u32 v12, v14, 3, v24
	s_addc_u32 s1, s13, s1
	s_waitcnt lgkmcnt(0)
	s_barrier
	ds_read_b64 v[28:29], v12
	ds_read_b64 v[30:31], v1 offset:2048
	ds_read_b64 v[32:33], v19 offset:4096
	ds_read_b64 v[12:13], v20 offset:6144
	v_mov_b32_e32 v24, s1
	v_add_co_u32_e32 v34, vcc, s0, v18
	v_addc_co_u32_e32 v24, vcc, 0, v24, vcc
	s_waitcnt lgkmcnt(3)
	global_store_dwordx2 v18, v[28:29], s[0:1]
	s_waitcnt lgkmcnt(2)
	global_store_dwordx2 v18, v[30:31], s[0:1] offset:2048
	v_add_co_u32_e32 v28, vcc, 0x1000, v34
	v_addc_co_u32_e32 v29, vcc, 0, v24, vcc
	s_waitcnt lgkmcnt(1)
	global_store_dwordx2 v[28:29], v[32:33], off
	s_mov_b64 s[6:7], -1
	s_cbranch_execz .LBB473_34
	s_branch .LBB473_44
.LBB473_33:
	s_mov_b64 s[6:7], 0
                                        ; implicit-def: $vgpr12_vgpr13
.LBB473_34:
	s_barrier
	s_waitcnt lgkmcnt(0)
	ds_read_b32 v24, v25 offset:1024
	ds_read_b32 v13, v26 offset:2048
	ds_read_b32 v12, v27 offset:3072
	s_sub_i32 s6, s14, s16
	v_cmp_gt_u32_e32 vcc, s6, v0
	s_and_saveexec_b64 s[0:1], vcc
	s_cbranch_execnz .LBB473_51
; %bb.35:
	s_or_b64 exec, exec, s[0:1]
	v_cmp_gt_u32_e64 s[0:1], s6, v23
	s_and_saveexec_b64 s[2:3], s[0:1]
	s_cbranch_execnz .LBB473_52
.LBB473_36:
	s_or_b64 exec, exec, s[2:3]
	v_cmp_gt_u32_e64 s[2:3], s6, v22
	s_and_saveexec_b64 s[4:5], s[2:3]
	s_cbranch_execnz .LBB473_53
.LBB473_37:
	s_or_b64 exec, exec, s[4:5]
	v_cmp_gt_u32_e64 s[6:7], s6, v21
	s_and_saveexec_b64 s[4:5], s[6:7]
	s_cbranch_execz .LBB473_39
.LBB473_38:
	s_waitcnt lgkmcnt(0)
	global_store_dword v[10:11], v12, off offset:3072
.LBB473_39:
	s_or_b64 exec, exec, s[4:5]
	v_lshl_add_u32 v10, v16, 2, v17
	s_waitcnt lgkmcnt(0)
	s_barrier
	ds_write2_b64 v10, v[6:7], v[8:9] offset1:1
	ds_write2_b64 v10, v[2:3], v[4:5] offset0:2 offset1:3
	s_waitcnt lgkmcnt(0)
	s_barrier
	ds_read_b64 v[6:7], v1 offset:2048
	ds_read_b64 v[2:3], v19 offset:4096
	;; [unrolled: 1-line block ×3, first 2 shown]
	s_lshl_b64 s[4:5], s[16:17], 3
	s_add_u32 s4, s12, s4
	s_addc_u32 s5, s13, s5
	v_mov_b32_e32 v1, s5
	v_add_co_u32_e64 v4, s[4:5], s4, v18
	v_addc_co_u32_e64 v5, s[4:5], 0, v1, s[4:5]
	s_and_saveexec_b64 s[4:5], vcc
	s_cbranch_execnz .LBB473_54
; %bb.40:
	s_or_b64 exec, exec, s[4:5]
	s_and_saveexec_b64 s[4:5], s[0:1]
	s_cbranch_execnz .LBB473_55
.LBB473_41:
	s_or_b64 exec, exec, s[4:5]
	s_and_saveexec_b64 s[0:1], s[2:3]
	s_cbranch_execz .LBB473_43
.LBB473_42:
	v_add_co_u32_e32 v0, vcc, 0x1000, v4
	v_addc_co_u32_e32 v1, vcc, 0, v5, vcc
	s_waitcnt lgkmcnt(1)
	global_store_dwordx2 v[0:1], v[2:3], off
.LBB473_43:
	s_or_b64 exec, exec, s[0:1]
.LBB473_44:
	s_and_saveexec_b64 s[0:1], s[6:7]
	s_cbranch_execz .LBB473_46
; %bb.45:
	s_lshl_b64 s[0:1], s[16:17], 3
	s_add_u32 s0, s12, s0
	s_addc_u32 s1, s13, s1
	v_mov_b32_e32 v0, s1
	v_add_co_u32_e32 v1, vcc, s0, v18
	s_waitcnt lgkmcnt(1)
	v_addc_co_u32_e32 v2, vcc, 0, v0, vcc
	v_add_co_u32_e32 v0, vcc, 0x1000, v1
	v_addc_co_u32_e32 v1, vcc, 0, v2, vcc
	s_waitcnt lgkmcnt(0)
	global_store_dwordx2 v[0:1], v[12:13], off offset:2048
.LBB473_46:
	s_endpgm
.LBB473_47:
	v_mov_b32_e32 v2, s25
	v_add_co_u32_e32 v4, vcc, s24, v1
	v_mov_b32_e32 v3, 0
	v_addc_co_u32_e32 v5, vcc, 0, v2, vcc
	v_subrev_u32_e32 v2, s15, v0
	v_lshlrev_b64 v[2:3], 2, v[2:3]
	v_mov_b32_e32 v6, s23
	v_add_co_u32_e32 v2, vcc, s21, v2
	v_addc_co_u32_e32 v3, vcc, v6, v3, vcc
	v_cmp_gt_u32_e32 vcc, s15, v0
	v_cndmask_b32_e32 v3, v3, v5, vcc
	v_cndmask_b32_e32 v2, v2, v4, vcc
	global_load_dword v10, v[2:3], off
	s_or_b64 exec, exec, s[0:1]
	v_cmp_gt_u32_e32 vcc, s6, v16
	s_and_saveexec_b64 s[0:1], vcc
	s_cbranch_execz .LBB473_6
.LBB473_48:
	v_mov_b32_e32 v17, 0
	v_lshlrev_b64 v[2:3], 2, v[16:17]
	v_mov_b32_e32 v4, s25
	v_add_co_u32_e32 v5, vcc, s24, v2
	v_addc_co_u32_e32 v4, vcc, v4, v3, vcc
	v_subrev_u32_e32 v2, s15, v16
	v_mov_b32_e32 v3, v17
	v_lshlrev_b64 v[2:3], 2, v[2:3]
	v_mov_b32_e32 v6, s23
	v_add_co_u32_e32 v2, vcc, s21, v2
	v_addc_co_u32_e32 v3, vcc, v6, v3, vcc
	v_cmp_gt_u32_e32 vcc, s15, v16
	v_cndmask_b32_e32 v3, v3, v4, vcc
	v_cndmask_b32_e32 v2, v2, v5, vcc
	global_load_dword v11, v[2:3], off
	s_or_b64 exec, exec, s[0:1]
	v_cmp_gt_u32_e32 vcc, s6, v14
	s_and_saveexec_b64 s[0:1], vcc
	s_cbranch_execnz .LBB473_7
	s_branch .LBB473_8
.LBB473_49:
	s_waitcnt vmcnt(3)
	v_mov_b32_e32 v2, s7
	s_waitcnt vmcnt(2)
	v_add_co_u32_e32 v4, vcc, s6, v18
	v_mov_b32_e32 v3, 0
	v_addc_co_u32_e32 v5, vcc, 0, v2, vcc
	v_subrev_u32_e32 v2, s15, v0
	v_lshlrev_b64 v[2:3], 3, v[2:3]
	s_waitcnt vmcnt(1)
	v_mov_b32_e32 v6, s5
	v_add_co_u32_e32 v2, vcc, s4, v2
	v_addc_co_u32_e32 v3, vcc, v6, v3, vcc
	v_cmp_gt_u32_e32 vcc, s15, v0
	v_cndmask_b32_e32 v3, v3, v5, vcc
	v_cndmask_b32_e32 v2, v2, v4, vcc
	global_load_dwordx2 v[2:3], v[2:3], off
	s_or_b64 exec, exec, s[0:1]
	v_cmp_gt_u32_e32 vcc, s20, v16
	s_and_saveexec_b64 s[2:3], vcc
	s_cbranch_execz .LBB473_16
.LBB473_50:
	v_mov_b32_e32 v17, 0
	s_waitcnt vmcnt(2)
	v_lshlrev_b64 v[4:5], 3, v[16:17]
	v_mov_b32_e32 v15, s7
	v_add_co_u32_e32 v20, vcc, s6, v4
	v_addc_co_u32_e32 v15, vcc, v15, v5, vcc
	v_cmp_gt_u32_e32 vcc, s15, v16
	v_subrev_u32_e32 v16, s15, v16
	v_lshlrev_b64 v[4:5], 3, v[16:17]
	v_mov_b32_e32 v16, s5
	v_add_co_u32_e64 v4, s[0:1], s4, v4
	v_addc_co_u32_e64 v5, s[0:1], v16, v5, s[0:1]
	v_cndmask_b32_e32 v5, v5, v15, vcc
	v_cndmask_b32_e32 v4, v4, v20, vcc
	global_load_dwordx2 v[4:5], v[4:5], off
	s_or_b64 exec, exec, s[2:3]
	v_cmp_gt_u32_e32 vcc, s20, v14
	s_and_saveexec_b64 s[0:1], vcc
	s_cbranch_execnz .LBB473_17
	s_branch .LBB473_18
.LBB473_51:
	ds_read_b32 v25, v15
	s_waitcnt lgkmcnt(0)
	global_store_dword v[10:11], v25, off
	s_or_b64 exec, exec, s[0:1]
	v_cmp_gt_u32_e64 s[0:1], s6, v23
	s_and_saveexec_b64 s[2:3], s[0:1]
	s_cbranch_execz .LBB473_36
.LBB473_52:
	s_waitcnt lgkmcnt(2)
	global_store_dword v[10:11], v24, off offset:1024
	s_or_b64 exec, exec, s[2:3]
	v_cmp_gt_u32_e64 s[2:3], s6, v22
	s_and_saveexec_b64 s[4:5], s[2:3]
	s_cbranch_execz .LBB473_37
.LBB473_53:
	s_waitcnt lgkmcnt(1)
	global_store_dword v[10:11], v13, off offset:2048
	s_or_b64 exec, exec, s[4:5]
	v_cmp_gt_u32_e64 s[6:7], s6, v21
	s_and_saveexec_b64 s[4:5], s[6:7]
	s_cbranch_execnz .LBB473_38
	s_branch .LBB473_39
.LBB473_54:
	v_add_u32_e32 v0, v14, v0
	v_lshl_add_u32 v0, v0, 2, v15
	ds_read_b64 v[0:1], v0
	s_waitcnt lgkmcnt(0)
	global_store_dwordx2 v[4:5], v[0:1], off
	s_or_b64 exec, exec, s[4:5]
	s_and_saveexec_b64 s[4:5], s[0:1]
	s_cbranch_execz .LBB473_41
.LBB473_55:
	s_waitcnt lgkmcnt(2)
	global_store_dwordx2 v[4:5], v[6:7], off offset:2048
	s_or_b64 exec, exec, s[4:5]
	s_and_saveexec_b64 s[0:1], s[2:3]
	s_cbranch_execnz .LBB473_42
	s_branch .LBB473_43
	.section	.rodata,"a",@progbits
	.p2align	6, 0x0
	.amdhsa_kernel _ZN7rocprim17ROCPRIM_400000_NS6detail17trampoline_kernelINS0_14default_configENS1_38merge_sort_block_merge_config_selectorIjyEEZZNS1_27merge_sort_block_merge_implIS3_PjPyjNS1_19radix_merge_compareILb0ELb0EjNS0_19identity_decomposerEEEEE10hipError_tT0_T1_T2_jT3_P12ihipStream_tbPNSt15iterator_traitsISD_E10value_typeEPNSJ_ISE_E10value_typeEPSF_NS1_7vsmem_tEENKUlT_SD_SE_SF_E_clIS7_S7_S8_S8_EESC_SS_SD_SE_SF_EUlSS_E0_NS1_11comp_targetILNS1_3genE4ELNS1_11target_archE910ELNS1_3gpuE8ELNS1_3repE0EEENS1_38merge_mergepath_config_static_selectorELNS0_4arch9wavefront6targetE1EEEvSE_
		.amdhsa_group_segment_fixed_size 8448
		.amdhsa_private_segment_fixed_size 0
		.amdhsa_kernarg_size 320
		.amdhsa_user_sgpr_count 6
		.amdhsa_user_sgpr_private_segment_buffer 1
		.amdhsa_user_sgpr_dispatch_ptr 0
		.amdhsa_user_sgpr_queue_ptr 0
		.amdhsa_user_sgpr_kernarg_segment_ptr 1
		.amdhsa_user_sgpr_dispatch_id 0
		.amdhsa_user_sgpr_flat_scratch_init 0
		.amdhsa_user_sgpr_kernarg_preload_length 0
		.amdhsa_user_sgpr_kernarg_preload_offset 0
		.amdhsa_user_sgpr_private_segment_size 0
		.amdhsa_uses_dynamic_stack 0
		.amdhsa_system_sgpr_private_segment_wavefront_offset 0
		.amdhsa_system_sgpr_workgroup_id_x 1
		.amdhsa_system_sgpr_workgroup_id_y 1
		.amdhsa_system_sgpr_workgroup_id_z 1
		.amdhsa_system_sgpr_workgroup_info 0
		.amdhsa_system_vgpr_workitem_id 0
		.amdhsa_next_free_vgpr 35
		.amdhsa_next_free_sgpr 30
		.amdhsa_accum_offset 36
		.amdhsa_reserve_vcc 1
		.amdhsa_reserve_flat_scratch 0
		.amdhsa_float_round_mode_32 0
		.amdhsa_float_round_mode_16_64 0
		.amdhsa_float_denorm_mode_32 3
		.amdhsa_float_denorm_mode_16_64 3
		.amdhsa_dx10_clamp 1
		.amdhsa_ieee_mode 1
		.amdhsa_fp16_overflow 0
		.amdhsa_tg_split 0
		.amdhsa_exception_fp_ieee_invalid_op 0
		.amdhsa_exception_fp_denorm_src 0
		.amdhsa_exception_fp_ieee_div_zero 0
		.amdhsa_exception_fp_ieee_overflow 0
		.amdhsa_exception_fp_ieee_underflow 0
		.amdhsa_exception_fp_ieee_inexact 0
		.amdhsa_exception_int_div_zero 0
	.end_amdhsa_kernel
	.section	.text._ZN7rocprim17ROCPRIM_400000_NS6detail17trampoline_kernelINS0_14default_configENS1_38merge_sort_block_merge_config_selectorIjyEEZZNS1_27merge_sort_block_merge_implIS3_PjPyjNS1_19radix_merge_compareILb0ELb0EjNS0_19identity_decomposerEEEEE10hipError_tT0_T1_T2_jT3_P12ihipStream_tbPNSt15iterator_traitsISD_E10value_typeEPNSJ_ISE_E10value_typeEPSF_NS1_7vsmem_tEENKUlT_SD_SE_SF_E_clIS7_S7_S8_S8_EESC_SS_SD_SE_SF_EUlSS_E0_NS1_11comp_targetILNS1_3genE4ELNS1_11target_archE910ELNS1_3gpuE8ELNS1_3repE0EEENS1_38merge_mergepath_config_static_selectorELNS0_4arch9wavefront6targetE1EEEvSE_,"axG",@progbits,_ZN7rocprim17ROCPRIM_400000_NS6detail17trampoline_kernelINS0_14default_configENS1_38merge_sort_block_merge_config_selectorIjyEEZZNS1_27merge_sort_block_merge_implIS3_PjPyjNS1_19radix_merge_compareILb0ELb0EjNS0_19identity_decomposerEEEEE10hipError_tT0_T1_T2_jT3_P12ihipStream_tbPNSt15iterator_traitsISD_E10value_typeEPNSJ_ISE_E10value_typeEPSF_NS1_7vsmem_tEENKUlT_SD_SE_SF_E_clIS7_S7_S8_S8_EESC_SS_SD_SE_SF_EUlSS_E0_NS1_11comp_targetILNS1_3genE4ELNS1_11target_archE910ELNS1_3gpuE8ELNS1_3repE0EEENS1_38merge_mergepath_config_static_selectorELNS0_4arch9wavefront6targetE1EEEvSE_,comdat
.Lfunc_end473:
	.size	_ZN7rocprim17ROCPRIM_400000_NS6detail17trampoline_kernelINS0_14default_configENS1_38merge_sort_block_merge_config_selectorIjyEEZZNS1_27merge_sort_block_merge_implIS3_PjPyjNS1_19radix_merge_compareILb0ELb0EjNS0_19identity_decomposerEEEEE10hipError_tT0_T1_T2_jT3_P12ihipStream_tbPNSt15iterator_traitsISD_E10value_typeEPNSJ_ISE_E10value_typeEPSF_NS1_7vsmem_tEENKUlT_SD_SE_SF_E_clIS7_S7_S8_S8_EESC_SS_SD_SE_SF_EUlSS_E0_NS1_11comp_targetILNS1_3genE4ELNS1_11target_archE910ELNS1_3gpuE8ELNS1_3repE0EEENS1_38merge_mergepath_config_static_selectorELNS0_4arch9wavefront6targetE1EEEvSE_, .Lfunc_end473-_ZN7rocprim17ROCPRIM_400000_NS6detail17trampoline_kernelINS0_14default_configENS1_38merge_sort_block_merge_config_selectorIjyEEZZNS1_27merge_sort_block_merge_implIS3_PjPyjNS1_19radix_merge_compareILb0ELb0EjNS0_19identity_decomposerEEEEE10hipError_tT0_T1_T2_jT3_P12ihipStream_tbPNSt15iterator_traitsISD_E10value_typeEPNSJ_ISE_E10value_typeEPSF_NS1_7vsmem_tEENKUlT_SD_SE_SF_E_clIS7_S7_S8_S8_EESC_SS_SD_SE_SF_EUlSS_E0_NS1_11comp_targetILNS1_3genE4ELNS1_11target_archE910ELNS1_3gpuE8ELNS1_3repE0EEENS1_38merge_mergepath_config_static_selectorELNS0_4arch9wavefront6targetE1EEEvSE_
                                        ; -- End function
	.section	.AMDGPU.csdata,"",@progbits
; Kernel info:
; codeLenInByte = 3336
; NumSgprs: 34
; NumVgprs: 35
; NumAgprs: 0
; TotalNumVgprs: 35
; ScratchSize: 0
; MemoryBound: 0
; FloatMode: 240
; IeeeMode: 1
; LDSByteSize: 8448 bytes/workgroup (compile time only)
; SGPRBlocks: 4
; VGPRBlocks: 4
; NumSGPRsForWavesPerEU: 34
; NumVGPRsForWavesPerEU: 35
; AccumOffset: 36
; Occupancy: 7
; WaveLimiterHint : 1
; COMPUTE_PGM_RSRC2:SCRATCH_EN: 0
; COMPUTE_PGM_RSRC2:USER_SGPR: 6
; COMPUTE_PGM_RSRC2:TRAP_HANDLER: 0
; COMPUTE_PGM_RSRC2:TGID_X_EN: 1
; COMPUTE_PGM_RSRC2:TGID_Y_EN: 1
; COMPUTE_PGM_RSRC2:TGID_Z_EN: 1
; COMPUTE_PGM_RSRC2:TIDIG_COMP_CNT: 0
; COMPUTE_PGM_RSRC3_GFX90A:ACCUM_OFFSET: 8
; COMPUTE_PGM_RSRC3_GFX90A:TG_SPLIT: 0
	.section	.text._ZN7rocprim17ROCPRIM_400000_NS6detail17trampoline_kernelINS0_14default_configENS1_38merge_sort_block_merge_config_selectorIjyEEZZNS1_27merge_sort_block_merge_implIS3_PjPyjNS1_19radix_merge_compareILb0ELb0EjNS0_19identity_decomposerEEEEE10hipError_tT0_T1_T2_jT3_P12ihipStream_tbPNSt15iterator_traitsISD_E10value_typeEPNSJ_ISE_E10value_typeEPSF_NS1_7vsmem_tEENKUlT_SD_SE_SF_E_clIS7_S7_S8_S8_EESC_SS_SD_SE_SF_EUlSS_E0_NS1_11comp_targetILNS1_3genE3ELNS1_11target_archE908ELNS1_3gpuE7ELNS1_3repE0EEENS1_38merge_mergepath_config_static_selectorELNS0_4arch9wavefront6targetE1EEEvSE_,"axG",@progbits,_ZN7rocprim17ROCPRIM_400000_NS6detail17trampoline_kernelINS0_14default_configENS1_38merge_sort_block_merge_config_selectorIjyEEZZNS1_27merge_sort_block_merge_implIS3_PjPyjNS1_19radix_merge_compareILb0ELb0EjNS0_19identity_decomposerEEEEE10hipError_tT0_T1_T2_jT3_P12ihipStream_tbPNSt15iterator_traitsISD_E10value_typeEPNSJ_ISE_E10value_typeEPSF_NS1_7vsmem_tEENKUlT_SD_SE_SF_E_clIS7_S7_S8_S8_EESC_SS_SD_SE_SF_EUlSS_E0_NS1_11comp_targetILNS1_3genE3ELNS1_11target_archE908ELNS1_3gpuE7ELNS1_3repE0EEENS1_38merge_mergepath_config_static_selectorELNS0_4arch9wavefront6targetE1EEEvSE_,comdat
	.protected	_ZN7rocprim17ROCPRIM_400000_NS6detail17trampoline_kernelINS0_14default_configENS1_38merge_sort_block_merge_config_selectorIjyEEZZNS1_27merge_sort_block_merge_implIS3_PjPyjNS1_19radix_merge_compareILb0ELb0EjNS0_19identity_decomposerEEEEE10hipError_tT0_T1_T2_jT3_P12ihipStream_tbPNSt15iterator_traitsISD_E10value_typeEPNSJ_ISE_E10value_typeEPSF_NS1_7vsmem_tEENKUlT_SD_SE_SF_E_clIS7_S7_S8_S8_EESC_SS_SD_SE_SF_EUlSS_E0_NS1_11comp_targetILNS1_3genE3ELNS1_11target_archE908ELNS1_3gpuE7ELNS1_3repE0EEENS1_38merge_mergepath_config_static_selectorELNS0_4arch9wavefront6targetE1EEEvSE_ ; -- Begin function _ZN7rocprim17ROCPRIM_400000_NS6detail17trampoline_kernelINS0_14default_configENS1_38merge_sort_block_merge_config_selectorIjyEEZZNS1_27merge_sort_block_merge_implIS3_PjPyjNS1_19radix_merge_compareILb0ELb0EjNS0_19identity_decomposerEEEEE10hipError_tT0_T1_T2_jT3_P12ihipStream_tbPNSt15iterator_traitsISD_E10value_typeEPNSJ_ISE_E10value_typeEPSF_NS1_7vsmem_tEENKUlT_SD_SE_SF_E_clIS7_S7_S8_S8_EESC_SS_SD_SE_SF_EUlSS_E0_NS1_11comp_targetILNS1_3genE3ELNS1_11target_archE908ELNS1_3gpuE7ELNS1_3repE0EEENS1_38merge_mergepath_config_static_selectorELNS0_4arch9wavefront6targetE1EEEvSE_
	.globl	_ZN7rocprim17ROCPRIM_400000_NS6detail17trampoline_kernelINS0_14default_configENS1_38merge_sort_block_merge_config_selectorIjyEEZZNS1_27merge_sort_block_merge_implIS3_PjPyjNS1_19radix_merge_compareILb0ELb0EjNS0_19identity_decomposerEEEEE10hipError_tT0_T1_T2_jT3_P12ihipStream_tbPNSt15iterator_traitsISD_E10value_typeEPNSJ_ISE_E10value_typeEPSF_NS1_7vsmem_tEENKUlT_SD_SE_SF_E_clIS7_S7_S8_S8_EESC_SS_SD_SE_SF_EUlSS_E0_NS1_11comp_targetILNS1_3genE3ELNS1_11target_archE908ELNS1_3gpuE7ELNS1_3repE0EEENS1_38merge_mergepath_config_static_selectorELNS0_4arch9wavefront6targetE1EEEvSE_
	.p2align	8
	.type	_ZN7rocprim17ROCPRIM_400000_NS6detail17trampoline_kernelINS0_14default_configENS1_38merge_sort_block_merge_config_selectorIjyEEZZNS1_27merge_sort_block_merge_implIS3_PjPyjNS1_19radix_merge_compareILb0ELb0EjNS0_19identity_decomposerEEEEE10hipError_tT0_T1_T2_jT3_P12ihipStream_tbPNSt15iterator_traitsISD_E10value_typeEPNSJ_ISE_E10value_typeEPSF_NS1_7vsmem_tEENKUlT_SD_SE_SF_E_clIS7_S7_S8_S8_EESC_SS_SD_SE_SF_EUlSS_E0_NS1_11comp_targetILNS1_3genE3ELNS1_11target_archE908ELNS1_3gpuE7ELNS1_3repE0EEENS1_38merge_mergepath_config_static_selectorELNS0_4arch9wavefront6targetE1EEEvSE_,@function
_ZN7rocprim17ROCPRIM_400000_NS6detail17trampoline_kernelINS0_14default_configENS1_38merge_sort_block_merge_config_selectorIjyEEZZNS1_27merge_sort_block_merge_implIS3_PjPyjNS1_19radix_merge_compareILb0ELb0EjNS0_19identity_decomposerEEEEE10hipError_tT0_T1_T2_jT3_P12ihipStream_tbPNSt15iterator_traitsISD_E10value_typeEPNSJ_ISE_E10value_typeEPSF_NS1_7vsmem_tEENKUlT_SD_SE_SF_E_clIS7_S7_S8_S8_EESC_SS_SD_SE_SF_EUlSS_E0_NS1_11comp_targetILNS1_3genE3ELNS1_11target_archE908ELNS1_3gpuE7ELNS1_3repE0EEENS1_38merge_mergepath_config_static_selectorELNS0_4arch9wavefront6targetE1EEEvSE_: ; @_ZN7rocprim17ROCPRIM_400000_NS6detail17trampoline_kernelINS0_14default_configENS1_38merge_sort_block_merge_config_selectorIjyEEZZNS1_27merge_sort_block_merge_implIS3_PjPyjNS1_19radix_merge_compareILb0ELb0EjNS0_19identity_decomposerEEEEE10hipError_tT0_T1_T2_jT3_P12ihipStream_tbPNSt15iterator_traitsISD_E10value_typeEPNSJ_ISE_E10value_typeEPSF_NS1_7vsmem_tEENKUlT_SD_SE_SF_E_clIS7_S7_S8_S8_EESC_SS_SD_SE_SF_EUlSS_E0_NS1_11comp_targetILNS1_3genE3ELNS1_11target_archE908ELNS1_3gpuE7ELNS1_3repE0EEENS1_38merge_mergepath_config_static_selectorELNS0_4arch9wavefront6targetE1EEEvSE_
; %bb.0:
	.section	.rodata,"a",@progbits
	.p2align	6, 0x0
	.amdhsa_kernel _ZN7rocprim17ROCPRIM_400000_NS6detail17trampoline_kernelINS0_14default_configENS1_38merge_sort_block_merge_config_selectorIjyEEZZNS1_27merge_sort_block_merge_implIS3_PjPyjNS1_19radix_merge_compareILb0ELb0EjNS0_19identity_decomposerEEEEE10hipError_tT0_T1_T2_jT3_P12ihipStream_tbPNSt15iterator_traitsISD_E10value_typeEPNSJ_ISE_E10value_typeEPSF_NS1_7vsmem_tEENKUlT_SD_SE_SF_E_clIS7_S7_S8_S8_EESC_SS_SD_SE_SF_EUlSS_E0_NS1_11comp_targetILNS1_3genE3ELNS1_11target_archE908ELNS1_3gpuE7ELNS1_3repE0EEENS1_38merge_mergepath_config_static_selectorELNS0_4arch9wavefront6targetE1EEEvSE_
		.amdhsa_group_segment_fixed_size 0
		.amdhsa_private_segment_fixed_size 0
		.amdhsa_kernarg_size 64
		.amdhsa_user_sgpr_count 6
		.amdhsa_user_sgpr_private_segment_buffer 1
		.amdhsa_user_sgpr_dispatch_ptr 0
		.amdhsa_user_sgpr_queue_ptr 0
		.amdhsa_user_sgpr_kernarg_segment_ptr 1
		.amdhsa_user_sgpr_dispatch_id 0
		.amdhsa_user_sgpr_flat_scratch_init 0
		.amdhsa_user_sgpr_kernarg_preload_length 0
		.amdhsa_user_sgpr_kernarg_preload_offset 0
		.amdhsa_user_sgpr_private_segment_size 0
		.amdhsa_uses_dynamic_stack 0
		.amdhsa_system_sgpr_private_segment_wavefront_offset 0
		.amdhsa_system_sgpr_workgroup_id_x 1
		.amdhsa_system_sgpr_workgroup_id_y 0
		.amdhsa_system_sgpr_workgroup_id_z 0
		.amdhsa_system_sgpr_workgroup_info 0
		.amdhsa_system_vgpr_workitem_id 0
		.amdhsa_next_free_vgpr 1
		.amdhsa_next_free_sgpr 0
		.amdhsa_accum_offset 4
		.amdhsa_reserve_vcc 0
		.amdhsa_reserve_flat_scratch 0
		.amdhsa_float_round_mode_32 0
		.amdhsa_float_round_mode_16_64 0
		.amdhsa_float_denorm_mode_32 3
		.amdhsa_float_denorm_mode_16_64 3
		.amdhsa_dx10_clamp 1
		.amdhsa_ieee_mode 1
		.amdhsa_fp16_overflow 0
		.amdhsa_tg_split 0
		.amdhsa_exception_fp_ieee_invalid_op 0
		.amdhsa_exception_fp_denorm_src 0
		.amdhsa_exception_fp_ieee_div_zero 0
		.amdhsa_exception_fp_ieee_overflow 0
		.amdhsa_exception_fp_ieee_underflow 0
		.amdhsa_exception_fp_ieee_inexact 0
		.amdhsa_exception_int_div_zero 0
	.end_amdhsa_kernel
	.section	.text._ZN7rocprim17ROCPRIM_400000_NS6detail17trampoline_kernelINS0_14default_configENS1_38merge_sort_block_merge_config_selectorIjyEEZZNS1_27merge_sort_block_merge_implIS3_PjPyjNS1_19radix_merge_compareILb0ELb0EjNS0_19identity_decomposerEEEEE10hipError_tT0_T1_T2_jT3_P12ihipStream_tbPNSt15iterator_traitsISD_E10value_typeEPNSJ_ISE_E10value_typeEPSF_NS1_7vsmem_tEENKUlT_SD_SE_SF_E_clIS7_S7_S8_S8_EESC_SS_SD_SE_SF_EUlSS_E0_NS1_11comp_targetILNS1_3genE3ELNS1_11target_archE908ELNS1_3gpuE7ELNS1_3repE0EEENS1_38merge_mergepath_config_static_selectorELNS0_4arch9wavefront6targetE1EEEvSE_,"axG",@progbits,_ZN7rocprim17ROCPRIM_400000_NS6detail17trampoline_kernelINS0_14default_configENS1_38merge_sort_block_merge_config_selectorIjyEEZZNS1_27merge_sort_block_merge_implIS3_PjPyjNS1_19radix_merge_compareILb0ELb0EjNS0_19identity_decomposerEEEEE10hipError_tT0_T1_T2_jT3_P12ihipStream_tbPNSt15iterator_traitsISD_E10value_typeEPNSJ_ISE_E10value_typeEPSF_NS1_7vsmem_tEENKUlT_SD_SE_SF_E_clIS7_S7_S8_S8_EESC_SS_SD_SE_SF_EUlSS_E0_NS1_11comp_targetILNS1_3genE3ELNS1_11target_archE908ELNS1_3gpuE7ELNS1_3repE0EEENS1_38merge_mergepath_config_static_selectorELNS0_4arch9wavefront6targetE1EEEvSE_,comdat
.Lfunc_end474:
	.size	_ZN7rocprim17ROCPRIM_400000_NS6detail17trampoline_kernelINS0_14default_configENS1_38merge_sort_block_merge_config_selectorIjyEEZZNS1_27merge_sort_block_merge_implIS3_PjPyjNS1_19radix_merge_compareILb0ELb0EjNS0_19identity_decomposerEEEEE10hipError_tT0_T1_T2_jT3_P12ihipStream_tbPNSt15iterator_traitsISD_E10value_typeEPNSJ_ISE_E10value_typeEPSF_NS1_7vsmem_tEENKUlT_SD_SE_SF_E_clIS7_S7_S8_S8_EESC_SS_SD_SE_SF_EUlSS_E0_NS1_11comp_targetILNS1_3genE3ELNS1_11target_archE908ELNS1_3gpuE7ELNS1_3repE0EEENS1_38merge_mergepath_config_static_selectorELNS0_4arch9wavefront6targetE1EEEvSE_, .Lfunc_end474-_ZN7rocprim17ROCPRIM_400000_NS6detail17trampoline_kernelINS0_14default_configENS1_38merge_sort_block_merge_config_selectorIjyEEZZNS1_27merge_sort_block_merge_implIS3_PjPyjNS1_19radix_merge_compareILb0ELb0EjNS0_19identity_decomposerEEEEE10hipError_tT0_T1_T2_jT3_P12ihipStream_tbPNSt15iterator_traitsISD_E10value_typeEPNSJ_ISE_E10value_typeEPSF_NS1_7vsmem_tEENKUlT_SD_SE_SF_E_clIS7_S7_S8_S8_EESC_SS_SD_SE_SF_EUlSS_E0_NS1_11comp_targetILNS1_3genE3ELNS1_11target_archE908ELNS1_3gpuE7ELNS1_3repE0EEENS1_38merge_mergepath_config_static_selectorELNS0_4arch9wavefront6targetE1EEEvSE_
                                        ; -- End function
	.section	.AMDGPU.csdata,"",@progbits
; Kernel info:
; codeLenInByte = 0
; NumSgprs: 4
; NumVgprs: 0
; NumAgprs: 0
; TotalNumVgprs: 0
; ScratchSize: 0
; MemoryBound: 0
; FloatMode: 240
; IeeeMode: 1
; LDSByteSize: 0 bytes/workgroup (compile time only)
; SGPRBlocks: 0
; VGPRBlocks: 0
; NumSGPRsForWavesPerEU: 4
; NumVGPRsForWavesPerEU: 1
; AccumOffset: 4
; Occupancy: 8
; WaveLimiterHint : 0
; COMPUTE_PGM_RSRC2:SCRATCH_EN: 0
; COMPUTE_PGM_RSRC2:USER_SGPR: 6
; COMPUTE_PGM_RSRC2:TRAP_HANDLER: 0
; COMPUTE_PGM_RSRC2:TGID_X_EN: 1
; COMPUTE_PGM_RSRC2:TGID_Y_EN: 0
; COMPUTE_PGM_RSRC2:TGID_Z_EN: 0
; COMPUTE_PGM_RSRC2:TIDIG_COMP_CNT: 0
; COMPUTE_PGM_RSRC3_GFX90A:ACCUM_OFFSET: 0
; COMPUTE_PGM_RSRC3_GFX90A:TG_SPLIT: 0
	.section	.text._ZN7rocprim17ROCPRIM_400000_NS6detail17trampoline_kernelINS0_14default_configENS1_38merge_sort_block_merge_config_selectorIjyEEZZNS1_27merge_sort_block_merge_implIS3_PjPyjNS1_19radix_merge_compareILb0ELb0EjNS0_19identity_decomposerEEEEE10hipError_tT0_T1_T2_jT3_P12ihipStream_tbPNSt15iterator_traitsISD_E10value_typeEPNSJ_ISE_E10value_typeEPSF_NS1_7vsmem_tEENKUlT_SD_SE_SF_E_clIS7_S7_S8_S8_EESC_SS_SD_SE_SF_EUlSS_E0_NS1_11comp_targetILNS1_3genE2ELNS1_11target_archE906ELNS1_3gpuE6ELNS1_3repE0EEENS1_38merge_mergepath_config_static_selectorELNS0_4arch9wavefront6targetE1EEEvSE_,"axG",@progbits,_ZN7rocprim17ROCPRIM_400000_NS6detail17trampoline_kernelINS0_14default_configENS1_38merge_sort_block_merge_config_selectorIjyEEZZNS1_27merge_sort_block_merge_implIS3_PjPyjNS1_19radix_merge_compareILb0ELb0EjNS0_19identity_decomposerEEEEE10hipError_tT0_T1_T2_jT3_P12ihipStream_tbPNSt15iterator_traitsISD_E10value_typeEPNSJ_ISE_E10value_typeEPSF_NS1_7vsmem_tEENKUlT_SD_SE_SF_E_clIS7_S7_S8_S8_EESC_SS_SD_SE_SF_EUlSS_E0_NS1_11comp_targetILNS1_3genE2ELNS1_11target_archE906ELNS1_3gpuE6ELNS1_3repE0EEENS1_38merge_mergepath_config_static_selectorELNS0_4arch9wavefront6targetE1EEEvSE_,comdat
	.protected	_ZN7rocprim17ROCPRIM_400000_NS6detail17trampoline_kernelINS0_14default_configENS1_38merge_sort_block_merge_config_selectorIjyEEZZNS1_27merge_sort_block_merge_implIS3_PjPyjNS1_19radix_merge_compareILb0ELb0EjNS0_19identity_decomposerEEEEE10hipError_tT0_T1_T2_jT3_P12ihipStream_tbPNSt15iterator_traitsISD_E10value_typeEPNSJ_ISE_E10value_typeEPSF_NS1_7vsmem_tEENKUlT_SD_SE_SF_E_clIS7_S7_S8_S8_EESC_SS_SD_SE_SF_EUlSS_E0_NS1_11comp_targetILNS1_3genE2ELNS1_11target_archE906ELNS1_3gpuE6ELNS1_3repE0EEENS1_38merge_mergepath_config_static_selectorELNS0_4arch9wavefront6targetE1EEEvSE_ ; -- Begin function _ZN7rocprim17ROCPRIM_400000_NS6detail17trampoline_kernelINS0_14default_configENS1_38merge_sort_block_merge_config_selectorIjyEEZZNS1_27merge_sort_block_merge_implIS3_PjPyjNS1_19radix_merge_compareILb0ELb0EjNS0_19identity_decomposerEEEEE10hipError_tT0_T1_T2_jT3_P12ihipStream_tbPNSt15iterator_traitsISD_E10value_typeEPNSJ_ISE_E10value_typeEPSF_NS1_7vsmem_tEENKUlT_SD_SE_SF_E_clIS7_S7_S8_S8_EESC_SS_SD_SE_SF_EUlSS_E0_NS1_11comp_targetILNS1_3genE2ELNS1_11target_archE906ELNS1_3gpuE6ELNS1_3repE0EEENS1_38merge_mergepath_config_static_selectorELNS0_4arch9wavefront6targetE1EEEvSE_
	.globl	_ZN7rocprim17ROCPRIM_400000_NS6detail17trampoline_kernelINS0_14default_configENS1_38merge_sort_block_merge_config_selectorIjyEEZZNS1_27merge_sort_block_merge_implIS3_PjPyjNS1_19radix_merge_compareILb0ELb0EjNS0_19identity_decomposerEEEEE10hipError_tT0_T1_T2_jT3_P12ihipStream_tbPNSt15iterator_traitsISD_E10value_typeEPNSJ_ISE_E10value_typeEPSF_NS1_7vsmem_tEENKUlT_SD_SE_SF_E_clIS7_S7_S8_S8_EESC_SS_SD_SE_SF_EUlSS_E0_NS1_11comp_targetILNS1_3genE2ELNS1_11target_archE906ELNS1_3gpuE6ELNS1_3repE0EEENS1_38merge_mergepath_config_static_selectorELNS0_4arch9wavefront6targetE1EEEvSE_
	.p2align	8
	.type	_ZN7rocprim17ROCPRIM_400000_NS6detail17trampoline_kernelINS0_14default_configENS1_38merge_sort_block_merge_config_selectorIjyEEZZNS1_27merge_sort_block_merge_implIS3_PjPyjNS1_19radix_merge_compareILb0ELb0EjNS0_19identity_decomposerEEEEE10hipError_tT0_T1_T2_jT3_P12ihipStream_tbPNSt15iterator_traitsISD_E10value_typeEPNSJ_ISE_E10value_typeEPSF_NS1_7vsmem_tEENKUlT_SD_SE_SF_E_clIS7_S7_S8_S8_EESC_SS_SD_SE_SF_EUlSS_E0_NS1_11comp_targetILNS1_3genE2ELNS1_11target_archE906ELNS1_3gpuE6ELNS1_3repE0EEENS1_38merge_mergepath_config_static_selectorELNS0_4arch9wavefront6targetE1EEEvSE_,@function
_ZN7rocprim17ROCPRIM_400000_NS6detail17trampoline_kernelINS0_14default_configENS1_38merge_sort_block_merge_config_selectorIjyEEZZNS1_27merge_sort_block_merge_implIS3_PjPyjNS1_19radix_merge_compareILb0ELb0EjNS0_19identity_decomposerEEEEE10hipError_tT0_T1_T2_jT3_P12ihipStream_tbPNSt15iterator_traitsISD_E10value_typeEPNSJ_ISE_E10value_typeEPSF_NS1_7vsmem_tEENKUlT_SD_SE_SF_E_clIS7_S7_S8_S8_EESC_SS_SD_SE_SF_EUlSS_E0_NS1_11comp_targetILNS1_3genE2ELNS1_11target_archE906ELNS1_3gpuE6ELNS1_3repE0EEENS1_38merge_mergepath_config_static_selectorELNS0_4arch9wavefront6targetE1EEEvSE_: ; @_ZN7rocprim17ROCPRIM_400000_NS6detail17trampoline_kernelINS0_14default_configENS1_38merge_sort_block_merge_config_selectorIjyEEZZNS1_27merge_sort_block_merge_implIS3_PjPyjNS1_19radix_merge_compareILb0ELb0EjNS0_19identity_decomposerEEEEE10hipError_tT0_T1_T2_jT3_P12ihipStream_tbPNSt15iterator_traitsISD_E10value_typeEPNSJ_ISE_E10value_typeEPSF_NS1_7vsmem_tEENKUlT_SD_SE_SF_E_clIS7_S7_S8_S8_EESC_SS_SD_SE_SF_EUlSS_E0_NS1_11comp_targetILNS1_3genE2ELNS1_11target_archE906ELNS1_3gpuE6ELNS1_3repE0EEENS1_38merge_mergepath_config_static_selectorELNS0_4arch9wavefront6targetE1EEEvSE_
; %bb.0:
	.section	.rodata,"a",@progbits
	.p2align	6, 0x0
	.amdhsa_kernel _ZN7rocprim17ROCPRIM_400000_NS6detail17trampoline_kernelINS0_14default_configENS1_38merge_sort_block_merge_config_selectorIjyEEZZNS1_27merge_sort_block_merge_implIS3_PjPyjNS1_19radix_merge_compareILb0ELb0EjNS0_19identity_decomposerEEEEE10hipError_tT0_T1_T2_jT3_P12ihipStream_tbPNSt15iterator_traitsISD_E10value_typeEPNSJ_ISE_E10value_typeEPSF_NS1_7vsmem_tEENKUlT_SD_SE_SF_E_clIS7_S7_S8_S8_EESC_SS_SD_SE_SF_EUlSS_E0_NS1_11comp_targetILNS1_3genE2ELNS1_11target_archE906ELNS1_3gpuE6ELNS1_3repE0EEENS1_38merge_mergepath_config_static_selectorELNS0_4arch9wavefront6targetE1EEEvSE_
		.amdhsa_group_segment_fixed_size 0
		.amdhsa_private_segment_fixed_size 0
		.amdhsa_kernarg_size 64
		.amdhsa_user_sgpr_count 6
		.amdhsa_user_sgpr_private_segment_buffer 1
		.amdhsa_user_sgpr_dispatch_ptr 0
		.amdhsa_user_sgpr_queue_ptr 0
		.amdhsa_user_sgpr_kernarg_segment_ptr 1
		.amdhsa_user_sgpr_dispatch_id 0
		.amdhsa_user_sgpr_flat_scratch_init 0
		.amdhsa_user_sgpr_kernarg_preload_length 0
		.amdhsa_user_sgpr_kernarg_preload_offset 0
		.amdhsa_user_sgpr_private_segment_size 0
		.amdhsa_uses_dynamic_stack 0
		.amdhsa_system_sgpr_private_segment_wavefront_offset 0
		.amdhsa_system_sgpr_workgroup_id_x 1
		.amdhsa_system_sgpr_workgroup_id_y 0
		.amdhsa_system_sgpr_workgroup_id_z 0
		.amdhsa_system_sgpr_workgroup_info 0
		.amdhsa_system_vgpr_workitem_id 0
		.amdhsa_next_free_vgpr 1
		.amdhsa_next_free_sgpr 0
		.amdhsa_accum_offset 4
		.amdhsa_reserve_vcc 0
		.amdhsa_reserve_flat_scratch 0
		.amdhsa_float_round_mode_32 0
		.amdhsa_float_round_mode_16_64 0
		.amdhsa_float_denorm_mode_32 3
		.amdhsa_float_denorm_mode_16_64 3
		.amdhsa_dx10_clamp 1
		.amdhsa_ieee_mode 1
		.amdhsa_fp16_overflow 0
		.amdhsa_tg_split 0
		.amdhsa_exception_fp_ieee_invalid_op 0
		.amdhsa_exception_fp_denorm_src 0
		.amdhsa_exception_fp_ieee_div_zero 0
		.amdhsa_exception_fp_ieee_overflow 0
		.amdhsa_exception_fp_ieee_underflow 0
		.amdhsa_exception_fp_ieee_inexact 0
		.amdhsa_exception_int_div_zero 0
	.end_amdhsa_kernel
	.section	.text._ZN7rocprim17ROCPRIM_400000_NS6detail17trampoline_kernelINS0_14default_configENS1_38merge_sort_block_merge_config_selectorIjyEEZZNS1_27merge_sort_block_merge_implIS3_PjPyjNS1_19radix_merge_compareILb0ELb0EjNS0_19identity_decomposerEEEEE10hipError_tT0_T1_T2_jT3_P12ihipStream_tbPNSt15iterator_traitsISD_E10value_typeEPNSJ_ISE_E10value_typeEPSF_NS1_7vsmem_tEENKUlT_SD_SE_SF_E_clIS7_S7_S8_S8_EESC_SS_SD_SE_SF_EUlSS_E0_NS1_11comp_targetILNS1_3genE2ELNS1_11target_archE906ELNS1_3gpuE6ELNS1_3repE0EEENS1_38merge_mergepath_config_static_selectorELNS0_4arch9wavefront6targetE1EEEvSE_,"axG",@progbits,_ZN7rocprim17ROCPRIM_400000_NS6detail17trampoline_kernelINS0_14default_configENS1_38merge_sort_block_merge_config_selectorIjyEEZZNS1_27merge_sort_block_merge_implIS3_PjPyjNS1_19radix_merge_compareILb0ELb0EjNS0_19identity_decomposerEEEEE10hipError_tT0_T1_T2_jT3_P12ihipStream_tbPNSt15iterator_traitsISD_E10value_typeEPNSJ_ISE_E10value_typeEPSF_NS1_7vsmem_tEENKUlT_SD_SE_SF_E_clIS7_S7_S8_S8_EESC_SS_SD_SE_SF_EUlSS_E0_NS1_11comp_targetILNS1_3genE2ELNS1_11target_archE906ELNS1_3gpuE6ELNS1_3repE0EEENS1_38merge_mergepath_config_static_selectorELNS0_4arch9wavefront6targetE1EEEvSE_,comdat
.Lfunc_end475:
	.size	_ZN7rocprim17ROCPRIM_400000_NS6detail17trampoline_kernelINS0_14default_configENS1_38merge_sort_block_merge_config_selectorIjyEEZZNS1_27merge_sort_block_merge_implIS3_PjPyjNS1_19radix_merge_compareILb0ELb0EjNS0_19identity_decomposerEEEEE10hipError_tT0_T1_T2_jT3_P12ihipStream_tbPNSt15iterator_traitsISD_E10value_typeEPNSJ_ISE_E10value_typeEPSF_NS1_7vsmem_tEENKUlT_SD_SE_SF_E_clIS7_S7_S8_S8_EESC_SS_SD_SE_SF_EUlSS_E0_NS1_11comp_targetILNS1_3genE2ELNS1_11target_archE906ELNS1_3gpuE6ELNS1_3repE0EEENS1_38merge_mergepath_config_static_selectorELNS0_4arch9wavefront6targetE1EEEvSE_, .Lfunc_end475-_ZN7rocprim17ROCPRIM_400000_NS6detail17trampoline_kernelINS0_14default_configENS1_38merge_sort_block_merge_config_selectorIjyEEZZNS1_27merge_sort_block_merge_implIS3_PjPyjNS1_19radix_merge_compareILb0ELb0EjNS0_19identity_decomposerEEEEE10hipError_tT0_T1_T2_jT3_P12ihipStream_tbPNSt15iterator_traitsISD_E10value_typeEPNSJ_ISE_E10value_typeEPSF_NS1_7vsmem_tEENKUlT_SD_SE_SF_E_clIS7_S7_S8_S8_EESC_SS_SD_SE_SF_EUlSS_E0_NS1_11comp_targetILNS1_3genE2ELNS1_11target_archE906ELNS1_3gpuE6ELNS1_3repE0EEENS1_38merge_mergepath_config_static_selectorELNS0_4arch9wavefront6targetE1EEEvSE_
                                        ; -- End function
	.section	.AMDGPU.csdata,"",@progbits
; Kernel info:
; codeLenInByte = 0
; NumSgprs: 4
; NumVgprs: 0
; NumAgprs: 0
; TotalNumVgprs: 0
; ScratchSize: 0
; MemoryBound: 0
; FloatMode: 240
; IeeeMode: 1
; LDSByteSize: 0 bytes/workgroup (compile time only)
; SGPRBlocks: 0
; VGPRBlocks: 0
; NumSGPRsForWavesPerEU: 4
; NumVGPRsForWavesPerEU: 1
; AccumOffset: 4
; Occupancy: 8
; WaveLimiterHint : 0
; COMPUTE_PGM_RSRC2:SCRATCH_EN: 0
; COMPUTE_PGM_RSRC2:USER_SGPR: 6
; COMPUTE_PGM_RSRC2:TRAP_HANDLER: 0
; COMPUTE_PGM_RSRC2:TGID_X_EN: 1
; COMPUTE_PGM_RSRC2:TGID_Y_EN: 0
; COMPUTE_PGM_RSRC2:TGID_Z_EN: 0
; COMPUTE_PGM_RSRC2:TIDIG_COMP_CNT: 0
; COMPUTE_PGM_RSRC3_GFX90A:ACCUM_OFFSET: 0
; COMPUTE_PGM_RSRC3_GFX90A:TG_SPLIT: 0
	.section	.text._ZN7rocprim17ROCPRIM_400000_NS6detail17trampoline_kernelINS0_14default_configENS1_38merge_sort_block_merge_config_selectorIjyEEZZNS1_27merge_sort_block_merge_implIS3_PjPyjNS1_19radix_merge_compareILb0ELb0EjNS0_19identity_decomposerEEEEE10hipError_tT0_T1_T2_jT3_P12ihipStream_tbPNSt15iterator_traitsISD_E10value_typeEPNSJ_ISE_E10value_typeEPSF_NS1_7vsmem_tEENKUlT_SD_SE_SF_E_clIS7_S7_S8_S8_EESC_SS_SD_SE_SF_EUlSS_E0_NS1_11comp_targetILNS1_3genE9ELNS1_11target_archE1100ELNS1_3gpuE3ELNS1_3repE0EEENS1_38merge_mergepath_config_static_selectorELNS0_4arch9wavefront6targetE1EEEvSE_,"axG",@progbits,_ZN7rocprim17ROCPRIM_400000_NS6detail17trampoline_kernelINS0_14default_configENS1_38merge_sort_block_merge_config_selectorIjyEEZZNS1_27merge_sort_block_merge_implIS3_PjPyjNS1_19radix_merge_compareILb0ELb0EjNS0_19identity_decomposerEEEEE10hipError_tT0_T1_T2_jT3_P12ihipStream_tbPNSt15iterator_traitsISD_E10value_typeEPNSJ_ISE_E10value_typeEPSF_NS1_7vsmem_tEENKUlT_SD_SE_SF_E_clIS7_S7_S8_S8_EESC_SS_SD_SE_SF_EUlSS_E0_NS1_11comp_targetILNS1_3genE9ELNS1_11target_archE1100ELNS1_3gpuE3ELNS1_3repE0EEENS1_38merge_mergepath_config_static_selectorELNS0_4arch9wavefront6targetE1EEEvSE_,comdat
	.protected	_ZN7rocprim17ROCPRIM_400000_NS6detail17trampoline_kernelINS0_14default_configENS1_38merge_sort_block_merge_config_selectorIjyEEZZNS1_27merge_sort_block_merge_implIS3_PjPyjNS1_19radix_merge_compareILb0ELb0EjNS0_19identity_decomposerEEEEE10hipError_tT0_T1_T2_jT3_P12ihipStream_tbPNSt15iterator_traitsISD_E10value_typeEPNSJ_ISE_E10value_typeEPSF_NS1_7vsmem_tEENKUlT_SD_SE_SF_E_clIS7_S7_S8_S8_EESC_SS_SD_SE_SF_EUlSS_E0_NS1_11comp_targetILNS1_3genE9ELNS1_11target_archE1100ELNS1_3gpuE3ELNS1_3repE0EEENS1_38merge_mergepath_config_static_selectorELNS0_4arch9wavefront6targetE1EEEvSE_ ; -- Begin function _ZN7rocprim17ROCPRIM_400000_NS6detail17trampoline_kernelINS0_14default_configENS1_38merge_sort_block_merge_config_selectorIjyEEZZNS1_27merge_sort_block_merge_implIS3_PjPyjNS1_19radix_merge_compareILb0ELb0EjNS0_19identity_decomposerEEEEE10hipError_tT0_T1_T2_jT3_P12ihipStream_tbPNSt15iterator_traitsISD_E10value_typeEPNSJ_ISE_E10value_typeEPSF_NS1_7vsmem_tEENKUlT_SD_SE_SF_E_clIS7_S7_S8_S8_EESC_SS_SD_SE_SF_EUlSS_E0_NS1_11comp_targetILNS1_3genE9ELNS1_11target_archE1100ELNS1_3gpuE3ELNS1_3repE0EEENS1_38merge_mergepath_config_static_selectorELNS0_4arch9wavefront6targetE1EEEvSE_
	.globl	_ZN7rocprim17ROCPRIM_400000_NS6detail17trampoline_kernelINS0_14default_configENS1_38merge_sort_block_merge_config_selectorIjyEEZZNS1_27merge_sort_block_merge_implIS3_PjPyjNS1_19radix_merge_compareILb0ELb0EjNS0_19identity_decomposerEEEEE10hipError_tT0_T1_T2_jT3_P12ihipStream_tbPNSt15iterator_traitsISD_E10value_typeEPNSJ_ISE_E10value_typeEPSF_NS1_7vsmem_tEENKUlT_SD_SE_SF_E_clIS7_S7_S8_S8_EESC_SS_SD_SE_SF_EUlSS_E0_NS1_11comp_targetILNS1_3genE9ELNS1_11target_archE1100ELNS1_3gpuE3ELNS1_3repE0EEENS1_38merge_mergepath_config_static_selectorELNS0_4arch9wavefront6targetE1EEEvSE_
	.p2align	8
	.type	_ZN7rocprim17ROCPRIM_400000_NS6detail17trampoline_kernelINS0_14default_configENS1_38merge_sort_block_merge_config_selectorIjyEEZZNS1_27merge_sort_block_merge_implIS3_PjPyjNS1_19radix_merge_compareILb0ELb0EjNS0_19identity_decomposerEEEEE10hipError_tT0_T1_T2_jT3_P12ihipStream_tbPNSt15iterator_traitsISD_E10value_typeEPNSJ_ISE_E10value_typeEPSF_NS1_7vsmem_tEENKUlT_SD_SE_SF_E_clIS7_S7_S8_S8_EESC_SS_SD_SE_SF_EUlSS_E0_NS1_11comp_targetILNS1_3genE9ELNS1_11target_archE1100ELNS1_3gpuE3ELNS1_3repE0EEENS1_38merge_mergepath_config_static_selectorELNS0_4arch9wavefront6targetE1EEEvSE_,@function
_ZN7rocprim17ROCPRIM_400000_NS6detail17trampoline_kernelINS0_14default_configENS1_38merge_sort_block_merge_config_selectorIjyEEZZNS1_27merge_sort_block_merge_implIS3_PjPyjNS1_19radix_merge_compareILb0ELb0EjNS0_19identity_decomposerEEEEE10hipError_tT0_T1_T2_jT3_P12ihipStream_tbPNSt15iterator_traitsISD_E10value_typeEPNSJ_ISE_E10value_typeEPSF_NS1_7vsmem_tEENKUlT_SD_SE_SF_E_clIS7_S7_S8_S8_EESC_SS_SD_SE_SF_EUlSS_E0_NS1_11comp_targetILNS1_3genE9ELNS1_11target_archE1100ELNS1_3gpuE3ELNS1_3repE0EEENS1_38merge_mergepath_config_static_selectorELNS0_4arch9wavefront6targetE1EEEvSE_: ; @_ZN7rocprim17ROCPRIM_400000_NS6detail17trampoline_kernelINS0_14default_configENS1_38merge_sort_block_merge_config_selectorIjyEEZZNS1_27merge_sort_block_merge_implIS3_PjPyjNS1_19radix_merge_compareILb0ELb0EjNS0_19identity_decomposerEEEEE10hipError_tT0_T1_T2_jT3_P12ihipStream_tbPNSt15iterator_traitsISD_E10value_typeEPNSJ_ISE_E10value_typeEPSF_NS1_7vsmem_tEENKUlT_SD_SE_SF_E_clIS7_S7_S8_S8_EESC_SS_SD_SE_SF_EUlSS_E0_NS1_11comp_targetILNS1_3genE9ELNS1_11target_archE1100ELNS1_3gpuE3ELNS1_3repE0EEENS1_38merge_mergepath_config_static_selectorELNS0_4arch9wavefront6targetE1EEEvSE_
; %bb.0:
	.section	.rodata,"a",@progbits
	.p2align	6, 0x0
	.amdhsa_kernel _ZN7rocprim17ROCPRIM_400000_NS6detail17trampoline_kernelINS0_14default_configENS1_38merge_sort_block_merge_config_selectorIjyEEZZNS1_27merge_sort_block_merge_implIS3_PjPyjNS1_19radix_merge_compareILb0ELb0EjNS0_19identity_decomposerEEEEE10hipError_tT0_T1_T2_jT3_P12ihipStream_tbPNSt15iterator_traitsISD_E10value_typeEPNSJ_ISE_E10value_typeEPSF_NS1_7vsmem_tEENKUlT_SD_SE_SF_E_clIS7_S7_S8_S8_EESC_SS_SD_SE_SF_EUlSS_E0_NS1_11comp_targetILNS1_3genE9ELNS1_11target_archE1100ELNS1_3gpuE3ELNS1_3repE0EEENS1_38merge_mergepath_config_static_selectorELNS0_4arch9wavefront6targetE1EEEvSE_
		.amdhsa_group_segment_fixed_size 0
		.amdhsa_private_segment_fixed_size 0
		.amdhsa_kernarg_size 64
		.amdhsa_user_sgpr_count 6
		.amdhsa_user_sgpr_private_segment_buffer 1
		.amdhsa_user_sgpr_dispatch_ptr 0
		.amdhsa_user_sgpr_queue_ptr 0
		.amdhsa_user_sgpr_kernarg_segment_ptr 1
		.amdhsa_user_sgpr_dispatch_id 0
		.amdhsa_user_sgpr_flat_scratch_init 0
		.amdhsa_user_sgpr_kernarg_preload_length 0
		.amdhsa_user_sgpr_kernarg_preload_offset 0
		.amdhsa_user_sgpr_private_segment_size 0
		.amdhsa_uses_dynamic_stack 0
		.amdhsa_system_sgpr_private_segment_wavefront_offset 0
		.amdhsa_system_sgpr_workgroup_id_x 1
		.amdhsa_system_sgpr_workgroup_id_y 0
		.amdhsa_system_sgpr_workgroup_id_z 0
		.amdhsa_system_sgpr_workgroup_info 0
		.amdhsa_system_vgpr_workitem_id 0
		.amdhsa_next_free_vgpr 1
		.amdhsa_next_free_sgpr 0
		.amdhsa_accum_offset 4
		.amdhsa_reserve_vcc 0
		.amdhsa_reserve_flat_scratch 0
		.amdhsa_float_round_mode_32 0
		.amdhsa_float_round_mode_16_64 0
		.amdhsa_float_denorm_mode_32 3
		.amdhsa_float_denorm_mode_16_64 3
		.amdhsa_dx10_clamp 1
		.amdhsa_ieee_mode 1
		.amdhsa_fp16_overflow 0
		.amdhsa_tg_split 0
		.amdhsa_exception_fp_ieee_invalid_op 0
		.amdhsa_exception_fp_denorm_src 0
		.amdhsa_exception_fp_ieee_div_zero 0
		.amdhsa_exception_fp_ieee_overflow 0
		.amdhsa_exception_fp_ieee_underflow 0
		.amdhsa_exception_fp_ieee_inexact 0
		.amdhsa_exception_int_div_zero 0
	.end_amdhsa_kernel
	.section	.text._ZN7rocprim17ROCPRIM_400000_NS6detail17trampoline_kernelINS0_14default_configENS1_38merge_sort_block_merge_config_selectorIjyEEZZNS1_27merge_sort_block_merge_implIS3_PjPyjNS1_19radix_merge_compareILb0ELb0EjNS0_19identity_decomposerEEEEE10hipError_tT0_T1_T2_jT3_P12ihipStream_tbPNSt15iterator_traitsISD_E10value_typeEPNSJ_ISE_E10value_typeEPSF_NS1_7vsmem_tEENKUlT_SD_SE_SF_E_clIS7_S7_S8_S8_EESC_SS_SD_SE_SF_EUlSS_E0_NS1_11comp_targetILNS1_3genE9ELNS1_11target_archE1100ELNS1_3gpuE3ELNS1_3repE0EEENS1_38merge_mergepath_config_static_selectorELNS0_4arch9wavefront6targetE1EEEvSE_,"axG",@progbits,_ZN7rocprim17ROCPRIM_400000_NS6detail17trampoline_kernelINS0_14default_configENS1_38merge_sort_block_merge_config_selectorIjyEEZZNS1_27merge_sort_block_merge_implIS3_PjPyjNS1_19radix_merge_compareILb0ELb0EjNS0_19identity_decomposerEEEEE10hipError_tT0_T1_T2_jT3_P12ihipStream_tbPNSt15iterator_traitsISD_E10value_typeEPNSJ_ISE_E10value_typeEPSF_NS1_7vsmem_tEENKUlT_SD_SE_SF_E_clIS7_S7_S8_S8_EESC_SS_SD_SE_SF_EUlSS_E0_NS1_11comp_targetILNS1_3genE9ELNS1_11target_archE1100ELNS1_3gpuE3ELNS1_3repE0EEENS1_38merge_mergepath_config_static_selectorELNS0_4arch9wavefront6targetE1EEEvSE_,comdat
.Lfunc_end476:
	.size	_ZN7rocprim17ROCPRIM_400000_NS6detail17trampoline_kernelINS0_14default_configENS1_38merge_sort_block_merge_config_selectorIjyEEZZNS1_27merge_sort_block_merge_implIS3_PjPyjNS1_19radix_merge_compareILb0ELb0EjNS0_19identity_decomposerEEEEE10hipError_tT0_T1_T2_jT3_P12ihipStream_tbPNSt15iterator_traitsISD_E10value_typeEPNSJ_ISE_E10value_typeEPSF_NS1_7vsmem_tEENKUlT_SD_SE_SF_E_clIS7_S7_S8_S8_EESC_SS_SD_SE_SF_EUlSS_E0_NS1_11comp_targetILNS1_3genE9ELNS1_11target_archE1100ELNS1_3gpuE3ELNS1_3repE0EEENS1_38merge_mergepath_config_static_selectorELNS0_4arch9wavefront6targetE1EEEvSE_, .Lfunc_end476-_ZN7rocprim17ROCPRIM_400000_NS6detail17trampoline_kernelINS0_14default_configENS1_38merge_sort_block_merge_config_selectorIjyEEZZNS1_27merge_sort_block_merge_implIS3_PjPyjNS1_19radix_merge_compareILb0ELb0EjNS0_19identity_decomposerEEEEE10hipError_tT0_T1_T2_jT3_P12ihipStream_tbPNSt15iterator_traitsISD_E10value_typeEPNSJ_ISE_E10value_typeEPSF_NS1_7vsmem_tEENKUlT_SD_SE_SF_E_clIS7_S7_S8_S8_EESC_SS_SD_SE_SF_EUlSS_E0_NS1_11comp_targetILNS1_3genE9ELNS1_11target_archE1100ELNS1_3gpuE3ELNS1_3repE0EEENS1_38merge_mergepath_config_static_selectorELNS0_4arch9wavefront6targetE1EEEvSE_
                                        ; -- End function
	.section	.AMDGPU.csdata,"",@progbits
; Kernel info:
; codeLenInByte = 0
; NumSgprs: 4
; NumVgprs: 0
; NumAgprs: 0
; TotalNumVgprs: 0
; ScratchSize: 0
; MemoryBound: 0
; FloatMode: 240
; IeeeMode: 1
; LDSByteSize: 0 bytes/workgroup (compile time only)
; SGPRBlocks: 0
; VGPRBlocks: 0
; NumSGPRsForWavesPerEU: 4
; NumVGPRsForWavesPerEU: 1
; AccumOffset: 4
; Occupancy: 8
; WaveLimiterHint : 0
; COMPUTE_PGM_RSRC2:SCRATCH_EN: 0
; COMPUTE_PGM_RSRC2:USER_SGPR: 6
; COMPUTE_PGM_RSRC2:TRAP_HANDLER: 0
; COMPUTE_PGM_RSRC2:TGID_X_EN: 1
; COMPUTE_PGM_RSRC2:TGID_Y_EN: 0
; COMPUTE_PGM_RSRC2:TGID_Z_EN: 0
; COMPUTE_PGM_RSRC2:TIDIG_COMP_CNT: 0
; COMPUTE_PGM_RSRC3_GFX90A:ACCUM_OFFSET: 0
; COMPUTE_PGM_RSRC3_GFX90A:TG_SPLIT: 0
	.section	.text._ZN7rocprim17ROCPRIM_400000_NS6detail17trampoline_kernelINS0_14default_configENS1_38merge_sort_block_merge_config_selectorIjyEEZZNS1_27merge_sort_block_merge_implIS3_PjPyjNS1_19radix_merge_compareILb0ELb0EjNS0_19identity_decomposerEEEEE10hipError_tT0_T1_T2_jT3_P12ihipStream_tbPNSt15iterator_traitsISD_E10value_typeEPNSJ_ISE_E10value_typeEPSF_NS1_7vsmem_tEENKUlT_SD_SE_SF_E_clIS7_S7_S8_S8_EESC_SS_SD_SE_SF_EUlSS_E0_NS1_11comp_targetILNS1_3genE8ELNS1_11target_archE1030ELNS1_3gpuE2ELNS1_3repE0EEENS1_38merge_mergepath_config_static_selectorELNS0_4arch9wavefront6targetE1EEEvSE_,"axG",@progbits,_ZN7rocprim17ROCPRIM_400000_NS6detail17trampoline_kernelINS0_14default_configENS1_38merge_sort_block_merge_config_selectorIjyEEZZNS1_27merge_sort_block_merge_implIS3_PjPyjNS1_19radix_merge_compareILb0ELb0EjNS0_19identity_decomposerEEEEE10hipError_tT0_T1_T2_jT3_P12ihipStream_tbPNSt15iterator_traitsISD_E10value_typeEPNSJ_ISE_E10value_typeEPSF_NS1_7vsmem_tEENKUlT_SD_SE_SF_E_clIS7_S7_S8_S8_EESC_SS_SD_SE_SF_EUlSS_E0_NS1_11comp_targetILNS1_3genE8ELNS1_11target_archE1030ELNS1_3gpuE2ELNS1_3repE0EEENS1_38merge_mergepath_config_static_selectorELNS0_4arch9wavefront6targetE1EEEvSE_,comdat
	.protected	_ZN7rocprim17ROCPRIM_400000_NS6detail17trampoline_kernelINS0_14default_configENS1_38merge_sort_block_merge_config_selectorIjyEEZZNS1_27merge_sort_block_merge_implIS3_PjPyjNS1_19radix_merge_compareILb0ELb0EjNS0_19identity_decomposerEEEEE10hipError_tT0_T1_T2_jT3_P12ihipStream_tbPNSt15iterator_traitsISD_E10value_typeEPNSJ_ISE_E10value_typeEPSF_NS1_7vsmem_tEENKUlT_SD_SE_SF_E_clIS7_S7_S8_S8_EESC_SS_SD_SE_SF_EUlSS_E0_NS1_11comp_targetILNS1_3genE8ELNS1_11target_archE1030ELNS1_3gpuE2ELNS1_3repE0EEENS1_38merge_mergepath_config_static_selectorELNS0_4arch9wavefront6targetE1EEEvSE_ ; -- Begin function _ZN7rocprim17ROCPRIM_400000_NS6detail17trampoline_kernelINS0_14default_configENS1_38merge_sort_block_merge_config_selectorIjyEEZZNS1_27merge_sort_block_merge_implIS3_PjPyjNS1_19radix_merge_compareILb0ELb0EjNS0_19identity_decomposerEEEEE10hipError_tT0_T1_T2_jT3_P12ihipStream_tbPNSt15iterator_traitsISD_E10value_typeEPNSJ_ISE_E10value_typeEPSF_NS1_7vsmem_tEENKUlT_SD_SE_SF_E_clIS7_S7_S8_S8_EESC_SS_SD_SE_SF_EUlSS_E0_NS1_11comp_targetILNS1_3genE8ELNS1_11target_archE1030ELNS1_3gpuE2ELNS1_3repE0EEENS1_38merge_mergepath_config_static_selectorELNS0_4arch9wavefront6targetE1EEEvSE_
	.globl	_ZN7rocprim17ROCPRIM_400000_NS6detail17trampoline_kernelINS0_14default_configENS1_38merge_sort_block_merge_config_selectorIjyEEZZNS1_27merge_sort_block_merge_implIS3_PjPyjNS1_19radix_merge_compareILb0ELb0EjNS0_19identity_decomposerEEEEE10hipError_tT0_T1_T2_jT3_P12ihipStream_tbPNSt15iterator_traitsISD_E10value_typeEPNSJ_ISE_E10value_typeEPSF_NS1_7vsmem_tEENKUlT_SD_SE_SF_E_clIS7_S7_S8_S8_EESC_SS_SD_SE_SF_EUlSS_E0_NS1_11comp_targetILNS1_3genE8ELNS1_11target_archE1030ELNS1_3gpuE2ELNS1_3repE0EEENS1_38merge_mergepath_config_static_selectorELNS0_4arch9wavefront6targetE1EEEvSE_
	.p2align	8
	.type	_ZN7rocprim17ROCPRIM_400000_NS6detail17trampoline_kernelINS0_14default_configENS1_38merge_sort_block_merge_config_selectorIjyEEZZNS1_27merge_sort_block_merge_implIS3_PjPyjNS1_19radix_merge_compareILb0ELb0EjNS0_19identity_decomposerEEEEE10hipError_tT0_T1_T2_jT3_P12ihipStream_tbPNSt15iterator_traitsISD_E10value_typeEPNSJ_ISE_E10value_typeEPSF_NS1_7vsmem_tEENKUlT_SD_SE_SF_E_clIS7_S7_S8_S8_EESC_SS_SD_SE_SF_EUlSS_E0_NS1_11comp_targetILNS1_3genE8ELNS1_11target_archE1030ELNS1_3gpuE2ELNS1_3repE0EEENS1_38merge_mergepath_config_static_selectorELNS0_4arch9wavefront6targetE1EEEvSE_,@function
_ZN7rocprim17ROCPRIM_400000_NS6detail17trampoline_kernelINS0_14default_configENS1_38merge_sort_block_merge_config_selectorIjyEEZZNS1_27merge_sort_block_merge_implIS3_PjPyjNS1_19radix_merge_compareILb0ELb0EjNS0_19identity_decomposerEEEEE10hipError_tT0_T1_T2_jT3_P12ihipStream_tbPNSt15iterator_traitsISD_E10value_typeEPNSJ_ISE_E10value_typeEPSF_NS1_7vsmem_tEENKUlT_SD_SE_SF_E_clIS7_S7_S8_S8_EESC_SS_SD_SE_SF_EUlSS_E0_NS1_11comp_targetILNS1_3genE8ELNS1_11target_archE1030ELNS1_3gpuE2ELNS1_3repE0EEENS1_38merge_mergepath_config_static_selectorELNS0_4arch9wavefront6targetE1EEEvSE_: ; @_ZN7rocprim17ROCPRIM_400000_NS6detail17trampoline_kernelINS0_14default_configENS1_38merge_sort_block_merge_config_selectorIjyEEZZNS1_27merge_sort_block_merge_implIS3_PjPyjNS1_19radix_merge_compareILb0ELb0EjNS0_19identity_decomposerEEEEE10hipError_tT0_T1_T2_jT3_P12ihipStream_tbPNSt15iterator_traitsISD_E10value_typeEPNSJ_ISE_E10value_typeEPSF_NS1_7vsmem_tEENKUlT_SD_SE_SF_E_clIS7_S7_S8_S8_EESC_SS_SD_SE_SF_EUlSS_E0_NS1_11comp_targetILNS1_3genE8ELNS1_11target_archE1030ELNS1_3gpuE2ELNS1_3repE0EEENS1_38merge_mergepath_config_static_selectorELNS0_4arch9wavefront6targetE1EEEvSE_
; %bb.0:
	.section	.rodata,"a",@progbits
	.p2align	6, 0x0
	.amdhsa_kernel _ZN7rocprim17ROCPRIM_400000_NS6detail17trampoline_kernelINS0_14default_configENS1_38merge_sort_block_merge_config_selectorIjyEEZZNS1_27merge_sort_block_merge_implIS3_PjPyjNS1_19radix_merge_compareILb0ELb0EjNS0_19identity_decomposerEEEEE10hipError_tT0_T1_T2_jT3_P12ihipStream_tbPNSt15iterator_traitsISD_E10value_typeEPNSJ_ISE_E10value_typeEPSF_NS1_7vsmem_tEENKUlT_SD_SE_SF_E_clIS7_S7_S8_S8_EESC_SS_SD_SE_SF_EUlSS_E0_NS1_11comp_targetILNS1_3genE8ELNS1_11target_archE1030ELNS1_3gpuE2ELNS1_3repE0EEENS1_38merge_mergepath_config_static_selectorELNS0_4arch9wavefront6targetE1EEEvSE_
		.amdhsa_group_segment_fixed_size 0
		.amdhsa_private_segment_fixed_size 0
		.amdhsa_kernarg_size 64
		.amdhsa_user_sgpr_count 6
		.amdhsa_user_sgpr_private_segment_buffer 1
		.amdhsa_user_sgpr_dispatch_ptr 0
		.amdhsa_user_sgpr_queue_ptr 0
		.amdhsa_user_sgpr_kernarg_segment_ptr 1
		.amdhsa_user_sgpr_dispatch_id 0
		.amdhsa_user_sgpr_flat_scratch_init 0
		.amdhsa_user_sgpr_kernarg_preload_length 0
		.amdhsa_user_sgpr_kernarg_preload_offset 0
		.amdhsa_user_sgpr_private_segment_size 0
		.amdhsa_uses_dynamic_stack 0
		.amdhsa_system_sgpr_private_segment_wavefront_offset 0
		.amdhsa_system_sgpr_workgroup_id_x 1
		.amdhsa_system_sgpr_workgroup_id_y 0
		.amdhsa_system_sgpr_workgroup_id_z 0
		.amdhsa_system_sgpr_workgroup_info 0
		.amdhsa_system_vgpr_workitem_id 0
		.amdhsa_next_free_vgpr 1
		.amdhsa_next_free_sgpr 0
		.amdhsa_accum_offset 4
		.amdhsa_reserve_vcc 0
		.amdhsa_reserve_flat_scratch 0
		.amdhsa_float_round_mode_32 0
		.amdhsa_float_round_mode_16_64 0
		.amdhsa_float_denorm_mode_32 3
		.amdhsa_float_denorm_mode_16_64 3
		.amdhsa_dx10_clamp 1
		.amdhsa_ieee_mode 1
		.amdhsa_fp16_overflow 0
		.amdhsa_tg_split 0
		.amdhsa_exception_fp_ieee_invalid_op 0
		.amdhsa_exception_fp_denorm_src 0
		.amdhsa_exception_fp_ieee_div_zero 0
		.amdhsa_exception_fp_ieee_overflow 0
		.amdhsa_exception_fp_ieee_underflow 0
		.amdhsa_exception_fp_ieee_inexact 0
		.amdhsa_exception_int_div_zero 0
	.end_amdhsa_kernel
	.section	.text._ZN7rocprim17ROCPRIM_400000_NS6detail17trampoline_kernelINS0_14default_configENS1_38merge_sort_block_merge_config_selectorIjyEEZZNS1_27merge_sort_block_merge_implIS3_PjPyjNS1_19radix_merge_compareILb0ELb0EjNS0_19identity_decomposerEEEEE10hipError_tT0_T1_T2_jT3_P12ihipStream_tbPNSt15iterator_traitsISD_E10value_typeEPNSJ_ISE_E10value_typeEPSF_NS1_7vsmem_tEENKUlT_SD_SE_SF_E_clIS7_S7_S8_S8_EESC_SS_SD_SE_SF_EUlSS_E0_NS1_11comp_targetILNS1_3genE8ELNS1_11target_archE1030ELNS1_3gpuE2ELNS1_3repE0EEENS1_38merge_mergepath_config_static_selectorELNS0_4arch9wavefront6targetE1EEEvSE_,"axG",@progbits,_ZN7rocprim17ROCPRIM_400000_NS6detail17trampoline_kernelINS0_14default_configENS1_38merge_sort_block_merge_config_selectorIjyEEZZNS1_27merge_sort_block_merge_implIS3_PjPyjNS1_19radix_merge_compareILb0ELb0EjNS0_19identity_decomposerEEEEE10hipError_tT0_T1_T2_jT3_P12ihipStream_tbPNSt15iterator_traitsISD_E10value_typeEPNSJ_ISE_E10value_typeEPSF_NS1_7vsmem_tEENKUlT_SD_SE_SF_E_clIS7_S7_S8_S8_EESC_SS_SD_SE_SF_EUlSS_E0_NS1_11comp_targetILNS1_3genE8ELNS1_11target_archE1030ELNS1_3gpuE2ELNS1_3repE0EEENS1_38merge_mergepath_config_static_selectorELNS0_4arch9wavefront6targetE1EEEvSE_,comdat
.Lfunc_end477:
	.size	_ZN7rocprim17ROCPRIM_400000_NS6detail17trampoline_kernelINS0_14default_configENS1_38merge_sort_block_merge_config_selectorIjyEEZZNS1_27merge_sort_block_merge_implIS3_PjPyjNS1_19radix_merge_compareILb0ELb0EjNS0_19identity_decomposerEEEEE10hipError_tT0_T1_T2_jT3_P12ihipStream_tbPNSt15iterator_traitsISD_E10value_typeEPNSJ_ISE_E10value_typeEPSF_NS1_7vsmem_tEENKUlT_SD_SE_SF_E_clIS7_S7_S8_S8_EESC_SS_SD_SE_SF_EUlSS_E0_NS1_11comp_targetILNS1_3genE8ELNS1_11target_archE1030ELNS1_3gpuE2ELNS1_3repE0EEENS1_38merge_mergepath_config_static_selectorELNS0_4arch9wavefront6targetE1EEEvSE_, .Lfunc_end477-_ZN7rocprim17ROCPRIM_400000_NS6detail17trampoline_kernelINS0_14default_configENS1_38merge_sort_block_merge_config_selectorIjyEEZZNS1_27merge_sort_block_merge_implIS3_PjPyjNS1_19radix_merge_compareILb0ELb0EjNS0_19identity_decomposerEEEEE10hipError_tT0_T1_T2_jT3_P12ihipStream_tbPNSt15iterator_traitsISD_E10value_typeEPNSJ_ISE_E10value_typeEPSF_NS1_7vsmem_tEENKUlT_SD_SE_SF_E_clIS7_S7_S8_S8_EESC_SS_SD_SE_SF_EUlSS_E0_NS1_11comp_targetILNS1_3genE8ELNS1_11target_archE1030ELNS1_3gpuE2ELNS1_3repE0EEENS1_38merge_mergepath_config_static_selectorELNS0_4arch9wavefront6targetE1EEEvSE_
                                        ; -- End function
	.section	.AMDGPU.csdata,"",@progbits
; Kernel info:
; codeLenInByte = 0
; NumSgprs: 4
; NumVgprs: 0
; NumAgprs: 0
; TotalNumVgprs: 0
; ScratchSize: 0
; MemoryBound: 0
; FloatMode: 240
; IeeeMode: 1
; LDSByteSize: 0 bytes/workgroup (compile time only)
; SGPRBlocks: 0
; VGPRBlocks: 0
; NumSGPRsForWavesPerEU: 4
; NumVGPRsForWavesPerEU: 1
; AccumOffset: 4
; Occupancy: 8
; WaveLimiterHint : 0
; COMPUTE_PGM_RSRC2:SCRATCH_EN: 0
; COMPUTE_PGM_RSRC2:USER_SGPR: 6
; COMPUTE_PGM_RSRC2:TRAP_HANDLER: 0
; COMPUTE_PGM_RSRC2:TGID_X_EN: 1
; COMPUTE_PGM_RSRC2:TGID_Y_EN: 0
; COMPUTE_PGM_RSRC2:TGID_Z_EN: 0
; COMPUTE_PGM_RSRC2:TIDIG_COMP_CNT: 0
; COMPUTE_PGM_RSRC3_GFX90A:ACCUM_OFFSET: 0
; COMPUTE_PGM_RSRC3_GFX90A:TG_SPLIT: 0
	.section	.text._ZN7rocprim17ROCPRIM_400000_NS6detail17trampoline_kernelINS0_14default_configENS1_38merge_sort_block_merge_config_selectorIjyEEZZNS1_27merge_sort_block_merge_implIS3_PjPyjNS1_19radix_merge_compareILb0ELb0EjNS0_19identity_decomposerEEEEE10hipError_tT0_T1_T2_jT3_P12ihipStream_tbPNSt15iterator_traitsISD_E10value_typeEPNSJ_ISE_E10value_typeEPSF_NS1_7vsmem_tEENKUlT_SD_SE_SF_E_clIS7_S7_S8_S8_EESC_SS_SD_SE_SF_EUlSS_E1_NS1_11comp_targetILNS1_3genE0ELNS1_11target_archE4294967295ELNS1_3gpuE0ELNS1_3repE0EEENS1_36merge_oddeven_config_static_selectorELNS0_4arch9wavefront6targetE1EEEvSE_,"axG",@progbits,_ZN7rocprim17ROCPRIM_400000_NS6detail17trampoline_kernelINS0_14default_configENS1_38merge_sort_block_merge_config_selectorIjyEEZZNS1_27merge_sort_block_merge_implIS3_PjPyjNS1_19radix_merge_compareILb0ELb0EjNS0_19identity_decomposerEEEEE10hipError_tT0_T1_T2_jT3_P12ihipStream_tbPNSt15iterator_traitsISD_E10value_typeEPNSJ_ISE_E10value_typeEPSF_NS1_7vsmem_tEENKUlT_SD_SE_SF_E_clIS7_S7_S8_S8_EESC_SS_SD_SE_SF_EUlSS_E1_NS1_11comp_targetILNS1_3genE0ELNS1_11target_archE4294967295ELNS1_3gpuE0ELNS1_3repE0EEENS1_36merge_oddeven_config_static_selectorELNS0_4arch9wavefront6targetE1EEEvSE_,comdat
	.protected	_ZN7rocprim17ROCPRIM_400000_NS6detail17trampoline_kernelINS0_14default_configENS1_38merge_sort_block_merge_config_selectorIjyEEZZNS1_27merge_sort_block_merge_implIS3_PjPyjNS1_19radix_merge_compareILb0ELb0EjNS0_19identity_decomposerEEEEE10hipError_tT0_T1_T2_jT3_P12ihipStream_tbPNSt15iterator_traitsISD_E10value_typeEPNSJ_ISE_E10value_typeEPSF_NS1_7vsmem_tEENKUlT_SD_SE_SF_E_clIS7_S7_S8_S8_EESC_SS_SD_SE_SF_EUlSS_E1_NS1_11comp_targetILNS1_3genE0ELNS1_11target_archE4294967295ELNS1_3gpuE0ELNS1_3repE0EEENS1_36merge_oddeven_config_static_selectorELNS0_4arch9wavefront6targetE1EEEvSE_ ; -- Begin function _ZN7rocprim17ROCPRIM_400000_NS6detail17trampoline_kernelINS0_14default_configENS1_38merge_sort_block_merge_config_selectorIjyEEZZNS1_27merge_sort_block_merge_implIS3_PjPyjNS1_19radix_merge_compareILb0ELb0EjNS0_19identity_decomposerEEEEE10hipError_tT0_T1_T2_jT3_P12ihipStream_tbPNSt15iterator_traitsISD_E10value_typeEPNSJ_ISE_E10value_typeEPSF_NS1_7vsmem_tEENKUlT_SD_SE_SF_E_clIS7_S7_S8_S8_EESC_SS_SD_SE_SF_EUlSS_E1_NS1_11comp_targetILNS1_3genE0ELNS1_11target_archE4294967295ELNS1_3gpuE0ELNS1_3repE0EEENS1_36merge_oddeven_config_static_selectorELNS0_4arch9wavefront6targetE1EEEvSE_
	.globl	_ZN7rocprim17ROCPRIM_400000_NS6detail17trampoline_kernelINS0_14default_configENS1_38merge_sort_block_merge_config_selectorIjyEEZZNS1_27merge_sort_block_merge_implIS3_PjPyjNS1_19radix_merge_compareILb0ELb0EjNS0_19identity_decomposerEEEEE10hipError_tT0_T1_T2_jT3_P12ihipStream_tbPNSt15iterator_traitsISD_E10value_typeEPNSJ_ISE_E10value_typeEPSF_NS1_7vsmem_tEENKUlT_SD_SE_SF_E_clIS7_S7_S8_S8_EESC_SS_SD_SE_SF_EUlSS_E1_NS1_11comp_targetILNS1_3genE0ELNS1_11target_archE4294967295ELNS1_3gpuE0ELNS1_3repE0EEENS1_36merge_oddeven_config_static_selectorELNS0_4arch9wavefront6targetE1EEEvSE_
	.p2align	8
	.type	_ZN7rocprim17ROCPRIM_400000_NS6detail17trampoline_kernelINS0_14default_configENS1_38merge_sort_block_merge_config_selectorIjyEEZZNS1_27merge_sort_block_merge_implIS3_PjPyjNS1_19radix_merge_compareILb0ELb0EjNS0_19identity_decomposerEEEEE10hipError_tT0_T1_T2_jT3_P12ihipStream_tbPNSt15iterator_traitsISD_E10value_typeEPNSJ_ISE_E10value_typeEPSF_NS1_7vsmem_tEENKUlT_SD_SE_SF_E_clIS7_S7_S8_S8_EESC_SS_SD_SE_SF_EUlSS_E1_NS1_11comp_targetILNS1_3genE0ELNS1_11target_archE4294967295ELNS1_3gpuE0ELNS1_3repE0EEENS1_36merge_oddeven_config_static_selectorELNS0_4arch9wavefront6targetE1EEEvSE_,@function
_ZN7rocprim17ROCPRIM_400000_NS6detail17trampoline_kernelINS0_14default_configENS1_38merge_sort_block_merge_config_selectorIjyEEZZNS1_27merge_sort_block_merge_implIS3_PjPyjNS1_19radix_merge_compareILb0ELb0EjNS0_19identity_decomposerEEEEE10hipError_tT0_T1_T2_jT3_P12ihipStream_tbPNSt15iterator_traitsISD_E10value_typeEPNSJ_ISE_E10value_typeEPSF_NS1_7vsmem_tEENKUlT_SD_SE_SF_E_clIS7_S7_S8_S8_EESC_SS_SD_SE_SF_EUlSS_E1_NS1_11comp_targetILNS1_3genE0ELNS1_11target_archE4294967295ELNS1_3gpuE0ELNS1_3repE0EEENS1_36merge_oddeven_config_static_selectorELNS0_4arch9wavefront6targetE1EEEvSE_: ; @_ZN7rocprim17ROCPRIM_400000_NS6detail17trampoline_kernelINS0_14default_configENS1_38merge_sort_block_merge_config_selectorIjyEEZZNS1_27merge_sort_block_merge_implIS3_PjPyjNS1_19radix_merge_compareILb0ELb0EjNS0_19identity_decomposerEEEEE10hipError_tT0_T1_T2_jT3_P12ihipStream_tbPNSt15iterator_traitsISD_E10value_typeEPNSJ_ISE_E10value_typeEPSF_NS1_7vsmem_tEENKUlT_SD_SE_SF_E_clIS7_S7_S8_S8_EESC_SS_SD_SE_SF_EUlSS_E1_NS1_11comp_targetILNS1_3genE0ELNS1_11target_archE4294967295ELNS1_3gpuE0ELNS1_3repE0EEENS1_36merge_oddeven_config_static_selectorELNS0_4arch9wavefront6targetE1EEEvSE_
; %bb.0:
	.section	.rodata,"a",@progbits
	.p2align	6, 0x0
	.amdhsa_kernel _ZN7rocprim17ROCPRIM_400000_NS6detail17trampoline_kernelINS0_14default_configENS1_38merge_sort_block_merge_config_selectorIjyEEZZNS1_27merge_sort_block_merge_implIS3_PjPyjNS1_19radix_merge_compareILb0ELb0EjNS0_19identity_decomposerEEEEE10hipError_tT0_T1_T2_jT3_P12ihipStream_tbPNSt15iterator_traitsISD_E10value_typeEPNSJ_ISE_E10value_typeEPSF_NS1_7vsmem_tEENKUlT_SD_SE_SF_E_clIS7_S7_S8_S8_EESC_SS_SD_SE_SF_EUlSS_E1_NS1_11comp_targetILNS1_3genE0ELNS1_11target_archE4294967295ELNS1_3gpuE0ELNS1_3repE0EEENS1_36merge_oddeven_config_static_selectorELNS0_4arch9wavefront6targetE1EEEvSE_
		.amdhsa_group_segment_fixed_size 0
		.amdhsa_private_segment_fixed_size 0
		.amdhsa_kernarg_size 48
		.amdhsa_user_sgpr_count 6
		.amdhsa_user_sgpr_private_segment_buffer 1
		.amdhsa_user_sgpr_dispatch_ptr 0
		.amdhsa_user_sgpr_queue_ptr 0
		.amdhsa_user_sgpr_kernarg_segment_ptr 1
		.amdhsa_user_sgpr_dispatch_id 0
		.amdhsa_user_sgpr_flat_scratch_init 0
		.amdhsa_user_sgpr_kernarg_preload_length 0
		.amdhsa_user_sgpr_kernarg_preload_offset 0
		.amdhsa_user_sgpr_private_segment_size 0
		.amdhsa_uses_dynamic_stack 0
		.amdhsa_system_sgpr_private_segment_wavefront_offset 0
		.amdhsa_system_sgpr_workgroup_id_x 1
		.amdhsa_system_sgpr_workgroup_id_y 0
		.amdhsa_system_sgpr_workgroup_id_z 0
		.amdhsa_system_sgpr_workgroup_info 0
		.amdhsa_system_vgpr_workitem_id 0
		.amdhsa_next_free_vgpr 1
		.amdhsa_next_free_sgpr 0
		.amdhsa_accum_offset 4
		.amdhsa_reserve_vcc 0
		.amdhsa_reserve_flat_scratch 0
		.amdhsa_float_round_mode_32 0
		.amdhsa_float_round_mode_16_64 0
		.amdhsa_float_denorm_mode_32 3
		.amdhsa_float_denorm_mode_16_64 3
		.amdhsa_dx10_clamp 1
		.amdhsa_ieee_mode 1
		.amdhsa_fp16_overflow 0
		.amdhsa_tg_split 0
		.amdhsa_exception_fp_ieee_invalid_op 0
		.amdhsa_exception_fp_denorm_src 0
		.amdhsa_exception_fp_ieee_div_zero 0
		.amdhsa_exception_fp_ieee_overflow 0
		.amdhsa_exception_fp_ieee_underflow 0
		.amdhsa_exception_fp_ieee_inexact 0
		.amdhsa_exception_int_div_zero 0
	.end_amdhsa_kernel
	.section	.text._ZN7rocprim17ROCPRIM_400000_NS6detail17trampoline_kernelINS0_14default_configENS1_38merge_sort_block_merge_config_selectorIjyEEZZNS1_27merge_sort_block_merge_implIS3_PjPyjNS1_19radix_merge_compareILb0ELb0EjNS0_19identity_decomposerEEEEE10hipError_tT0_T1_T2_jT3_P12ihipStream_tbPNSt15iterator_traitsISD_E10value_typeEPNSJ_ISE_E10value_typeEPSF_NS1_7vsmem_tEENKUlT_SD_SE_SF_E_clIS7_S7_S8_S8_EESC_SS_SD_SE_SF_EUlSS_E1_NS1_11comp_targetILNS1_3genE0ELNS1_11target_archE4294967295ELNS1_3gpuE0ELNS1_3repE0EEENS1_36merge_oddeven_config_static_selectorELNS0_4arch9wavefront6targetE1EEEvSE_,"axG",@progbits,_ZN7rocprim17ROCPRIM_400000_NS6detail17trampoline_kernelINS0_14default_configENS1_38merge_sort_block_merge_config_selectorIjyEEZZNS1_27merge_sort_block_merge_implIS3_PjPyjNS1_19radix_merge_compareILb0ELb0EjNS0_19identity_decomposerEEEEE10hipError_tT0_T1_T2_jT3_P12ihipStream_tbPNSt15iterator_traitsISD_E10value_typeEPNSJ_ISE_E10value_typeEPSF_NS1_7vsmem_tEENKUlT_SD_SE_SF_E_clIS7_S7_S8_S8_EESC_SS_SD_SE_SF_EUlSS_E1_NS1_11comp_targetILNS1_3genE0ELNS1_11target_archE4294967295ELNS1_3gpuE0ELNS1_3repE0EEENS1_36merge_oddeven_config_static_selectorELNS0_4arch9wavefront6targetE1EEEvSE_,comdat
.Lfunc_end478:
	.size	_ZN7rocprim17ROCPRIM_400000_NS6detail17trampoline_kernelINS0_14default_configENS1_38merge_sort_block_merge_config_selectorIjyEEZZNS1_27merge_sort_block_merge_implIS3_PjPyjNS1_19radix_merge_compareILb0ELb0EjNS0_19identity_decomposerEEEEE10hipError_tT0_T1_T2_jT3_P12ihipStream_tbPNSt15iterator_traitsISD_E10value_typeEPNSJ_ISE_E10value_typeEPSF_NS1_7vsmem_tEENKUlT_SD_SE_SF_E_clIS7_S7_S8_S8_EESC_SS_SD_SE_SF_EUlSS_E1_NS1_11comp_targetILNS1_3genE0ELNS1_11target_archE4294967295ELNS1_3gpuE0ELNS1_3repE0EEENS1_36merge_oddeven_config_static_selectorELNS0_4arch9wavefront6targetE1EEEvSE_, .Lfunc_end478-_ZN7rocprim17ROCPRIM_400000_NS6detail17trampoline_kernelINS0_14default_configENS1_38merge_sort_block_merge_config_selectorIjyEEZZNS1_27merge_sort_block_merge_implIS3_PjPyjNS1_19radix_merge_compareILb0ELb0EjNS0_19identity_decomposerEEEEE10hipError_tT0_T1_T2_jT3_P12ihipStream_tbPNSt15iterator_traitsISD_E10value_typeEPNSJ_ISE_E10value_typeEPSF_NS1_7vsmem_tEENKUlT_SD_SE_SF_E_clIS7_S7_S8_S8_EESC_SS_SD_SE_SF_EUlSS_E1_NS1_11comp_targetILNS1_3genE0ELNS1_11target_archE4294967295ELNS1_3gpuE0ELNS1_3repE0EEENS1_36merge_oddeven_config_static_selectorELNS0_4arch9wavefront6targetE1EEEvSE_
                                        ; -- End function
	.section	.AMDGPU.csdata,"",@progbits
; Kernel info:
; codeLenInByte = 0
; NumSgprs: 4
; NumVgprs: 0
; NumAgprs: 0
; TotalNumVgprs: 0
; ScratchSize: 0
; MemoryBound: 0
; FloatMode: 240
; IeeeMode: 1
; LDSByteSize: 0 bytes/workgroup (compile time only)
; SGPRBlocks: 0
; VGPRBlocks: 0
; NumSGPRsForWavesPerEU: 4
; NumVGPRsForWavesPerEU: 1
; AccumOffset: 4
; Occupancy: 8
; WaveLimiterHint : 0
; COMPUTE_PGM_RSRC2:SCRATCH_EN: 0
; COMPUTE_PGM_RSRC2:USER_SGPR: 6
; COMPUTE_PGM_RSRC2:TRAP_HANDLER: 0
; COMPUTE_PGM_RSRC2:TGID_X_EN: 1
; COMPUTE_PGM_RSRC2:TGID_Y_EN: 0
; COMPUTE_PGM_RSRC2:TGID_Z_EN: 0
; COMPUTE_PGM_RSRC2:TIDIG_COMP_CNT: 0
; COMPUTE_PGM_RSRC3_GFX90A:ACCUM_OFFSET: 0
; COMPUTE_PGM_RSRC3_GFX90A:TG_SPLIT: 0
	.section	.text._ZN7rocprim17ROCPRIM_400000_NS6detail17trampoline_kernelINS0_14default_configENS1_38merge_sort_block_merge_config_selectorIjyEEZZNS1_27merge_sort_block_merge_implIS3_PjPyjNS1_19radix_merge_compareILb0ELb0EjNS0_19identity_decomposerEEEEE10hipError_tT0_T1_T2_jT3_P12ihipStream_tbPNSt15iterator_traitsISD_E10value_typeEPNSJ_ISE_E10value_typeEPSF_NS1_7vsmem_tEENKUlT_SD_SE_SF_E_clIS7_S7_S8_S8_EESC_SS_SD_SE_SF_EUlSS_E1_NS1_11comp_targetILNS1_3genE10ELNS1_11target_archE1201ELNS1_3gpuE5ELNS1_3repE0EEENS1_36merge_oddeven_config_static_selectorELNS0_4arch9wavefront6targetE1EEEvSE_,"axG",@progbits,_ZN7rocprim17ROCPRIM_400000_NS6detail17trampoline_kernelINS0_14default_configENS1_38merge_sort_block_merge_config_selectorIjyEEZZNS1_27merge_sort_block_merge_implIS3_PjPyjNS1_19radix_merge_compareILb0ELb0EjNS0_19identity_decomposerEEEEE10hipError_tT0_T1_T2_jT3_P12ihipStream_tbPNSt15iterator_traitsISD_E10value_typeEPNSJ_ISE_E10value_typeEPSF_NS1_7vsmem_tEENKUlT_SD_SE_SF_E_clIS7_S7_S8_S8_EESC_SS_SD_SE_SF_EUlSS_E1_NS1_11comp_targetILNS1_3genE10ELNS1_11target_archE1201ELNS1_3gpuE5ELNS1_3repE0EEENS1_36merge_oddeven_config_static_selectorELNS0_4arch9wavefront6targetE1EEEvSE_,comdat
	.protected	_ZN7rocprim17ROCPRIM_400000_NS6detail17trampoline_kernelINS0_14default_configENS1_38merge_sort_block_merge_config_selectorIjyEEZZNS1_27merge_sort_block_merge_implIS3_PjPyjNS1_19radix_merge_compareILb0ELb0EjNS0_19identity_decomposerEEEEE10hipError_tT0_T1_T2_jT3_P12ihipStream_tbPNSt15iterator_traitsISD_E10value_typeEPNSJ_ISE_E10value_typeEPSF_NS1_7vsmem_tEENKUlT_SD_SE_SF_E_clIS7_S7_S8_S8_EESC_SS_SD_SE_SF_EUlSS_E1_NS1_11comp_targetILNS1_3genE10ELNS1_11target_archE1201ELNS1_3gpuE5ELNS1_3repE0EEENS1_36merge_oddeven_config_static_selectorELNS0_4arch9wavefront6targetE1EEEvSE_ ; -- Begin function _ZN7rocprim17ROCPRIM_400000_NS6detail17trampoline_kernelINS0_14default_configENS1_38merge_sort_block_merge_config_selectorIjyEEZZNS1_27merge_sort_block_merge_implIS3_PjPyjNS1_19radix_merge_compareILb0ELb0EjNS0_19identity_decomposerEEEEE10hipError_tT0_T1_T2_jT3_P12ihipStream_tbPNSt15iterator_traitsISD_E10value_typeEPNSJ_ISE_E10value_typeEPSF_NS1_7vsmem_tEENKUlT_SD_SE_SF_E_clIS7_S7_S8_S8_EESC_SS_SD_SE_SF_EUlSS_E1_NS1_11comp_targetILNS1_3genE10ELNS1_11target_archE1201ELNS1_3gpuE5ELNS1_3repE0EEENS1_36merge_oddeven_config_static_selectorELNS0_4arch9wavefront6targetE1EEEvSE_
	.globl	_ZN7rocprim17ROCPRIM_400000_NS6detail17trampoline_kernelINS0_14default_configENS1_38merge_sort_block_merge_config_selectorIjyEEZZNS1_27merge_sort_block_merge_implIS3_PjPyjNS1_19radix_merge_compareILb0ELb0EjNS0_19identity_decomposerEEEEE10hipError_tT0_T1_T2_jT3_P12ihipStream_tbPNSt15iterator_traitsISD_E10value_typeEPNSJ_ISE_E10value_typeEPSF_NS1_7vsmem_tEENKUlT_SD_SE_SF_E_clIS7_S7_S8_S8_EESC_SS_SD_SE_SF_EUlSS_E1_NS1_11comp_targetILNS1_3genE10ELNS1_11target_archE1201ELNS1_3gpuE5ELNS1_3repE0EEENS1_36merge_oddeven_config_static_selectorELNS0_4arch9wavefront6targetE1EEEvSE_
	.p2align	8
	.type	_ZN7rocprim17ROCPRIM_400000_NS6detail17trampoline_kernelINS0_14default_configENS1_38merge_sort_block_merge_config_selectorIjyEEZZNS1_27merge_sort_block_merge_implIS3_PjPyjNS1_19radix_merge_compareILb0ELb0EjNS0_19identity_decomposerEEEEE10hipError_tT0_T1_T2_jT3_P12ihipStream_tbPNSt15iterator_traitsISD_E10value_typeEPNSJ_ISE_E10value_typeEPSF_NS1_7vsmem_tEENKUlT_SD_SE_SF_E_clIS7_S7_S8_S8_EESC_SS_SD_SE_SF_EUlSS_E1_NS1_11comp_targetILNS1_3genE10ELNS1_11target_archE1201ELNS1_3gpuE5ELNS1_3repE0EEENS1_36merge_oddeven_config_static_selectorELNS0_4arch9wavefront6targetE1EEEvSE_,@function
_ZN7rocprim17ROCPRIM_400000_NS6detail17trampoline_kernelINS0_14default_configENS1_38merge_sort_block_merge_config_selectorIjyEEZZNS1_27merge_sort_block_merge_implIS3_PjPyjNS1_19radix_merge_compareILb0ELb0EjNS0_19identity_decomposerEEEEE10hipError_tT0_T1_T2_jT3_P12ihipStream_tbPNSt15iterator_traitsISD_E10value_typeEPNSJ_ISE_E10value_typeEPSF_NS1_7vsmem_tEENKUlT_SD_SE_SF_E_clIS7_S7_S8_S8_EESC_SS_SD_SE_SF_EUlSS_E1_NS1_11comp_targetILNS1_3genE10ELNS1_11target_archE1201ELNS1_3gpuE5ELNS1_3repE0EEENS1_36merge_oddeven_config_static_selectorELNS0_4arch9wavefront6targetE1EEEvSE_: ; @_ZN7rocprim17ROCPRIM_400000_NS6detail17trampoline_kernelINS0_14default_configENS1_38merge_sort_block_merge_config_selectorIjyEEZZNS1_27merge_sort_block_merge_implIS3_PjPyjNS1_19radix_merge_compareILb0ELb0EjNS0_19identity_decomposerEEEEE10hipError_tT0_T1_T2_jT3_P12ihipStream_tbPNSt15iterator_traitsISD_E10value_typeEPNSJ_ISE_E10value_typeEPSF_NS1_7vsmem_tEENKUlT_SD_SE_SF_E_clIS7_S7_S8_S8_EESC_SS_SD_SE_SF_EUlSS_E1_NS1_11comp_targetILNS1_3genE10ELNS1_11target_archE1201ELNS1_3gpuE5ELNS1_3repE0EEENS1_36merge_oddeven_config_static_selectorELNS0_4arch9wavefront6targetE1EEEvSE_
; %bb.0:
	.section	.rodata,"a",@progbits
	.p2align	6, 0x0
	.amdhsa_kernel _ZN7rocprim17ROCPRIM_400000_NS6detail17trampoline_kernelINS0_14default_configENS1_38merge_sort_block_merge_config_selectorIjyEEZZNS1_27merge_sort_block_merge_implIS3_PjPyjNS1_19radix_merge_compareILb0ELb0EjNS0_19identity_decomposerEEEEE10hipError_tT0_T1_T2_jT3_P12ihipStream_tbPNSt15iterator_traitsISD_E10value_typeEPNSJ_ISE_E10value_typeEPSF_NS1_7vsmem_tEENKUlT_SD_SE_SF_E_clIS7_S7_S8_S8_EESC_SS_SD_SE_SF_EUlSS_E1_NS1_11comp_targetILNS1_3genE10ELNS1_11target_archE1201ELNS1_3gpuE5ELNS1_3repE0EEENS1_36merge_oddeven_config_static_selectorELNS0_4arch9wavefront6targetE1EEEvSE_
		.amdhsa_group_segment_fixed_size 0
		.amdhsa_private_segment_fixed_size 0
		.amdhsa_kernarg_size 48
		.amdhsa_user_sgpr_count 6
		.amdhsa_user_sgpr_private_segment_buffer 1
		.amdhsa_user_sgpr_dispatch_ptr 0
		.amdhsa_user_sgpr_queue_ptr 0
		.amdhsa_user_sgpr_kernarg_segment_ptr 1
		.amdhsa_user_sgpr_dispatch_id 0
		.amdhsa_user_sgpr_flat_scratch_init 0
		.amdhsa_user_sgpr_kernarg_preload_length 0
		.amdhsa_user_sgpr_kernarg_preload_offset 0
		.amdhsa_user_sgpr_private_segment_size 0
		.amdhsa_uses_dynamic_stack 0
		.amdhsa_system_sgpr_private_segment_wavefront_offset 0
		.amdhsa_system_sgpr_workgroup_id_x 1
		.amdhsa_system_sgpr_workgroup_id_y 0
		.amdhsa_system_sgpr_workgroup_id_z 0
		.amdhsa_system_sgpr_workgroup_info 0
		.amdhsa_system_vgpr_workitem_id 0
		.amdhsa_next_free_vgpr 1
		.amdhsa_next_free_sgpr 0
		.amdhsa_accum_offset 4
		.amdhsa_reserve_vcc 0
		.amdhsa_reserve_flat_scratch 0
		.amdhsa_float_round_mode_32 0
		.amdhsa_float_round_mode_16_64 0
		.amdhsa_float_denorm_mode_32 3
		.amdhsa_float_denorm_mode_16_64 3
		.amdhsa_dx10_clamp 1
		.amdhsa_ieee_mode 1
		.amdhsa_fp16_overflow 0
		.amdhsa_tg_split 0
		.amdhsa_exception_fp_ieee_invalid_op 0
		.amdhsa_exception_fp_denorm_src 0
		.amdhsa_exception_fp_ieee_div_zero 0
		.amdhsa_exception_fp_ieee_overflow 0
		.amdhsa_exception_fp_ieee_underflow 0
		.amdhsa_exception_fp_ieee_inexact 0
		.amdhsa_exception_int_div_zero 0
	.end_amdhsa_kernel
	.section	.text._ZN7rocprim17ROCPRIM_400000_NS6detail17trampoline_kernelINS0_14default_configENS1_38merge_sort_block_merge_config_selectorIjyEEZZNS1_27merge_sort_block_merge_implIS3_PjPyjNS1_19radix_merge_compareILb0ELb0EjNS0_19identity_decomposerEEEEE10hipError_tT0_T1_T2_jT3_P12ihipStream_tbPNSt15iterator_traitsISD_E10value_typeEPNSJ_ISE_E10value_typeEPSF_NS1_7vsmem_tEENKUlT_SD_SE_SF_E_clIS7_S7_S8_S8_EESC_SS_SD_SE_SF_EUlSS_E1_NS1_11comp_targetILNS1_3genE10ELNS1_11target_archE1201ELNS1_3gpuE5ELNS1_3repE0EEENS1_36merge_oddeven_config_static_selectorELNS0_4arch9wavefront6targetE1EEEvSE_,"axG",@progbits,_ZN7rocprim17ROCPRIM_400000_NS6detail17trampoline_kernelINS0_14default_configENS1_38merge_sort_block_merge_config_selectorIjyEEZZNS1_27merge_sort_block_merge_implIS3_PjPyjNS1_19radix_merge_compareILb0ELb0EjNS0_19identity_decomposerEEEEE10hipError_tT0_T1_T2_jT3_P12ihipStream_tbPNSt15iterator_traitsISD_E10value_typeEPNSJ_ISE_E10value_typeEPSF_NS1_7vsmem_tEENKUlT_SD_SE_SF_E_clIS7_S7_S8_S8_EESC_SS_SD_SE_SF_EUlSS_E1_NS1_11comp_targetILNS1_3genE10ELNS1_11target_archE1201ELNS1_3gpuE5ELNS1_3repE0EEENS1_36merge_oddeven_config_static_selectorELNS0_4arch9wavefront6targetE1EEEvSE_,comdat
.Lfunc_end479:
	.size	_ZN7rocprim17ROCPRIM_400000_NS6detail17trampoline_kernelINS0_14default_configENS1_38merge_sort_block_merge_config_selectorIjyEEZZNS1_27merge_sort_block_merge_implIS3_PjPyjNS1_19radix_merge_compareILb0ELb0EjNS0_19identity_decomposerEEEEE10hipError_tT0_T1_T2_jT3_P12ihipStream_tbPNSt15iterator_traitsISD_E10value_typeEPNSJ_ISE_E10value_typeEPSF_NS1_7vsmem_tEENKUlT_SD_SE_SF_E_clIS7_S7_S8_S8_EESC_SS_SD_SE_SF_EUlSS_E1_NS1_11comp_targetILNS1_3genE10ELNS1_11target_archE1201ELNS1_3gpuE5ELNS1_3repE0EEENS1_36merge_oddeven_config_static_selectorELNS0_4arch9wavefront6targetE1EEEvSE_, .Lfunc_end479-_ZN7rocprim17ROCPRIM_400000_NS6detail17trampoline_kernelINS0_14default_configENS1_38merge_sort_block_merge_config_selectorIjyEEZZNS1_27merge_sort_block_merge_implIS3_PjPyjNS1_19radix_merge_compareILb0ELb0EjNS0_19identity_decomposerEEEEE10hipError_tT0_T1_T2_jT3_P12ihipStream_tbPNSt15iterator_traitsISD_E10value_typeEPNSJ_ISE_E10value_typeEPSF_NS1_7vsmem_tEENKUlT_SD_SE_SF_E_clIS7_S7_S8_S8_EESC_SS_SD_SE_SF_EUlSS_E1_NS1_11comp_targetILNS1_3genE10ELNS1_11target_archE1201ELNS1_3gpuE5ELNS1_3repE0EEENS1_36merge_oddeven_config_static_selectorELNS0_4arch9wavefront6targetE1EEEvSE_
                                        ; -- End function
	.section	.AMDGPU.csdata,"",@progbits
; Kernel info:
; codeLenInByte = 0
; NumSgprs: 4
; NumVgprs: 0
; NumAgprs: 0
; TotalNumVgprs: 0
; ScratchSize: 0
; MemoryBound: 0
; FloatMode: 240
; IeeeMode: 1
; LDSByteSize: 0 bytes/workgroup (compile time only)
; SGPRBlocks: 0
; VGPRBlocks: 0
; NumSGPRsForWavesPerEU: 4
; NumVGPRsForWavesPerEU: 1
; AccumOffset: 4
; Occupancy: 8
; WaveLimiterHint : 0
; COMPUTE_PGM_RSRC2:SCRATCH_EN: 0
; COMPUTE_PGM_RSRC2:USER_SGPR: 6
; COMPUTE_PGM_RSRC2:TRAP_HANDLER: 0
; COMPUTE_PGM_RSRC2:TGID_X_EN: 1
; COMPUTE_PGM_RSRC2:TGID_Y_EN: 0
; COMPUTE_PGM_RSRC2:TGID_Z_EN: 0
; COMPUTE_PGM_RSRC2:TIDIG_COMP_CNT: 0
; COMPUTE_PGM_RSRC3_GFX90A:ACCUM_OFFSET: 0
; COMPUTE_PGM_RSRC3_GFX90A:TG_SPLIT: 0
	.section	.text._ZN7rocprim17ROCPRIM_400000_NS6detail17trampoline_kernelINS0_14default_configENS1_38merge_sort_block_merge_config_selectorIjyEEZZNS1_27merge_sort_block_merge_implIS3_PjPyjNS1_19radix_merge_compareILb0ELb0EjNS0_19identity_decomposerEEEEE10hipError_tT0_T1_T2_jT3_P12ihipStream_tbPNSt15iterator_traitsISD_E10value_typeEPNSJ_ISE_E10value_typeEPSF_NS1_7vsmem_tEENKUlT_SD_SE_SF_E_clIS7_S7_S8_S8_EESC_SS_SD_SE_SF_EUlSS_E1_NS1_11comp_targetILNS1_3genE5ELNS1_11target_archE942ELNS1_3gpuE9ELNS1_3repE0EEENS1_36merge_oddeven_config_static_selectorELNS0_4arch9wavefront6targetE1EEEvSE_,"axG",@progbits,_ZN7rocprim17ROCPRIM_400000_NS6detail17trampoline_kernelINS0_14default_configENS1_38merge_sort_block_merge_config_selectorIjyEEZZNS1_27merge_sort_block_merge_implIS3_PjPyjNS1_19radix_merge_compareILb0ELb0EjNS0_19identity_decomposerEEEEE10hipError_tT0_T1_T2_jT3_P12ihipStream_tbPNSt15iterator_traitsISD_E10value_typeEPNSJ_ISE_E10value_typeEPSF_NS1_7vsmem_tEENKUlT_SD_SE_SF_E_clIS7_S7_S8_S8_EESC_SS_SD_SE_SF_EUlSS_E1_NS1_11comp_targetILNS1_3genE5ELNS1_11target_archE942ELNS1_3gpuE9ELNS1_3repE0EEENS1_36merge_oddeven_config_static_selectorELNS0_4arch9wavefront6targetE1EEEvSE_,comdat
	.protected	_ZN7rocprim17ROCPRIM_400000_NS6detail17trampoline_kernelINS0_14default_configENS1_38merge_sort_block_merge_config_selectorIjyEEZZNS1_27merge_sort_block_merge_implIS3_PjPyjNS1_19radix_merge_compareILb0ELb0EjNS0_19identity_decomposerEEEEE10hipError_tT0_T1_T2_jT3_P12ihipStream_tbPNSt15iterator_traitsISD_E10value_typeEPNSJ_ISE_E10value_typeEPSF_NS1_7vsmem_tEENKUlT_SD_SE_SF_E_clIS7_S7_S8_S8_EESC_SS_SD_SE_SF_EUlSS_E1_NS1_11comp_targetILNS1_3genE5ELNS1_11target_archE942ELNS1_3gpuE9ELNS1_3repE0EEENS1_36merge_oddeven_config_static_selectorELNS0_4arch9wavefront6targetE1EEEvSE_ ; -- Begin function _ZN7rocprim17ROCPRIM_400000_NS6detail17trampoline_kernelINS0_14default_configENS1_38merge_sort_block_merge_config_selectorIjyEEZZNS1_27merge_sort_block_merge_implIS3_PjPyjNS1_19radix_merge_compareILb0ELb0EjNS0_19identity_decomposerEEEEE10hipError_tT0_T1_T2_jT3_P12ihipStream_tbPNSt15iterator_traitsISD_E10value_typeEPNSJ_ISE_E10value_typeEPSF_NS1_7vsmem_tEENKUlT_SD_SE_SF_E_clIS7_S7_S8_S8_EESC_SS_SD_SE_SF_EUlSS_E1_NS1_11comp_targetILNS1_3genE5ELNS1_11target_archE942ELNS1_3gpuE9ELNS1_3repE0EEENS1_36merge_oddeven_config_static_selectorELNS0_4arch9wavefront6targetE1EEEvSE_
	.globl	_ZN7rocprim17ROCPRIM_400000_NS6detail17trampoline_kernelINS0_14default_configENS1_38merge_sort_block_merge_config_selectorIjyEEZZNS1_27merge_sort_block_merge_implIS3_PjPyjNS1_19radix_merge_compareILb0ELb0EjNS0_19identity_decomposerEEEEE10hipError_tT0_T1_T2_jT3_P12ihipStream_tbPNSt15iterator_traitsISD_E10value_typeEPNSJ_ISE_E10value_typeEPSF_NS1_7vsmem_tEENKUlT_SD_SE_SF_E_clIS7_S7_S8_S8_EESC_SS_SD_SE_SF_EUlSS_E1_NS1_11comp_targetILNS1_3genE5ELNS1_11target_archE942ELNS1_3gpuE9ELNS1_3repE0EEENS1_36merge_oddeven_config_static_selectorELNS0_4arch9wavefront6targetE1EEEvSE_
	.p2align	8
	.type	_ZN7rocprim17ROCPRIM_400000_NS6detail17trampoline_kernelINS0_14default_configENS1_38merge_sort_block_merge_config_selectorIjyEEZZNS1_27merge_sort_block_merge_implIS3_PjPyjNS1_19radix_merge_compareILb0ELb0EjNS0_19identity_decomposerEEEEE10hipError_tT0_T1_T2_jT3_P12ihipStream_tbPNSt15iterator_traitsISD_E10value_typeEPNSJ_ISE_E10value_typeEPSF_NS1_7vsmem_tEENKUlT_SD_SE_SF_E_clIS7_S7_S8_S8_EESC_SS_SD_SE_SF_EUlSS_E1_NS1_11comp_targetILNS1_3genE5ELNS1_11target_archE942ELNS1_3gpuE9ELNS1_3repE0EEENS1_36merge_oddeven_config_static_selectorELNS0_4arch9wavefront6targetE1EEEvSE_,@function
_ZN7rocprim17ROCPRIM_400000_NS6detail17trampoline_kernelINS0_14default_configENS1_38merge_sort_block_merge_config_selectorIjyEEZZNS1_27merge_sort_block_merge_implIS3_PjPyjNS1_19radix_merge_compareILb0ELb0EjNS0_19identity_decomposerEEEEE10hipError_tT0_T1_T2_jT3_P12ihipStream_tbPNSt15iterator_traitsISD_E10value_typeEPNSJ_ISE_E10value_typeEPSF_NS1_7vsmem_tEENKUlT_SD_SE_SF_E_clIS7_S7_S8_S8_EESC_SS_SD_SE_SF_EUlSS_E1_NS1_11comp_targetILNS1_3genE5ELNS1_11target_archE942ELNS1_3gpuE9ELNS1_3repE0EEENS1_36merge_oddeven_config_static_selectorELNS0_4arch9wavefront6targetE1EEEvSE_: ; @_ZN7rocprim17ROCPRIM_400000_NS6detail17trampoline_kernelINS0_14default_configENS1_38merge_sort_block_merge_config_selectorIjyEEZZNS1_27merge_sort_block_merge_implIS3_PjPyjNS1_19radix_merge_compareILb0ELb0EjNS0_19identity_decomposerEEEEE10hipError_tT0_T1_T2_jT3_P12ihipStream_tbPNSt15iterator_traitsISD_E10value_typeEPNSJ_ISE_E10value_typeEPSF_NS1_7vsmem_tEENKUlT_SD_SE_SF_E_clIS7_S7_S8_S8_EESC_SS_SD_SE_SF_EUlSS_E1_NS1_11comp_targetILNS1_3genE5ELNS1_11target_archE942ELNS1_3gpuE9ELNS1_3repE0EEENS1_36merge_oddeven_config_static_selectorELNS0_4arch9wavefront6targetE1EEEvSE_
; %bb.0:
	.section	.rodata,"a",@progbits
	.p2align	6, 0x0
	.amdhsa_kernel _ZN7rocprim17ROCPRIM_400000_NS6detail17trampoline_kernelINS0_14default_configENS1_38merge_sort_block_merge_config_selectorIjyEEZZNS1_27merge_sort_block_merge_implIS3_PjPyjNS1_19radix_merge_compareILb0ELb0EjNS0_19identity_decomposerEEEEE10hipError_tT0_T1_T2_jT3_P12ihipStream_tbPNSt15iterator_traitsISD_E10value_typeEPNSJ_ISE_E10value_typeEPSF_NS1_7vsmem_tEENKUlT_SD_SE_SF_E_clIS7_S7_S8_S8_EESC_SS_SD_SE_SF_EUlSS_E1_NS1_11comp_targetILNS1_3genE5ELNS1_11target_archE942ELNS1_3gpuE9ELNS1_3repE0EEENS1_36merge_oddeven_config_static_selectorELNS0_4arch9wavefront6targetE1EEEvSE_
		.amdhsa_group_segment_fixed_size 0
		.amdhsa_private_segment_fixed_size 0
		.amdhsa_kernarg_size 48
		.amdhsa_user_sgpr_count 6
		.amdhsa_user_sgpr_private_segment_buffer 1
		.amdhsa_user_sgpr_dispatch_ptr 0
		.amdhsa_user_sgpr_queue_ptr 0
		.amdhsa_user_sgpr_kernarg_segment_ptr 1
		.amdhsa_user_sgpr_dispatch_id 0
		.amdhsa_user_sgpr_flat_scratch_init 0
		.amdhsa_user_sgpr_kernarg_preload_length 0
		.amdhsa_user_sgpr_kernarg_preload_offset 0
		.amdhsa_user_sgpr_private_segment_size 0
		.amdhsa_uses_dynamic_stack 0
		.amdhsa_system_sgpr_private_segment_wavefront_offset 0
		.amdhsa_system_sgpr_workgroup_id_x 1
		.amdhsa_system_sgpr_workgroup_id_y 0
		.amdhsa_system_sgpr_workgroup_id_z 0
		.amdhsa_system_sgpr_workgroup_info 0
		.amdhsa_system_vgpr_workitem_id 0
		.amdhsa_next_free_vgpr 1
		.amdhsa_next_free_sgpr 0
		.amdhsa_accum_offset 4
		.amdhsa_reserve_vcc 0
		.amdhsa_reserve_flat_scratch 0
		.amdhsa_float_round_mode_32 0
		.amdhsa_float_round_mode_16_64 0
		.amdhsa_float_denorm_mode_32 3
		.amdhsa_float_denorm_mode_16_64 3
		.amdhsa_dx10_clamp 1
		.amdhsa_ieee_mode 1
		.amdhsa_fp16_overflow 0
		.amdhsa_tg_split 0
		.amdhsa_exception_fp_ieee_invalid_op 0
		.amdhsa_exception_fp_denorm_src 0
		.amdhsa_exception_fp_ieee_div_zero 0
		.amdhsa_exception_fp_ieee_overflow 0
		.amdhsa_exception_fp_ieee_underflow 0
		.amdhsa_exception_fp_ieee_inexact 0
		.amdhsa_exception_int_div_zero 0
	.end_amdhsa_kernel
	.section	.text._ZN7rocprim17ROCPRIM_400000_NS6detail17trampoline_kernelINS0_14default_configENS1_38merge_sort_block_merge_config_selectorIjyEEZZNS1_27merge_sort_block_merge_implIS3_PjPyjNS1_19radix_merge_compareILb0ELb0EjNS0_19identity_decomposerEEEEE10hipError_tT0_T1_T2_jT3_P12ihipStream_tbPNSt15iterator_traitsISD_E10value_typeEPNSJ_ISE_E10value_typeEPSF_NS1_7vsmem_tEENKUlT_SD_SE_SF_E_clIS7_S7_S8_S8_EESC_SS_SD_SE_SF_EUlSS_E1_NS1_11comp_targetILNS1_3genE5ELNS1_11target_archE942ELNS1_3gpuE9ELNS1_3repE0EEENS1_36merge_oddeven_config_static_selectorELNS0_4arch9wavefront6targetE1EEEvSE_,"axG",@progbits,_ZN7rocprim17ROCPRIM_400000_NS6detail17trampoline_kernelINS0_14default_configENS1_38merge_sort_block_merge_config_selectorIjyEEZZNS1_27merge_sort_block_merge_implIS3_PjPyjNS1_19radix_merge_compareILb0ELb0EjNS0_19identity_decomposerEEEEE10hipError_tT0_T1_T2_jT3_P12ihipStream_tbPNSt15iterator_traitsISD_E10value_typeEPNSJ_ISE_E10value_typeEPSF_NS1_7vsmem_tEENKUlT_SD_SE_SF_E_clIS7_S7_S8_S8_EESC_SS_SD_SE_SF_EUlSS_E1_NS1_11comp_targetILNS1_3genE5ELNS1_11target_archE942ELNS1_3gpuE9ELNS1_3repE0EEENS1_36merge_oddeven_config_static_selectorELNS0_4arch9wavefront6targetE1EEEvSE_,comdat
.Lfunc_end480:
	.size	_ZN7rocprim17ROCPRIM_400000_NS6detail17trampoline_kernelINS0_14default_configENS1_38merge_sort_block_merge_config_selectorIjyEEZZNS1_27merge_sort_block_merge_implIS3_PjPyjNS1_19radix_merge_compareILb0ELb0EjNS0_19identity_decomposerEEEEE10hipError_tT0_T1_T2_jT3_P12ihipStream_tbPNSt15iterator_traitsISD_E10value_typeEPNSJ_ISE_E10value_typeEPSF_NS1_7vsmem_tEENKUlT_SD_SE_SF_E_clIS7_S7_S8_S8_EESC_SS_SD_SE_SF_EUlSS_E1_NS1_11comp_targetILNS1_3genE5ELNS1_11target_archE942ELNS1_3gpuE9ELNS1_3repE0EEENS1_36merge_oddeven_config_static_selectorELNS0_4arch9wavefront6targetE1EEEvSE_, .Lfunc_end480-_ZN7rocprim17ROCPRIM_400000_NS6detail17trampoline_kernelINS0_14default_configENS1_38merge_sort_block_merge_config_selectorIjyEEZZNS1_27merge_sort_block_merge_implIS3_PjPyjNS1_19radix_merge_compareILb0ELb0EjNS0_19identity_decomposerEEEEE10hipError_tT0_T1_T2_jT3_P12ihipStream_tbPNSt15iterator_traitsISD_E10value_typeEPNSJ_ISE_E10value_typeEPSF_NS1_7vsmem_tEENKUlT_SD_SE_SF_E_clIS7_S7_S8_S8_EESC_SS_SD_SE_SF_EUlSS_E1_NS1_11comp_targetILNS1_3genE5ELNS1_11target_archE942ELNS1_3gpuE9ELNS1_3repE0EEENS1_36merge_oddeven_config_static_selectorELNS0_4arch9wavefront6targetE1EEEvSE_
                                        ; -- End function
	.section	.AMDGPU.csdata,"",@progbits
; Kernel info:
; codeLenInByte = 0
; NumSgprs: 4
; NumVgprs: 0
; NumAgprs: 0
; TotalNumVgprs: 0
; ScratchSize: 0
; MemoryBound: 0
; FloatMode: 240
; IeeeMode: 1
; LDSByteSize: 0 bytes/workgroup (compile time only)
; SGPRBlocks: 0
; VGPRBlocks: 0
; NumSGPRsForWavesPerEU: 4
; NumVGPRsForWavesPerEU: 1
; AccumOffset: 4
; Occupancy: 8
; WaveLimiterHint : 0
; COMPUTE_PGM_RSRC2:SCRATCH_EN: 0
; COMPUTE_PGM_RSRC2:USER_SGPR: 6
; COMPUTE_PGM_RSRC2:TRAP_HANDLER: 0
; COMPUTE_PGM_RSRC2:TGID_X_EN: 1
; COMPUTE_PGM_RSRC2:TGID_Y_EN: 0
; COMPUTE_PGM_RSRC2:TGID_Z_EN: 0
; COMPUTE_PGM_RSRC2:TIDIG_COMP_CNT: 0
; COMPUTE_PGM_RSRC3_GFX90A:ACCUM_OFFSET: 0
; COMPUTE_PGM_RSRC3_GFX90A:TG_SPLIT: 0
	.section	.text._ZN7rocprim17ROCPRIM_400000_NS6detail17trampoline_kernelINS0_14default_configENS1_38merge_sort_block_merge_config_selectorIjyEEZZNS1_27merge_sort_block_merge_implIS3_PjPyjNS1_19radix_merge_compareILb0ELb0EjNS0_19identity_decomposerEEEEE10hipError_tT0_T1_T2_jT3_P12ihipStream_tbPNSt15iterator_traitsISD_E10value_typeEPNSJ_ISE_E10value_typeEPSF_NS1_7vsmem_tEENKUlT_SD_SE_SF_E_clIS7_S7_S8_S8_EESC_SS_SD_SE_SF_EUlSS_E1_NS1_11comp_targetILNS1_3genE4ELNS1_11target_archE910ELNS1_3gpuE8ELNS1_3repE0EEENS1_36merge_oddeven_config_static_selectorELNS0_4arch9wavefront6targetE1EEEvSE_,"axG",@progbits,_ZN7rocprim17ROCPRIM_400000_NS6detail17trampoline_kernelINS0_14default_configENS1_38merge_sort_block_merge_config_selectorIjyEEZZNS1_27merge_sort_block_merge_implIS3_PjPyjNS1_19radix_merge_compareILb0ELb0EjNS0_19identity_decomposerEEEEE10hipError_tT0_T1_T2_jT3_P12ihipStream_tbPNSt15iterator_traitsISD_E10value_typeEPNSJ_ISE_E10value_typeEPSF_NS1_7vsmem_tEENKUlT_SD_SE_SF_E_clIS7_S7_S8_S8_EESC_SS_SD_SE_SF_EUlSS_E1_NS1_11comp_targetILNS1_3genE4ELNS1_11target_archE910ELNS1_3gpuE8ELNS1_3repE0EEENS1_36merge_oddeven_config_static_selectorELNS0_4arch9wavefront6targetE1EEEvSE_,comdat
	.protected	_ZN7rocprim17ROCPRIM_400000_NS6detail17trampoline_kernelINS0_14default_configENS1_38merge_sort_block_merge_config_selectorIjyEEZZNS1_27merge_sort_block_merge_implIS3_PjPyjNS1_19radix_merge_compareILb0ELb0EjNS0_19identity_decomposerEEEEE10hipError_tT0_T1_T2_jT3_P12ihipStream_tbPNSt15iterator_traitsISD_E10value_typeEPNSJ_ISE_E10value_typeEPSF_NS1_7vsmem_tEENKUlT_SD_SE_SF_E_clIS7_S7_S8_S8_EESC_SS_SD_SE_SF_EUlSS_E1_NS1_11comp_targetILNS1_3genE4ELNS1_11target_archE910ELNS1_3gpuE8ELNS1_3repE0EEENS1_36merge_oddeven_config_static_selectorELNS0_4arch9wavefront6targetE1EEEvSE_ ; -- Begin function _ZN7rocprim17ROCPRIM_400000_NS6detail17trampoline_kernelINS0_14default_configENS1_38merge_sort_block_merge_config_selectorIjyEEZZNS1_27merge_sort_block_merge_implIS3_PjPyjNS1_19radix_merge_compareILb0ELb0EjNS0_19identity_decomposerEEEEE10hipError_tT0_T1_T2_jT3_P12ihipStream_tbPNSt15iterator_traitsISD_E10value_typeEPNSJ_ISE_E10value_typeEPSF_NS1_7vsmem_tEENKUlT_SD_SE_SF_E_clIS7_S7_S8_S8_EESC_SS_SD_SE_SF_EUlSS_E1_NS1_11comp_targetILNS1_3genE4ELNS1_11target_archE910ELNS1_3gpuE8ELNS1_3repE0EEENS1_36merge_oddeven_config_static_selectorELNS0_4arch9wavefront6targetE1EEEvSE_
	.globl	_ZN7rocprim17ROCPRIM_400000_NS6detail17trampoline_kernelINS0_14default_configENS1_38merge_sort_block_merge_config_selectorIjyEEZZNS1_27merge_sort_block_merge_implIS3_PjPyjNS1_19radix_merge_compareILb0ELb0EjNS0_19identity_decomposerEEEEE10hipError_tT0_T1_T2_jT3_P12ihipStream_tbPNSt15iterator_traitsISD_E10value_typeEPNSJ_ISE_E10value_typeEPSF_NS1_7vsmem_tEENKUlT_SD_SE_SF_E_clIS7_S7_S8_S8_EESC_SS_SD_SE_SF_EUlSS_E1_NS1_11comp_targetILNS1_3genE4ELNS1_11target_archE910ELNS1_3gpuE8ELNS1_3repE0EEENS1_36merge_oddeven_config_static_selectorELNS0_4arch9wavefront6targetE1EEEvSE_
	.p2align	8
	.type	_ZN7rocprim17ROCPRIM_400000_NS6detail17trampoline_kernelINS0_14default_configENS1_38merge_sort_block_merge_config_selectorIjyEEZZNS1_27merge_sort_block_merge_implIS3_PjPyjNS1_19radix_merge_compareILb0ELb0EjNS0_19identity_decomposerEEEEE10hipError_tT0_T1_T2_jT3_P12ihipStream_tbPNSt15iterator_traitsISD_E10value_typeEPNSJ_ISE_E10value_typeEPSF_NS1_7vsmem_tEENKUlT_SD_SE_SF_E_clIS7_S7_S8_S8_EESC_SS_SD_SE_SF_EUlSS_E1_NS1_11comp_targetILNS1_3genE4ELNS1_11target_archE910ELNS1_3gpuE8ELNS1_3repE0EEENS1_36merge_oddeven_config_static_selectorELNS0_4arch9wavefront6targetE1EEEvSE_,@function
_ZN7rocprim17ROCPRIM_400000_NS6detail17trampoline_kernelINS0_14default_configENS1_38merge_sort_block_merge_config_selectorIjyEEZZNS1_27merge_sort_block_merge_implIS3_PjPyjNS1_19radix_merge_compareILb0ELb0EjNS0_19identity_decomposerEEEEE10hipError_tT0_T1_T2_jT3_P12ihipStream_tbPNSt15iterator_traitsISD_E10value_typeEPNSJ_ISE_E10value_typeEPSF_NS1_7vsmem_tEENKUlT_SD_SE_SF_E_clIS7_S7_S8_S8_EESC_SS_SD_SE_SF_EUlSS_E1_NS1_11comp_targetILNS1_3genE4ELNS1_11target_archE910ELNS1_3gpuE8ELNS1_3repE0EEENS1_36merge_oddeven_config_static_selectorELNS0_4arch9wavefront6targetE1EEEvSE_: ; @_ZN7rocprim17ROCPRIM_400000_NS6detail17trampoline_kernelINS0_14default_configENS1_38merge_sort_block_merge_config_selectorIjyEEZZNS1_27merge_sort_block_merge_implIS3_PjPyjNS1_19radix_merge_compareILb0ELb0EjNS0_19identity_decomposerEEEEE10hipError_tT0_T1_T2_jT3_P12ihipStream_tbPNSt15iterator_traitsISD_E10value_typeEPNSJ_ISE_E10value_typeEPSF_NS1_7vsmem_tEENKUlT_SD_SE_SF_E_clIS7_S7_S8_S8_EESC_SS_SD_SE_SF_EUlSS_E1_NS1_11comp_targetILNS1_3genE4ELNS1_11target_archE910ELNS1_3gpuE8ELNS1_3repE0EEENS1_36merge_oddeven_config_static_selectorELNS0_4arch9wavefront6targetE1EEEvSE_
; %bb.0:
	s_load_dword s20, s[4:5], 0x20
	s_waitcnt lgkmcnt(0)
	s_lshr_b32 s2, s20, 8
	s_cmp_lg_u32 s6, s2
	s_cselect_b64 s[0:1], -1, 0
	s_cmp_eq_u32 s6, s2
	s_cselect_b64 s[16:17], -1, 0
	s_lshl_b32 s18, s6, 8
	s_sub_i32 s2, s20, s18
	v_cmp_gt_u32_e64 s[2:3], s2, v0
	s_or_b64 s[0:1], s[0:1], s[2:3]
	s_and_saveexec_b64 s[8:9], s[0:1]
	s_cbranch_execz .LBB481_26
; %bb.1:
	s_load_dwordx8 s[8:15], s[4:5], 0x0
	s_mov_b32 s19, 0
	s_lshl_b64 s[0:1], s[18:19], 2
	v_lshlrev_b32_e32 v4, 3, v0
	v_lshlrev_b32_e32 v1, 2, v0
	s_waitcnt lgkmcnt(0)
	s_add_u32 s0, s8, s0
	s_addc_u32 s1, s9, s1
	s_lshl_b64 s[22:23], s[18:19], 3
	s_add_u32 s12, s12, s22
	s_addc_u32 s13, s13, s23
	global_load_dwordx2 v[2:3], v4, s[12:13]
	global_load_dword v6, v1, s[0:1]
	s_load_dword s21, s[4:5], 0x24
	v_add_u32_e32 v4, s18, v0
	s_waitcnt lgkmcnt(0)
	s_lshr_b32 s0, s21, 8
	s_sub_i32 s1, 0, s0
	s_and_b32 s1, s6, s1
	s_and_b32 s0, s1, s0
	s_lshl_b32 s22, s1, 8
	s_sub_i32 s6, 0, s21
	s_cmp_eq_u32 s0, 0
	s_cselect_b64 s[0:1], -1, 0
	s_and_b64 s[4:5], s[0:1], exec
	s_cselect_b32 s19, s21, s6
	s_add_i32 s19, s19, s22
	s_cmp_lt_u32 s19, s20
	s_cbranch_scc1 .LBB481_6
; %bb.2:
	s_and_b64 vcc, exec, s[16:17]
	s_cbranch_vccz .LBB481_7
; %bb.3:
	v_cmp_gt_u32_e32 vcc, s20, v4
	s_mov_b64 s[6:7], 0
	s_mov_b64 s[4:5], 0
                                        ; implicit-def: $vgpr0_vgpr1
	s_and_saveexec_b64 s[12:13], vcc
	s_cbranch_execz .LBB481_5
; %bb.4:
	v_mov_b32_e32 v5, 0
	v_lshlrev_b64 v[0:1], 3, v[4:5]
	v_mov_b32_e32 v7, s15
	v_add_co_u32_e32 v0, vcc, s14, v0
	v_addc_co_u32_e32 v1, vcc, v7, v1, vcc
	v_lshlrev_b64 v[8:9], 2, v[4:5]
	v_mov_b32_e32 v5, s11
	v_add_co_u32_e32 v8, vcc, s10, v8
	s_mov_b64 s[4:5], exec
	v_addc_co_u32_e32 v9, vcc, v5, v9, vcc
	s_waitcnt vmcnt(0)
	global_store_dword v[8:9], v6, off
.LBB481_5:
	s_or_b64 exec, exec, s[12:13]
	s_and_b64 vcc, exec, s[6:7]
	s_cbranch_vccnz .LBB481_8
	s_branch .LBB481_9
.LBB481_6:
	s_mov_b64 s[4:5], 0
                                        ; implicit-def: $vgpr0_vgpr1
	s_cbranch_execnz .LBB481_10
	s_branch .LBB481_24
.LBB481_7:
	s_mov_b64 s[4:5], 0
                                        ; implicit-def: $vgpr0_vgpr1
	s_cbranch_execz .LBB481_9
.LBB481_8:
	v_mov_b32_e32 v5, 0
	v_lshlrev_b64 v[0:1], 2, v[4:5]
	v_mov_b32_e32 v7, s11
	v_add_co_u32_e32 v0, vcc, s10, v0
	v_addc_co_u32_e32 v1, vcc, v7, v1, vcc
	s_waitcnt vmcnt(0)
	global_store_dword v[0:1], v6, off
	v_lshlrev_b64 v[0:1], 3, v[4:5]
	v_mov_b32_e32 v5, s15
	v_add_co_u32_e32 v0, vcc, s14, v0
	v_addc_co_u32_e32 v1, vcc, v5, v1, vcc
	s_or_b64 s[4:5], s[4:5], exec
.LBB481_9:
	s_branch .LBB481_24
.LBB481_10:
	s_min_u32 s12, s19, s20
	s_add_i32 s6, s12, s21
	s_min_u32 s13, s6, s20
	s_min_u32 s6, s22, s12
	s_add_i32 s22, s22, s12
	v_subrev_u32_e32 v0, s22, v4
	v_add_u32_e32 v4, s6, v0
	s_and_b64 vcc, exec, s[16:17]
	s_cbranch_vccz .LBB481_18
; %bb.11:
                                        ; implicit-def: $vgpr0_vgpr1
	s_and_saveexec_b64 s[6:7], s[2:3]
	s_cbranch_execz .LBB481_17
; %bb.12:
	s_cmp_ge_u32 s19, s13
	v_mov_b32_e32 v5, s12
	s_cbranch_scc1 .LBB481_16
; %bb.13:
	s_mov_b64 s[2:3], 0
	v_mov_b32_e32 v7, s13
	v_mov_b32_e32 v5, s12
	;; [unrolled: 1-line block ×4, first 2 shown]
.LBB481_14:                             ; =>This Inner Loop Header: Depth=1
	v_add_u32_e32 v0, v5, v7
	v_lshrrev_b32_e32 v0, 1, v0
	v_lshlrev_b64 v[10:11], 2, v[0:1]
	v_add_co_u32_e32 v10, vcc, s8, v10
	v_addc_co_u32_e32 v11, vcc, v8, v11, vcc
	global_load_dword v9, v[10:11], off
	v_add_u32_e32 v10, 1, v0
	s_waitcnt vmcnt(0)
	v_cmp_gt_u32_e32 vcc, v6, v9
	v_cndmask_b32_e64 v11, 0, 1, vcc
	v_cmp_le_u32_e32 vcc, v9, v6
	v_cndmask_b32_e64 v9, 0, 1, vcc
	v_cndmask_b32_e64 v9, v9, v11, s[0:1]
	v_and_b32_e32 v9, 1, v9
	v_cmp_eq_u32_e32 vcc, 1, v9
	v_cndmask_b32_e32 v7, v0, v7, vcc
	v_cndmask_b32_e32 v5, v5, v10, vcc
	v_cmp_ge_u32_e32 vcc, v5, v7
	s_or_b64 s[2:3], vcc, s[2:3]
	s_andn2_b64 exec, exec, s[2:3]
	s_cbranch_execnz .LBB481_14
; %bb.15:
	s_or_b64 exec, exec, s[2:3]
.LBB481_16:
	v_add_u32_e32 v0, v5, v4
	v_mov_b32_e32 v1, 0
	v_lshlrev_b64 v[8:9], 2, v[0:1]
	v_mov_b32_e32 v5, s11
	v_add_co_u32_e32 v8, vcc, s10, v8
	v_addc_co_u32_e32 v9, vcc, v5, v9, vcc
	v_lshlrev_b64 v[0:1], 3, v[0:1]
	v_mov_b32_e32 v5, s15
	v_add_co_u32_e32 v0, vcc, s14, v0
	s_waitcnt vmcnt(0)
	global_store_dword v[8:9], v6, off
	v_addc_co_u32_e32 v1, vcc, v5, v1, vcc
	s_or_b64 s[4:5], s[4:5], exec
.LBB481_17:
	s_or_b64 exec, exec, s[6:7]
	s_branch .LBB481_24
.LBB481_18:
                                        ; implicit-def: $vgpr0_vgpr1
	s_cbranch_execz .LBB481_24
; %bb.19:
	s_cmp_ge_u32 s19, s13
	v_mov_b32_e32 v5, s12
	s_cbranch_scc1 .LBB481_23
; %bb.20:
	s_mov_b64 s[2:3], 0
	v_mov_b32_e32 v7, s13
	v_mov_b32_e32 v5, s12
	;; [unrolled: 1-line block ×4, first 2 shown]
.LBB481_21:                             ; =>This Inner Loop Header: Depth=1
	v_add_u32_e32 v0, v5, v7
	v_lshrrev_b32_e32 v0, 1, v0
	v_lshlrev_b64 v[10:11], 2, v[0:1]
	v_add_co_u32_e32 v10, vcc, s8, v10
	v_addc_co_u32_e32 v11, vcc, v8, v11, vcc
	global_load_dword v9, v[10:11], off
	v_add_u32_e32 v10, 1, v0
	s_waitcnt vmcnt(0)
	v_cmp_gt_u32_e32 vcc, v6, v9
	v_cndmask_b32_e64 v11, 0, 1, vcc
	v_cmp_le_u32_e32 vcc, v9, v6
	v_cndmask_b32_e64 v9, 0, 1, vcc
	v_cndmask_b32_e64 v9, v9, v11, s[0:1]
	v_and_b32_e32 v9, 1, v9
	v_cmp_eq_u32_e32 vcc, 1, v9
	v_cndmask_b32_e32 v7, v0, v7, vcc
	v_cndmask_b32_e32 v5, v5, v10, vcc
	v_cmp_ge_u32_e32 vcc, v5, v7
	s_or_b64 s[2:3], vcc, s[2:3]
	s_andn2_b64 exec, exec, s[2:3]
	s_cbranch_execnz .LBB481_21
; %bb.22:
	s_or_b64 exec, exec, s[2:3]
.LBB481_23:
	v_add_u32_e32 v0, v5, v4
	v_mov_b32_e32 v1, 0
	v_lshlrev_b64 v[4:5], 2, v[0:1]
	v_mov_b32_e32 v7, s11
	v_add_co_u32_e32 v4, vcc, s10, v4
	v_addc_co_u32_e32 v5, vcc, v7, v5, vcc
	v_lshlrev_b64 v[0:1], 3, v[0:1]
	s_waitcnt vmcnt(0)
	global_store_dword v[4:5], v6, off
	v_mov_b32_e32 v4, s15
	v_add_co_u32_e32 v0, vcc, s14, v0
	v_addc_co_u32_e32 v1, vcc, v4, v1, vcc
	s_mov_b64 s[4:5], -1
.LBB481_24:
	s_and_b64 exec, exec, s[4:5]
	s_cbranch_execz .LBB481_26
; %bb.25:
	s_waitcnt vmcnt(1)
	global_store_dwordx2 v[0:1], v[2:3], off
.LBB481_26:
	s_endpgm
	.section	.rodata,"a",@progbits
	.p2align	6, 0x0
	.amdhsa_kernel _ZN7rocprim17ROCPRIM_400000_NS6detail17trampoline_kernelINS0_14default_configENS1_38merge_sort_block_merge_config_selectorIjyEEZZNS1_27merge_sort_block_merge_implIS3_PjPyjNS1_19radix_merge_compareILb0ELb0EjNS0_19identity_decomposerEEEEE10hipError_tT0_T1_T2_jT3_P12ihipStream_tbPNSt15iterator_traitsISD_E10value_typeEPNSJ_ISE_E10value_typeEPSF_NS1_7vsmem_tEENKUlT_SD_SE_SF_E_clIS7_S7_S8_S8_EESC_SS_SD_SE_SF_EUlSS_E1_NS1_11comp_targetILNS1_3genE4ELNS1_11target_archE910ELNS1_3gpuE8ELNS1_3repE0EEENS1_36merge_oddeven_config_static_selectorELNS0_4arch9wavefront6targetE1EEEvSE_
		.amdhsa_group_segment_fixed_size 0
		.amdhsa_private_segment_fixed_size 0
		.amdhsa_kernarg_size 48
		.amdhsa_user_sgpr_count 6
		.amdhsa_user_sgpr_private_segment_buffer 1
		.amdhsa_user_sgpr_dispatch_ptr 0
		.amdhsa_user_sgpr_queue_ptr 0
		.amdhsa_user_sgpr_kernarg_segment_ptr 1
		.amdhsa_user_sgpr_dispatch_id 0
		.amdhsa_user_sgpr_flat_scratch_init 0
		.amdhsa_user_sgpr_kernarg_preload_length 0
		.amdhsa_user_sgpr_kernarg_preload_offset 0
		.amdhsa_user_sgpr_private_segment_size 0
		.amdhsa_uses_dynamic_stack 0
		.amdhsa_system_sgpr_private_segment_wavefront_offset 0
		.amdhsa_system_sgpr_workgroup_id_x 1
		.amdhsa_system_sgpr_workgroup_id_y 0
		.amdhsa_system_sgpr_workgroup_id_z 0
		.amdhsa_system_sgpr_workgroup_info 0
		.amdhsa_system_vgpr_workitem_id 0
		.amdhsa_next_free_vgpr 12
		.amdhsa_next_free_sgpr 24
		.amdhsa_accum_offset 12
		.amdhsa_reserve_vcc 1
		.amdhsa_reserve_flat_scratch 0
		.amdhsa_float_round_mode_32 0
		.amdhsa_float_round_mode_16_64 0
		.amdhsa_float_denorm_mode_32 3
		.amdhsa_float_denorm_mode_16_64 3
		.amdhsa_dx10_clamp 1
		.amdhsa_ieee_mode 1
		.amdhsa_fp16_overflow 0
		.amdhsa_tg_split 0
		.amdhsa_exception_fp_ieee_invalid_op 0
		.amdhsa_exception_fp_denorm_src 0
		.amdhsa_exception_fp_ieee_div_zero 0
		.amdhsa_exception_fp_ieee_overflow 0
		.amdhsa_exception_fp_ieee_underflow 0
		.amdhsa_exception_fp_ieee_inexact 0
		.amdhsa_exception_int_div_zero 0
	.end_amdhsa_kernel
	.section	.text._ZN7rocprim17ROCPRIM_400000_NS6detail17trampoline_kernelINS0_14default_configENS1_38merge_sort_block_merge_config_selectorIjyEEZZNS1_27merge_sort_block_merge_implIS3_PjPyjNS1_19radix_merge_compareILb0ELb0EjNS0_19identity_decomposerEEEEE10hipError_tT0_T1_T2_jT3_P12ihipStream_tbPNSt15iterator_traitsISD_E10value_typeEPNSJ_ISE_E10value_typeEPSF_NS1_7vsmem_tEENKUlT_SD_SE_SF_E_clIS7_S7_S8_S8_EESC_SS_SD_SE_SF_EUlSS_E1_NS1_11comp_targetILNS1_3genE4ELNS1_11target_archE910ELNS1_3gpuE8ELNS1_3repE0EEENS1_36merge_oddeven_config_static_selectorELNS0_4arch9wavefront6targetE1EEEvSE_,"axG",@progbits,_ZN7rocprim17ROCPRIM_400000_NS6detail17trampoline_kernelINS0_14default_configENS1_38merge_sort_block_merge_config_selectorIjyEEZZNS1_27merge_sort_block_merge_implIS3_PjPyjNS1_19radix_merge_compareILb0ELb0EjNS0_19identity_decomposerEEEEE10hipError_tT0_T1_T2_jT3_P12ihipStream_tbPNSt15iterator_traitsISD_E10value_typeEPNSJ_ISE_E10value_typeEPSF_NS1_7vsmem_tEENKUlT_SD_SE_SF_E_clIS7_S7_S8_S8_EESC_SS_SD_SE_SF_EUlSS_E1_NS1_11comp_targetILNS1_3genE4ELNS1_11target_archE910ELNS1_3gpuE8ELNS1_3repE0EEENS1_36merge_oddeven_config_static_selectorELNS0_4arch9wavefront6targetE1EEEvSE_,comdat
.Lfunc_end481:
	.size	_ZN7rocprim17ROCPRIM_400000_NS6detail17trampoline_kernelINS0_14default_configENS1_38merge_sort_block_merge_config_selectorIjyEEZZNS1_27merge_sort_block_merge_implIS3_PjPyjNS1_19radix_merge_compareILb0ELb0EjNS0_19identity_decomposerEEEEE10hipError_tT0_T1_T2_jT3_P12ihipStream_tbPNSt15iterator_traitsISD_E10value_typeEPNSJ_ISE_E10value_typeEPSF_NS1_7vsmem_tEENKUlT_SD_SE_SF_E_clIS7_S7_S8_S8_EESC_SS_SD_SE_SF_EUlSS_E1_NS1_11comp_targetILNS1_3genE4ELNS1_11target_archE910ELNS1_3gpuE8ELNS1_3repE0EEENS1_36merge_oddeven_config_static_selectorELNS0_4arch9wavefront6targetE1EEEvSE_, .Lfunc_end481-_ZN7rocprim17ROCPRIM_400000_NS6detail17trampoline_kernelINS0_14default_configENS1_38merge_sort_block_merge_config_selectorIjyEEZZNS1_27merge_sort_block_merge_implIS3_PjPyjNS1_19radix_merge_compareILb0ELb0EjNS0_19identity_decomposerEEEEE10hipError_tT0_T1_T2_jT3_P12ihipStream_tbPNSt15iterator_traitsISD_E10value_typeEPNSJ_ISE_E10value_typeEPSF_NS1_7vsmem_tEENKUlT_SD_SE_SF_E_clIS7_S7_S8_S8_EESC_SS_SD_SE_SF_EUlSS_E1_NS1_11comp_targetILNS1_3genE4ELNS1_11target_archE910ELNS1_3gpuE8ELNS1_3repE0EEENS1_36merge_oddeven_config_static_selectorELNS0_4arch9wavefront6targetE1EEEvSE_
                                        ; -- End function
	.section	.AMDGPU.csdata,"",@progbits
; Kernel info:
; codeLenInByte = 868
; NumSgprs: 28
; NumVgprs: 12
; NumAgprs: 0
; TotalNumVgprs: 12
; ScratchSize: 0
; MemoryBound: 0
; FloatMode: 240
; IeeeMode: 1
; LDSByteSize: 0 bytes/workgroup (compile time only)
; SGPRBlocks: 3
; VGPRBlocks: 1
; NumSGPRsForWavesPerEU: 28
; NumVGPRsForWavesPerEU: 12
; AccumOffset: 12
; Occupancy: 8
; WaveLimiterHint : 0
; COMPUTE_PGM_RSRC2:SCRATCH_EN: 0
; COMPUTE_PGM_RSRC2:USER_SGPR: 6
; COMPUTE_PGM_RSRC2:TRAP_HANDLER: 0
; COMPUTE_PGM_RSRC2:TGID_X_EN: 1
; COMPUTE_PGM_RSRC2:TGID_Y_EN: 0
; COMPUTE_PGM_RSRC2:TGID_Z_EN: 0
; COMPUTE_PGM_RSRC2:TIDIG_COMP_CNT: 0
; COMPUTE_PGM_RSRC3_GFX90A:ACCUM_OFFSET: 2
; COMPUTE_PGM_RSRC3_GFX90A:TG_SPLIT: 0
	.section	.text._ZN7rocprim17ROCPRIM_400000_NS6detail17trampoline_kernelINS0_14default_configENS1_38merge_sort_block_merge_config_selectorIjyEEZZNS1_27merge_sort_block_merge_implIS3_PjPyjNS1_19radix_merge_compareILb0ELb0EjNS0_19identity_decomposerEEEEE10hipError_tT0_T1_T2_jT3_P12ihipStream_tbPNSt15iterator_traitsISD_E10value_typeEPNSJ_ISE_E10value_typeEPSF_NS1_7vsmem_tEENKUlT_SD_SE_SF_E_clIS7_S7_S8_S8_EESC_SS_SD_SE_SF_EUlSS_E1_NS1_11comp_targetILNS1_3genE3ELNS1_11target_archE908ELNS1_3gpuE7ELNS1_3repE0EEENS1_36merge_oddeven_config_static_selectorELNS0_4arch9wavefront6targetE1EEEvSE_,"axG",@progbits,_ZN7rocprim17ROCPRIM_400000_NS6detail17trampoline_kernelINS0_14default_configENS1_38merge_sort_block_merge_config_selectorIjyEEZZNS1_27merge_sort_block_merge_implIS3_PjPyjNS1_19radix_merge_compareILb0ELb0EjNS0_19identity_decomposerEEEEE10hipError_tT0_T1_T2_jT3_P12ihipStream_tbPNSt15iterator_traitsISD_E10value_typeEPNSJ_ISE_E10value_typeEPSF_NS1_7vsmem_tEENKUlT_SD_SE_SF_E_clIS7_S7_S8_S8_EESC_SS_SD_SE_SF_EUlSS_E1_NS1_11comp_targetILNS1_3genE3ELNS1_11target_archE908ELNS1_3gpuE7ELNS1_3repE0EEENS1_36merge_oddeven_config_static_selectorELNS0_4arch9wavefront6targetE1EEEvSE_,comdat
	.protected	_ZN7rocprim17ROCPRIM_400000_NS6detail17trampoline_kernelINS0_14default_configENS1_38merge_sort_block_merge_config_selectorIjyEEZZNS1_27merge_sort_block_merge_implIS3_PjPyjNS1_19radix_merge_compareILb0ELb0EjNS0_19identity_decomposerEEEEE10hipError_tT0_T1_T2_jT3_P12ihipStream_tbPNSt15iterator_traitsISD_E10value_typeEPNSJ_ISE_E10value_typeEPSF_NS1_7vsmem_tEENKUlT_SD_SE_SF_E_clIS7_S7_S8_S8_EESC_SS_SD_SE_SF_EUlSS_E1_NS1_11comp_targetILNS1_3genE3ELNS1_11target_archE908ELNS1_3gpuE7ELNS1_3repE0EEENS1_36merge_oddeven_config_static_selectorELNS0_4arch9wavefront6targetE1EEEvSE_ ; -- Begin function _ZN7rocprim17ROCPRIM_400000_NS6detail17trampoline_kernelINS0_14default_configENS1_38merge_sort_block_merge_config_selectorIjyEEZZNS1_27merge_sort_block_merge_implIS3_PjPyjNS1_19radix_merge_compareILb0ELb0EjNS0_19identity_decomposerEEEEE10hipError_tT0_T1_T2_jT3_P12ihipStream_tbPNSt15iterator_traitsISD_E10value_typeEPNSJ_ISE_E10value_typeEPSF_NS1_7vsmem_tEENKUlT_SD_SE_SF_E_clIS7_S7_S8_S8_EESC_SS_SD_SE_SF_EUlSS_E1_NS1_11comp_targetILNS1_3genE3ELNS1_11target_archE908ELNS1_3gpuE7ELNS1_3repE0EEENS1_36merge_oddeven_config_static_selectorELNS0_4arch9wavefront6targetE1EEEvSE_
	.globl	_ZN7rocprim17ROCPRIM_400000_NS6detail17trampoline_kernelINS0_14default_configENS1_38merge_sort_block_merge_config_selectorIjyEEZZNS1_27merge_sort_block_merge_implIS3_PjPyjNS1_19radix_merge_compareILb0ELb0EjNS0_19identity_decomposerEEEEE10hipError_tT0_T1_T2_jT3_P12ihipStream_tbPNSt15iterator_traitsISD_E10value_typeEPNSJ_ISE_E10value_typeEPSF_NS1_7vsmem_tEENKUlT_SD_SE_SF_E_clIS7_S7_S8_S8_EESC_SS_SD_SE_SF_EUlSS_E1_NS1_11comp_targetILNS1_3genE3ELNS1_11target_archE908ELNS1_3gpuE7ELNS1_3repE0EEENS1_36merge_oddeven_config_static_selectorELNS0_4arch9wavefront6targetE1EEEvSE_
	.p2align	8
	.type	_ZN7rocprim17ROCPRIM_400000_NS6detail17trampoline_kernelINS0_14default_configENS1_38merge_sort_block_merge_config_selectorIjyEEZZNS1_27merge_sort_block_merge_implIS3_PjPyjNS1_19radix_merge_compareILb0ELb0EjNS0_19identity_decomposerEEEEE10hipError_tT0_T1_T2_jT3_P12ihipStream_tbPNSt15iterator_traitsISD_E10value_typeEPNSJ_ISE_E10value_typeEPSF_NS1_7vsmem_tEENKUlT_SD_SE_SF_E_clIS7_S7_S8_S8_EESC_SS_SD_SE_SF_EUlSS_E1_NS1_11comp_targetILNS1_3genE3ELNS1_11target_archE908ELNS1_3gpuE7ELNS1_3repE0EEENS1_36merge_oddeven_config_static_selectorELNS0_4arch9wavefront6targetE1EEEvSE_,@function
_ZN7rocprim17ROCPRIM_400000_NS6detail17trampoline_kernelINS0_14default_configENS1_38merge_sort_block_merge_config_selectorIjyEEZZNS1_27merge_sort_block_merge_implIS3_PjPyjNS1_19radix_merge_compareILb0ELb0EjNS0_19identity_decomposerEEEEE10hipError_tT0_T1_T2_jT3_P12ihipStream_tbPNSt15iterator_traitsISD_E10value_typeEPNSJ_ISE_E10value_typeEPSF_NS1_7vsmem_tEENKUlT_SD_SE_SF_E_clIS7_S7_S8_S8_EESC_SS_SD_SE_SF_EUlSS_E1_NS1_11comp_targetILNS1_3genE3ELNS1_11target_archE908ELNS1_3gpuE7ELNS1_3repE0EEENS1_36merge_oddeven_config_static_selectorELNS0_4arch9wavefront6targetE1EEEvSE_: ; @_ZN7rocprim17ROCPRIM_400000_NS6detail17trampoline_kernelINS0_14default_configENS1_38merge_sort_block_merge_config_selectorIjyEEZZNS1_27merge_sort_block_merge_implIS3_PjPyjNS1_19radix_merge_compareILb0ELb0EjNS0_19identity_decomposerEEEEE10hipError_tT0_T1_T2_jT3_P12ihipStream_tbPNSt15iterator_traitsISD_E10value_typeEPNSJ_ISE_E10value_typeEPSF_NS1_7vsmem_tEENKUlT_SD_SE_SF_E_clIS7_S7_S8_S8_EESC_SS_SD_SE_SF_EUlSS_E1_NS1_11comp_targetILNS1_3genE3ELNS1_11target_archE908ELNS1_3gpuE7ELNS1_3repE0EEENS1_36merge_oddeven_config_static_selectorELNS0_4arch9wavefront6targetE1EEEvSE_
; %bb.0:
	.section	.rodata,"a",@progbits
	.p2align	6, 0x0
	.amdhsa_kernel _ZN7rocprim17ROCPRIM_400000_NS6detail17trampoline_kernelINS0_14default_configENS1_38merge_sort_block_merge_config_selectorIjyEEZZNS1_27merge_sort_block_merge_implIS3_PjPyjNS1_19radix_merge_compareILb0ELb0EjNS0_19identity_decomposerEEEEE10hipError_tT0_T1_T2_jT3_P12ihipStream_tbPNSt15iterator_traitsISD_E10value_typeEPNSJ_ISE_E10value_typeEPSF_NS1_7vsmem_tEENKUlT_SD_SE_SF_E_clIS7_S7_S8_S8_EESC_SS_SD_SE_SF_EUlSS_E1_NS1_11comp_targetILNS1_3genE3ELNS1_11target_archE908ELNS1_3gpuE7ELNS1_3repE0EEENS1_36merge_oddeven_config_static_selectorELNS0_4arch9wavefront6targetE1EEEvSE_
		.amdhsa_group_segment_fixed_size 0
		.amdhsa_private_segment_fixed_size 0
		.amdhsa_kernarg_size 48
		.amdhsa_user_sgpr_count 6
		.amdhsa_user_sgpr_private_segment_buffer 1
		.amdhsa_user_sgpr_dispatch_ptr 0
		.amdhsa_user_sgpr_queue_ptr 0
		.amdhsa_user_sgpr_kernarg_segment_ptr 1
		.amdhsa_user_sgpr_dispatch_id 0
		.amdhsa_user_sgpr_flat_scratch_init 0
		.amdhsa_user_sgpr_kernarg_preload_length 0
		.amdhsa_user_sgpr_kernarg_preload_offset 0
		.amdhsa_user_sgpr_private_segment_size 0
		.amdhsa_uses_dynamic_stack 0
		.amdhsa_system_sgpr_private_segment_wavefront_offset 0
		.amdhsa_system_sgpr_workgroup_id_x 1
		.amdhsa_system_sgpr_workgroup_id_y 0
		.amdhsa_system_sgpr_workgroup_id_z 0
		.amdhsa_system_sgpr_workgroup_info 0
		.amdhsa_system_vgpr_workitem_id 0
		.amdhsa_next_free_vgpr 1
		.amdhsa_next_free_sgpr 0
		.amdhsa_accum_offset 4
		.amdhsa_reserve_vcc 0
		.amdhsa_reserve_flat_scratch 0
		.amdhsa_float_round_mode_32 0
		.amdhsa_float_round_mode_16_64 0
		.amdhsa_float_denorm_mode_32 3
		.amdhsa_float_denorm_mode_16_64 3
		.amdhsa_dx10_clamp 1
		.amdhsa_ieee_mode 1
		.amdhsa_fp16_overflow 0
		.amdhsa_tg_split 0
		.amdhsa_exception_fp_ieee_invalid_op 0
		.amdhsa_exception_fp_denorm_src 0
		.amdhsa_exception_fp_ieee_div_zero 0
		.amdhsa_exception_fp_ieee_overflow 0
		.amdhsa_exception_fp_ieee_underflow 0
		.amdhsa_exception_fp_ieee_inexact 0
		.amdhsa_exception_int_div_zero 0
	.end_amdhsa_kernel
	.section	.text._ZN7rocprim17ROCPRIM_400000_NS6detail17trampoline_kernelINS0_14default_configENS1_38merge_sort_block_merge_config_selectorIjyEEZZNS1_27merge_sort_block_merge_implIS3_PjPyjNS1_19radix_merge_compareILb0ELb0EjNS0_19identity_decomposerEEEEE10hipError_tT0_T1_T2_jT3_P12ihipStream_tbPNSt15iterator_traitsISD_E10value_typeEPNSJ_ISE_E10value_typeEPSF_NS1_7vsmem_tEENKUlT_SD_SE_SF_E_clIS7_S7_S8_S8_EESC_SS_SD_SE_SF_EUlSS_E1_NS1_11comp_targetILNS1_3genE3ELNS1_11target_archE908ELNS1_3gpuE7ELNS1_3repE0EEENS1_36merge_oddeven_config_static_selectorELNS0_4arch9wavefront6targetE1EEEvSE_,"axG",@progbits,_ZN7rocprim17ROCPRIM_400000_NS6detail17trampoline_kernelINS0_14default_configENS1_38merge_sort_block_merge_config_selectorIjyEEZZNS1_27merge_sort_block_merge_implIS3_PjPyjNS1_19radix_merge_compareILb0ELb0EjNS0_19identity_decomposerEEEEE10hipError_tT0_T1_T2_jT3_P12ihipStream_tbPNSt15iterator_traitsISD_E10value_typeEPNSJ_ISE_E10value_typeEPSF_NS1_7vsmem_tEENKUlT_SD_SE_SF_E_clIS7_S7_S8_S8_EESC_SS_SD_SE_SF_EUlSS_E1_NS1_11comp_targetILNS1_3genE3ELNS1_11target_archE908ELNS1_3gpuE7ELNS1_3repE0EEENS1_36merge_oddeven_config_static_selectorELNS0_4arch9wavefront6targetE1EEEvSE_,comdat
.Lfunc_end482:
	.size	_ZN7rocprim17ROCPRIM_400000_NS6detail17trampoline_kernelINS0_14default_configENS1_38merge_sort_block_merge_config_selectorIjyEEZZNS1_27merge_sort_block_merge_implIS3_PjPyjNS1_19radix_merge_compareILb0ELb0EjNS0_19identity_decomposerEEEEE10hipError_tT0_T1_T2_jT3_P12ihipStream_tbPNSt15iterator_traitsISD_E10value_typeEPNSJ_ISE_E10value_typeEPSF_NS1_7vsmem_tEENKUlT_SD_SE_SF_E_clIS7_S7_S8_S8_EESC_SS_SD_SE_SF_EUlSS_E1_NS1_11comp_targetILNS1_3genE3ELNS1_11target_archE908ELNS1_3gpuE7ELNS1_3repE0EEENS1_36merge_oddeven_config_static_selectorELNS0_4arch9wavefront6targetE1EEEvSE_, .Lfunc_end482-_ZN7rocprim17ROCPRIM_400000_NS6detail17trampoline_kernelINS0_14default_configENS1_38merge_sort_block_merge_config_selectorIjyEEZZNS1_27merge_sort_block_merge_implIS3_PjPyjNS1_19radix_merge_compareILb0ELb0EjNS0_19identity_decomposerEEEEE10hipError_tT0_T1_T2_jT3_P12ihipStream_tbPNSt15iterator_traitsISD_E10value_typeEPNSJ_ISE_E10value_typeEPSF_NS1_7vsmem_tEENKUlT_SD_SE_SF_E_clIS7_S7_S8_S8_EESC_SS_SD_SE_SF_EUlSS_E1_NS1_11comp_targetILNS1_3genE3ELNS1_11target_archE908ELNS1_3gpuE7ELNS1_3repE0EEENS1_36merge_oddeven_config_static_selectorELNS0_4arch9wavefront6targetE1EEEvSE_
                                        ; -- End function
	.section	.AMDGPU.csdata,"",@progbits
; Kernel info:
; codeLenInByte = 0
; NumSgprs: 4
; NumVgprs: 0
; NumAgprs: 0
; TotalNumVgprs: 0
; ScratchSize: 0
; MemoryBound: 0
; FloatMode: 240
; IeeeMode: 1
; LDSByteSize: 0 bytes/workgroup (compile time only)
; SGPRBlocks: 0
; VGPRBlocks: 0
; NumSGPRsForWavesPerEU: 4
; NumVGPRsForWavesPerEU: 1
; AccumOffset: 4
; Occupancy: 8
; WaveLimiterHint : 0
; COMPUTE_PGM_RSRC2:SCRATCH_EN: 0
; COMPUTE_PGM_RSRC2:USER_SGPR: 6
; COMPUTE_PGM_RSRC2:TRAP_HANDLER: 0
; COMPUTE_PGM_RSRC2:TGID_X_EN: 1
; COMPUTE_PGM_RSRC2:TGID_Y_EN: 0
; COMPUTE_PGM_RSRC2:TGID_Z_EN: 0
; COMPUTE_PGM_RSRC2:TIDIG_COMP_CNT: 0
; COMPUTE_PGM_RSRC3_GFX90A:ACCUM_OFFSET: 0
; COMPUTE_PGM_RSRC3_GFX90A:TG_SPLIT: 0
	.section	.text._ZN7rocprim17ROCPRIM_400000_NS6detail17trampoline_kernelINS0_14default_configENS1_38merge_sort_block_merge_config_selectorIjyEEZZNS1_27merge_sort_block_merge_implIS3_PjPyjNS1_19radix_merge_compareILb0ELb0EjNS0_19identity_decomposerEEEEE10hipError_tT0_T1_T2_jT3_P12ihipStream_tbPNSt15iterator_traitsISD_E10value_typeEPNSJ_ISE_E10value_typeEPSF_NS1_7vsmem_tEENKUlT_SD_SE_SF_E_clIS7_S7_S8_S8_EESC_SS_SD_SE_SF_EUlSS_E1_NS1_11comp_targetILNS1_3genE2ELNS1_11target_archE906ELNS1_3gpuE6ELNS1_3repE0EEENS1_36merge_oddeven_config_static_selectorELNS0_4arch9wavefront6targetE1EEEvSE_,"axG",@progbits,_ZN7rocprim17ROCPRIM_400000_NS6detail17trampoline_kernelINS0_14default_configENS1_38merge_sort_block_merge_config_selectorIjyEEZZNS1_27merge_sort_block_merge_implIS3_PjPyjNS1_19radix_merge_compareILb0ELb0EjNS0_19identity_decomposerEEEEE10hipError_tT0_T1_T2_jT3_P12ihipStream_tbPNSt15iterator_traitsISD_E10value_typeEPNSJ_ISE_E10value_typeEPSF_NS1_7vsmem_tEENKUlT_SD_SE_SF_E_clIS7_S7_S8_S8_EESC_SS_SD_SE_SF_EUlSS_E1_NS1_11comp_targetILNS1_3genE2ELNS1_11target_archE906ELNS1_3gpuE6ELNS1_3repE0EEENS1_36merge_oddeven_config_static_selectorELNS0_4arch9wavefront6targetE1EEEvSE_,comdat
	.protected	_ZN7rocprim17ROCPRIM_400000_NS6detail17trampoline_kernelINS0_14default_configENS1_38merge_sort_block_merge_config_selectorIjyEEZZNS1_27merge_sort_block_merge_implIS3_PjPyjNS1_19radix_merge_compareILb0ELb0EjNS0_19identity_decomposerEEEEE10hipError_tT0_T1_T2_jT3_P12ihipStream_tbPNSt15iterator_traitsISD_E10value_typeEPNSJ_ISE_E10value_typeEPSF_NS1_7vsmem_tEENKUlT_SD_SE_SF_E_clIS7_S7_S8_S8_EESC_SS_SD_SE_SF_EUlSS_E1_NS1_11comp_targetILNS1_3genE2ELNS1_11target_archE906ELNS1_3gpuE6ELNS1_3repE0EEENS1_36merge_oddeven_config_static_selectorELNS0_4arch9wavefront6targetE1EEEvSE_ ; -- Begin function _ZN7rocprim17ROCPRIM_400000_NS6detail17trampoline_kernelINS0_14default_configENS1_38merge_sort_block_merge_config_selectorIjyEEZZNS1_27merge_sort_block_merge_implIS3_PjPyjNS1_19radix_merge_compareILb0ELb0EjNS0_19identity_decomposerEEEEE10hipError_tT0_T1_T2_jT3_P12ihipStream_tbPNSt15iterator_traitsISD_E10value_typeEPNSJ_ISE_E10value_typeEPSF_NS1_7vsmem_tEENKUlT_SD_SE_SF_E_clIS7_S7_S8_S8_EESC_SS_SD_SE_SF_EUlSS_E1_NS1_11comp_targetILNS1_3genE2ELNS1_11target_archE906ELNS1_3gpuE6ELNS1_3repE0EEENS1_36merge_oddeven_config_static_selectorELNS0_4arch9wavefront6targetE1EEEvSE_
	.globl	_ZN7rocprim17ROCPRIM_400000_NS6detail17trampoline_kernelINS0_14default_configENS1_38merge_sort_block_merge_config_selectorIjyEEZZNS1_27merge_sort_block_merge_implIS3_PjPyjNS1_19radix_merge_compareILb0ELb0EjNS0_19identity_decomposerEEEEE10hipError_tT0_T1_T2_jT3_P12ihipStream_tbPNSt15iterator_traitsISD_E10value_typeEPNSJ_ISE_E10value_typeEPSF_NS1_7vsmem_tEENKUlT_SD_SE_SF_E_clIS7_S7_S8_S8_EESC_SS_SD_SE_SF_EUlSS_E1_NS1_11comp_targetILNS1_3genE2ELNS1_11target_archE906ELNS1_3gpuE6ELNS1_3repE0EEENS1_36merge_oddeven_config_static_selectorELNS0_4arch9wavefront6targetE1EEEvSE_
	.p2align	8
	.type	_ZN7rocprim17ROCPRIM_400000_NS6detail17trampoline_kernelINS0_14default_configENS1_38merge_sort_block_merge_config_selectorIjyEEZZNS1_27merge_sort_block_merge_implIS3_PjPyjNS1_19radix_merge_compareILb0ELb0EjNS0_19identity_decomposerEEEEE10hipError_tT0_T1_T2_jT3_P12ihipStream_tbPNSt15iterator_traitsISD_E10value_typeEPNSJ_ISE_E10value_typeEPSF_NS1_7vsmem_tEENKUlT_SD_SE_SF_E_clIS7_S7_S8_S8_EESC_SS_SD_SE_SF_EUlSS_E1_NS1_11comp_targetILNS1_3genE2ELNS1_11target_archE906ELNS1_3gpuE6ELNS1_3repE0EEENS1_36merge_oddeven_config_static_selectorELNS0_4arch9wavefront6targetE1EEEvSE_,@function
_ZN7rocprim17ROCPRIM_400000_NS6detail17trampoline_kernelINS0_14default_configENS1_38merge_sort_block_merge_config_selectorIjyEEZZNS1_27merge_sort_block_merge_implIS3_PjPyjNS1_19radix_merge_compareILb0ELb0EjNS0_19identity_decomposerEEEEE10hipError_tT0_T1_T2_jT3_P12ihipStream_tbPNSt15iterator_traitsISD_E10value_typeEPNSJ_ISE_E10value_typeEPSF_NS1_7vsmem_tEENKUlT_SD_SE_SF_E_clIS7_S7_S8_S8_EESC_SS_SD_SE_SF_EUlSS_E1_NS1_11comp_targetILNS1_3genE2ELNS1_11target_archE906ELNS1_3gpuE6ELNS1_3repE0EEENS1_36merge_oddeven_config_static_selectorELNS0_4arch9wavefront6targetE1EEEvSE_: ; @_ZN7rocprim17ROCPRIM_400000_NS6detail17trampoline_kernelINS0_14default_configENS1_38merge_sort_block_merge_config_selectorIjyEEZZNS1_27merge_sort_block_merge_implIS3_PjPyjNS1_19radix_merge_compareILb0ELb0EjNS0_19identity_decomposerEEEEE10hipError_tT0_T1_T2_jT3_P12ihipStream_tbPNSt15iterator_traitsISD_E10value_typeEPNSJ_ISE_E10value_typeEPSF_NS1_7vsmem_tEENKUlT_SD_SE_SF_E_clIS7_S7_S8_S8_EESC_SS_SD_SE_SF_EUlSS_E1_NS1_11comp_targetILNS1_3genE2ELNS1_11target_archE906ELNS1_3gpuE6ELNS1_3repE0EEENS1_36merge_oddeven_config_static_selectorELNS0_4arch9wavefront6targetE1EEEvSE_
; %bb.0:
	.section	.rodata,"a",@progbits
	.p2align	6, 0x0
	.amdhsa_kernel _ZN7rocprim17ROCPRIM_400000_NS6detail17trampoline_kernelINS0_14default_configENS1_38merge_sort_block_merge_config_selectorIjyEEZZNS1_27merge_sort_block_merge_implIS3_PjPyjNS1_19radix_merge_compareILb0ELb0EjNS0_19identity_decomposerEEEEE10hipError_tT0_T1_T2_jT3_P12ihipStream_tbPNSt15iterator_traitsISD_E10value_typeEPNSJ_ISE_E10value_typeEPSF_NS1_7vsmem_tEENKUlT_SD_SE_SF_E_clIS7_S7_S8_S8_EESC_SS_SD_SE_SF_EUlSS_E1_NS1_11comp_targetILNS1_3genE2ELNS1_11target_archE906ELNS1_3gpuE6ELNS1_3repE0EEENS1_36merge_oddeven_config_static_selectorELNS0_4arch9wavefront6targetE1EEEvSE_
		.amdhsa_group_segment_fixed_size 0
		.amdhsa_private_segment_fixed_size 0
		.amdhsa_kernarg_size 48
		.amdhsa_user_sgpr_count 6
		.amdhsa_user_sgpr_private_segment_buffer 1
		.amdhsa_user_sgpr_dispatch_ptr 0
		.amdhsa_user_sgpr_queue_ptr 0
		.amdhsa_user_sgpr_kernarg_segment_ptr 1
		.amdhsa_user_sgpr_dispatch_id 0
		.amdhsa_user_sgpr_flat_scratch_init 0
		.amdhsa_user_sgpr_kernarg_preload_length 0
		.amdhsa_user_sgpr_kernarg_preload_offset 0
		.amdhsa_user_sgpr_private_segment_size 0
		.amdhsa_uses_dynamic_stack 0
		.amdhsa_system_sgpr_private_segment_wavefront_offset 0
		.amdhsa_system_sgpr_workgroup_id_x 1
		.amdhsa_system_sgpr_workgroup_id_y 0
		.amdhsa_system_sgpr_workgroup_id_z 0
		.amdhsa_system_sgpr_workgroup_info 0
		.amdhsa_system_vgpr_workitem_id 0
		.amdhsa_next_free_vgpr 1
		.amdhsa_next_free_sgpr 0
		.amdhsa_accum_offset 4
		.amdhsa_reserve_vcc 0
		.amdhsa_reserve_flat_scratch 0
		.amdhsa_float_round_mode_32 0
		.amdhsa_float_round_mode_16_64 0
		.amdhsa_float_denorm_mode_32 3
		.amdhsa_float_denorm_mode_16_64 3
		.amdhsa_dx10_clamp 1
		.amdhsa_ieee_mode 1
		.amdhsa_fp16_overflow 0
		.amdhsa_tg_split 0
		.amdhsa_exception_fp_ieee_invalid_op 0
		.amdhsa_exception_fp_denorm_src 0
		.amdhsa_exception_fp_ieee_div_zero 0
		.amdhsa_exception_fp_ieee_overflow 0
		.amdhsa_exception_fp_ieee_underflow 0
		.amdhsa_exception_fp_ieee_inexact 0
		.amdhsa_exception_int_div_zero 0
	.end_amdhsa_kernel
	.section	.text._ZN7rocprim17ROCPRIM_400000_NS6detail17trampoline_kernelINS0_14default_configENS1_38merge_sort_block_merge_config_selectorIjyEEZZNS1_27merge_sort_block_merge_implIS3_PjPyjNS1_19radix_merge_compareILb0ELb0EjNS0_19identity_decomposerEEEEE10hipError_tT0_T1_T2_jT3_P12ihipStream_tbPNSt15iterator_traitsISD_E10value_typeEPNSJ_ISE_E10value_typeEPSF_NS1_7vsmem_tEENKUlT_SD_SE_SF_E_clIS7_S7_S8_S8_EESC_SS_SD_SE_SF_EUlSS_E1_NS1_11comp_targetILNS1_3genE2ELNS1_11target_archE906ELNS1_3gpuE6ELNS1_3repE0EEENS1_36merge_oddeven_config_static_selectorELNS0_4arch9wavefront6targetE1EEEvSE_,"axG",@progbits,_ZN7rocprim17ROCPRIM_400000_NS6detail17trampoline_kernelINS0_14default_configENS1_38merge_sort_block_merge_config_selectorIjyEEZZNS1_27merge_sort_block_merge_implIS3_PjPyjNS1_19radix_merge_compareILb0ELb0EjNS0_19identity_decomposerEEEEE10hipError_tT0_T1_T2_jT3_P12ihipStream_tbPNSt15iterator_traitsISD_E10value_typeEPNSJ_ISE_E10value_typeEPSF_NS1_7vsmem_tEENKUlT_SD_SE_SF_E_clIS7_S7_S8_S8_EESC_SS_SD_SE_SF_EUlSS_E1_NS1_11comp_targetILNS1_3genE2ELNS1_11target_archE906ELNS1_3gpuE6ELNS1_3repE0EEENS1_36merge_oddeven_config_static_selectorELNS0_4arch9wavefront6targetE1EEEvSE_,comdat
.Lfunc_end483:
	.size	_ZN7rocprim17ROCPRIM_400000_NS6detail17trampoline_kernelINS0_14default_configENS1_38merge_sort_block_merge_config_selectorIjyEEZZNS1_27merge_sort_block_merge_implIS3_PjPyjNS1_19radix_merge_compareILb0ELb0EjNS0_19identity_decomposerEEEEE10hipError_tT0_T1_T2_jT3_P12ihipStream_tbPNSt15iterator_traitsISD_E10value_typeEPNSJ_ISE_E10value_typeEPSF_NS1_7vsmem_tEENKUlT_SD_SE_SF_E_clIS7_S7_S8_S8_EESC_SS_SD_SE_SF_EUlSS_E1_NS1_11comp_targetILNS1_3genE2ELNS1_11target_archE906ELNS1_3gpuE6ELNS1_3repE0EEENS1_36merge_oddeven_config_static_selectorELNS0_4arch9wavefront6targetE1EEEvSE_, .Lfunc_end483-_ZN7rocprim17ROCPRIM_400000_NS6detail17trampoline_kernelINS0_14default_configENS1_38merge_sort_block_merge_config_selectorIjyEEZZNS1_27merge_sort_block_merge_implIS3_PjPyjNS1_19radix_merge_compareILb0ELb0EjNS0_19identity_decomposerEEEEE10hipError_tT0_T1_T2_jT3_P12ihipStream_tbPNSt15iterator_traitsISD_E10value_typeEPNSJ_ISE_E10value_typeEPSF_NS1_7vsmem_tEENKUlT_SD_SE_SF_E_clIS7_S7_S8_S8_EESC_SS_SD_SE_SF_EUlSS_E1_NS1_11comp_targetILNS1_3genE2ELNS1_11target_archE906ELNS1_3gpuE6ELNS1_3repE0EEENS1_36merge_oddeven_config_static_selectorELNS0_4arch9wavefront6targetE1EEEvSE_
                                        ; -- End function
	.section	.AMDGPU.csdata,"",@progbits
; Kernel info:
; codeLenInByte = 0
; NumSgprs: 4
; NumVgprs: 0
; NumAgprs: 0
; TotalNumVgprs: 0
; ScratchSize: 0
; MemoryBound: 0
; FloatMode: 240
; IeeeMode: 1
; LDSByteSize: 0 bytes/workgroup (compile time only)
; SGPRBlocks: 0
; VGPRBlocks: 0
; NumSGPRsForWavesPerEU: 4
; NumVGPRsForWavesPerEU: 1
; AccumOffset: 4
; Occupancy: 8
; WaveLimiterHint : 0
; COMPUTE_PGM_RSRC2:SCRATCH_EN: 0
; COMPUTE_PGM_RSRC2:USER_SGPR: 6
; COMPUTE_PGM_RSRC2:TRAP_HANDLER: 0
; COMPUTE_PGM_RSRC2:TGID_X_EN: 1
; COMPUTE_PGM_RSRC2:TGID_Y_EN: 0
; COMPUTE_PGM_RSRC2:TGID_Z_EN: 0
; COMPUTE_PGM_RSRC2:TIDIG_COMP_CNT: 0
; COMPUTE_PGM_RSRC3_GFX90A:ACCUM_OFFSET: 0
; COMPUTE_PGM_RSRC3_GFX90A:TG_SPLIT: 0
	.section	.text._ZN7rocprim17ROCPRIM_400000_NS6detail17trampoline_kernelINS0_14default_configENS1_38merge_sort_block_merge_config_selectorIjyEEZZNS1_27merge_sort_block_merge_implIS3_PjPyjNS1_19radix_merge_compareILb0ELb0EjNS0_19identity_decomposerEEEEE10hipError_tT0_T1_T2_jT3_P12ihipStream_tbPNSt15iterator_traitsISD_E10value_typeEPNSJ_ISE_E10value_typeEPSF_NS1_7vsmem_tEENKUlT_SD_SE_SF_E_clIS7_S7_S8_S8_EESC_SS_SD_SE_SF_EUlSS_E1_NS1_11comp_targetILNS1_3genE9ELNS1_11target_archE1100ELNS1_3gpuE3ELNS1_3repE0EEENS1_36merge_oddeven_config_static_selectorELNS0_4arch9wavefront6targetE1EEEvSE_,"axG",@progbits,_ZN7rocprim17ROCPRIM_400000_NS6detail17trampoline_kernelINS0_14default_configENS1_38merge_sort_block_merge_config_selectorIjyEEZZNS1_27merge_sort_block_merge_implIS3_PjPyjNS1_19radix_merge_compareILb0ELb0EjNS0_19identity_decomposerEEEEE10hipError_tT0_T1_T2_jT3_P12ihipStream_tbPNSt15iterator_traitsISD_E10value_typeEPNSJ_ISE_E10value_typeEPSF_NS1_7vsmem_tEENKUlT_SD_SE_SF_E_clIS7_S7_S8_S8_EESC_SS_SD_SE_SF_EUlSS_E1_NS1_11comp_targetILNS1_3genE9ELNS1_11target_archE1100ELNS1_3gpuE3ELNS1_3repE0EEENS1_36merge_oddeven_config_static_selectorELNS0_4arch9wavefront6targetE1EEEvSE_,comdat
	.protected	_ZN7rocprim17ROCPRIM_400000_NS6detail17trampoline_kernelINS0_14default_configENS1_38merge_sort_block_merge_config_selectorIjyEEZZNS1_27merge_sort_block_merge_implIS3_PjPyjNS1_19radix_merge_compareILb0ELb0EjNS0_19identity_decomposerEEEEE10hipError_tT0_T1_T2_jT3_P12ihipStream_tbPNSt15iterator_traitsISD_E10value_typeEPNSJ_ISE_E10value_typeEPSF_NS1_7vsmem_tEENKUlT_SD_SE_SF_E_clIS7_S7_S8_S8_EESC_SS_SD_SE_SF_EUlSS_E1_NS1_11comp_targetILNS1_3genE9ELNS1_11target_archE1100ELNS1_3gpuE3ELNS1_3repE0EEENS1_36merge_oddeven_config_static_selectorELNS0_4arch9wavefront6targetE1EEEvSE_ ; -- Begin function _ZN7rocprim17ROCPRIM_400000_NS6detail17trampoline_kernelINS0_14default_configENS1_38merge_sort_block_merge_config_selectorIjyEEZZNS1_27merge_sort_block_merge_implIS3_PjPyjNS1_19radix_merge_compareILb0ELb0EjNS0_19identity_decomposerEEEEE10hipError_tT0_T1_T2_jT3_P12ihipStream_tbPNSt15iterator_traitsISD_E10value_typeEPNSJ_ISE_E10value_typeEPSF_NS1_7vsmem_tEENKUlT_SD_SE_SF_E_clIS7_S7_S8_S8_EESC_SS_SD_SE_SF_EUlSS_E1_NS1_11comp_targetILNS1_3genE9ELNS1_11target_archE1100ELNS1_3gpuE3ELNS1_3repE0EEENS1_36merge_oddeven_config_static_selectorELNS0_4arch9wavefront6targetE1EEEvSE_
	.globl	_ZN7rocprim17ROCPRIM_400000_NS6detail17trampoline_kernelINS0_14default_configENS1_38merge_sort_block_merge_config_selectorIjyEEZZNS1_27merge_sort_block_merge_implIS3_PjPyjNS1_19radix_merge_compareILb0ELb0EjNS0_19identity_decomposerEEEEE10hipError_tT0_T1_T2_jT3_P12ihipStream_tbPNSt15iterator_traitsISD_E10value_typeEPNSJ_ISE_E10value_typeEPSF_NS1_7vsmem_tEENKUlT_SD_SE_SF_E_clIS7_S7_S8_S8_EESC_SS_SD_SE_SF_EUlSS_E1_NS1_11comp_targetILNS1_3genE9ELNS1_11target_archE1100ELNS1_3gpuE3ELNS1_3repE0EEENS1_36merge_oddeven_config_static_selectorELNS0_4arch9wavefront6targetE1EEEvSE_
	.p2align	8
	.type	_ZN7rocprim17ROCPRIM_400000_NS6detail17trampoline_kernelINS0_14default_configENS1_38merge_sort_block_merge_config_selectorIjyEEZZNS1_27merge_sort_block_merge_implIS3_PjPyjNS1_19radix_merge_compareILb0ELb0EjNS0_19identity_decomposerEEEEE10hipError_tT0_T1_T2_jT3_P12ihipStream_tbPNSt15iterator_traitsISD_E10value_typeEPNSJ_ISE_E10value_typeEPSF_NS1_7vsmem_tEENKUlT_SD_SE_SF_E_clIS7_S7_S8_S8_EESC_SS_SD_SE_SF_EUlSS_E1_NS1_11comp_targetILNS1_3genE9ELNS1_11target_archE1100ELNS1_3gpuE3ELNS1_3repE0EEENS1_36merge_oddeven_config_static_selectorELNS0_4arch9wavefront6targetE1EEEvSE_,@function
_ZN7rocprim17ROCPRIM_400000_NS6detail17trampoline_kernelINS0_14default_configENS1_38merge_sort_block_merge_config_selectorIjyEEZZNS1_27merge_sort_block_merge_implIS3_PjPyjNS1_19radix_merge_compareILb0ELb0EjNS0_19identity_decomposerEEEEE10hipError_tT0_T1_T2_jT3_P12ihipStream_tbPNSt15iterator_traitsISD_E10value_typeEPNSJ_ISE_E10value_typeEPSF_NS1_7vsmem_tEENKUlT_SD_SE_SF_E_clIS7_S7_S8_S8_EESC_SS_SD_SE_SF_EUlSS_E1_NS1_11comp_targetILNS1_3genE9ELNS1_11target_archE1100ELNS1_3gpuE3ELNS1_3repE0EEENS1_36merge_oddeven_config_static_selectorELNS0_4arch9wavefront6targetE1EEEvSE_: ; @_ZN7rocprim17ROCPRIM_400000_NS6detail17trampoline_kernelINS0_14default_configENS1_38merge_sort_block_merge_config_selectorIjyEEZZNS1_27merge_sort_block_merge_implIS3_PjPyjNS1_19radix_merge_compareILb0ELb0EjNS0_19identity_decomposerEEEEE10hipError_tT0_T1_T2_jT3_P12ihipStream_tbPNSt15iterator_traitsISD_E10value_typeEPNSJ_ISE_E10value_typeEPSF_NS1_7vsmem_tEENKUlT_SD_SE_SF_E_clIS7_S7_S8_S8_EESC_SS_SD_SE_SF_EUlSS_E1_NS1_11comp_targetILNS1_3genE9ELNS1_11target_archE1100ELNS1_3gpuE3ELNS1_3repE0EEENS1_36merge_oddeven_config_static_selectorELNS0_4arch9wavefront6targetE1EEEvSE_
; %bb.0:
	.section	.rodata,"a",@progbits
	.p2align	6, 0x0
	.amdhsa_kernel _ZN7rocprim17ROCPRIM_400000_NS6detail17trampoline_kernelINS0_14default_configENS1_38merge_sort_block_merge_config_selectorIjyEEZZNS1_27merge_sort_block_merge_implIS3_PjPyjNS1_19radix_merge_compareILb0ELb0EjNS0_19identity_decomposerEEEEE10hipError_tT0_T1_T2_jT3_P12ihipStream_tbPNSt15iterator_traitsISD_E10value_typeEPNSJ_ISE_E10value_typeEPSF_NS1_7vsmem_tEENKUlT_SD_SE_SF_E_clIS7_S7_S8_S8_EESC_SS_SD_SE_SF_EUlSS_E1_NS1_11comp_targetILNS1_3genE9ELNS1_11target_archE1100ELNS1_3gpuE3ELNS1_3repE0EEENS1_36merge_oddeven_config_static_selectorELNS0_4arch9wavefront6targetE1EEEvSE_
		.amdhsa_group_segment_fixed_size 0
		.amdhsa_private_segment_fixed_size 0
		.amdhsa_kernarg_size 48
		.amdhsa_user_sgpr_count 6
		.amdhsa_user_sgpr_private_segment_buffer 1
		.amdhsa_user_sgpr_dispatch_ptr 0
		.amdhsa_user_sgpr_queue_ptr 0
		.amdhsa_user_sgpr_kernarg_segment_ptr 1
		.amdhsa_user_sgpr_dispatch_id 0
		.amdhsa_user_sgpr_flat_scratch_init 0
		.amdhsa_user_sgpr_kernarg_preload_length 0
		.amdhsa_user_sgpr_kernarg_preload_offset 0
		.amdhsa_user_sgpr_private_segment_size 0
		.amdhsa_uses_dynamic_stack 0
		.amdhsa_system_sgpr_private_segment_wavefront_offset 0
		.amdhsa_system_sgpr_workgroup_id_x 1
		.amdhsa_system_sgpr_workgroup_id_y 0
		.amdhsa_system_sgpr_workgroup_id_z 0
		.amdhsa_system_sgpr_workgroup_info 0
		.amdhsa_system_vgpr_workitem_id 0
		.amdhsa_next_free_vgpr 1
		.amdhsa_next_free_sgpr 0
		.amdhsa_accum_offset 4
		.amdhsa_reserve_vcc 0
		.amdhsa_reserve_flat_scratch 0
		.amdhsa_float_round_mode_32 0
		.amdhsa_float_round_mode_16_64 0
		.amdhsa_float_denorm_mode_32 3
		.amdhsa_float_denorm_mode_16_64 3
		.amdhsa_dx10_clamp 1
		.amdhsa_ieee_mode 1
		.amdhsa_fp16_overflow 0
		.amdhsa_tg_split 0
		.amdhsa_exception_fp_ieee_invalid_op 0
		.amdhsa_exception_fp_denorm_src 0
		.amdhsa_exception_fp_ieee_div_zero 0
		.amdhsa_exception_fp_ieee_overflow 0
		.amdhsa_exception_fp_ieee_underflow 0
		.amdhsa_exception_fp_ieee_inexact 0
		.amdhsa_exception_int_div_zero 0
	.end_amdhsa_kernel
	.section	.text._ZN7rocprim17ROCPRIM_400000_NS6detail17trampoline_kernelINS0_14default_configENS1_38merge_sort_block_merge_config_selectorIjyEEZZNS1_27merge_sort_block_merge_implIS3_PjPyjNS1_19radix_merge_compareILb0ELb0EjNS0_19identity_decomposerEEEEE10hipError_tT0_T1_T2_jT3_P12ihipStream_tbPNSt15iterator_traitsISD_E10value_typeEPNSJ_ISE_E10value_typeEPSF_NS1_7vsmem_tEENKUlT_SD_SE_SF_E_clIS7_S7_S8_S8_EESC_SS_SD_SE_SF_EUlSS_E1_NS1_11comp_targetILNS1_3genE9ELNS1_11target_archE1100ELNS1_3gpuE3ELNS1_3repE0EEENS1_36merge_oddeven_config_static_selectorELNS0_4arch9wavefront6targetE1EEEvSE_,"axG",@progbits,_ZN7rocprim17ROCPRIM_400000_NS6detail17trampoline_kernelINS0_14default_configENS1_38merge_sort_block_merge_config_selectorIjyEEZZNS1_27merge_sort_block_merge_implIS3_PjPyjNS1_19radix_merge_compareILb0ELb0EjNS0_19identity_decomposerEEEEE10hipError_tT0_T1_T2_jT3_P12ihipStream_tbPNSt15iterator_traitsISD_E10value_typeEPNSJ_ISE_E10value_typeEPSF_NS1_7vsmem_tEENKUlT_SD_SE_SF_E_clIS7_S7_S8_S8_EESC_SS_SD_SE_SF_EUlSS_E1_NS1_11comp_targetILNS1_3genE9ELNS1_11target_archE1100ELNS1_3gpuE3ELNS1_3repE0EEENS1_36merge_oddeven_config_static_selectorELNS0_4arch9wavefront6targetE1EEEvSE_,comdat
.Lfunc_end484:
	.size	_ZN7rocprim17ROCPRIM_400000_NS6detail17trampoline_kernelINS0_14default_configENS1_38merge_sort_block_merge_config_selectorIjyEEZZNS1_27merge_sort_block_merge_implIS3_PjPyjNS1_19radix_merge_compareILb0ELb0EjNS0_19identity_decomposerEEEEE10hipError_tT0_T1_T2_jT3_P12ihipStream_tbPNSt15iterator_traitsISD_E10value_typeEPNSJ_ISE_E10value_typeEPSF_NS1_7vsmem_tEENKUlT_SD_SE_SF_E_clIS7_S7_S8_S8_EESC_SS_SD_SE_SF_EUlSS_E1_NS1_11comp_targetILNS1_3genE9ELNS1_11target_archE1100ELNS1_3gpuE3ELNS1_3repE0EEENS1_36merge_oddeven_config_static_selectorELNS0_4arch9wavefront6targetE1EEEvSE_, .Lfunc_end484-_ZN7rocprim17ROCPRIM_400000_NS6detail17trampoline_kernelINS0_14default_configENS1_38merge_sort_block_merge_config_selectorIjyEEZZNS1_27merge_sort_block_merge_implIS3_PjPyjNS1_19radix_merge_compareILb0ELb0EjNS0_19identity_decomposerEEEEE10hipError_tT0_T1_T2_jT3_P12ihipStream_tbPNSt15iterator_traitsISD_E10value_typeEPNSJ_ISE_E10value_typeEPSF_NS1_7vsmem_tEENKUlT_SD_SE_SF_E_clIS7_S7_S8_S8_EESC_SS_SD_SE_SF_EUlSS_E1_NS1_11comp_targetILNS1_3genE9ELNS1_11target_archE1100ELNS1_3gpuE3ELNS1_3repE0EEENS1_36merge_oddeven_config_static_selectorELNS0_4arch9wavefront6targetE1EEEvSE_
                                        ; -- End function
	.section	.AMDGPU.csdata,"",@progbits
; Kernel info:
; codeLenInByte = 0
; NumSgprs: 4
; NumVgprs: 0
; NumAgprs: 0
; TotalNumVgprs: 0
; ScratchSize: 0
; MemoryBound: 0
; FloatMode: 240
; IeeeMode: 1
; LDSByteSize: 0 bytes/workgroup (compile time only)
; SGPRBlocks: 0
; VGPRBlocks: 0
; NumSGPRsForWavesPerEU: 4
; NumVGPRsForWavesPerEU: 1
; AccumOffset: 4
; Occupancy: 8
; WaveLimiterHint : 0
; COMPUTE_PGM_RSRC2:SCRATCH_EN: 0
; COMPUTE_PGM_RSRC2:USER_SGPR: 6
; COMPUTE_PGM_RSRC2:TRAP_HANDLER: 0
; COMPUTE_PGM_RSRC2:TGID_X_EN: 1
; COMPUTE_PGM_RSRC2:TGID_Y_EN: 0
; COMPUTE_PGM_RSRC2:TGID_Z_EN: 0
; COMPUTE_PGM_RSRC2:TIDIG_COMP_CNT: 0
; COMPUTE_PGM_RSRC3_GFX90A:ACCUM_OFFSET: 0
; COMPUTE_PGM_RSRC3_GFX90A:TG_SPLIT: 0
	.section	.text._ZN7rocprim17ROCPRIM_400000_NS6detail17trampoline_kernelINS0_14default_configENS1_38merge_sort_block_merge_config_selectorIjyEEZZNS1_27merge_sort_block_merge_implIS3_PjPyjNS1_19radix_merge_compareILb0ELb0EjNS0_19identity_decomposerEEEEE10hipError_tT0_T1_T2_jT3_P12ihipStream_tbPNSt15iterator_traitsISD_E10value_typeEPNSJ_ISE_E10value_typeEPSF_NS1_7vsmem_tEENKUlT_SD_SE_SF_E_clIS7_S7_S8_S8_EESC_SS_SD_SE_SF_EUlSS_E1_NS1_11comp_targetILNS1_3genE8ELNS1_11target_archE1030ELNS1_3gpuE2ELNS1_3repE0EEENS1_36merge_oddeven_config_static_selectorELNS0_4arch9wavefront6targetE1EEEvSE_,"axG",@progbits,_ZN7rocprim17ROCPRIM_400000_NS6detail17trampoline_kernelINS0_14default_configENS1_38merge_sort_block_merge_config_selectorIjyEEZZNS1_27merge_sort_block_merge_implIS3_PjPyjNS1_19radix_merge_compareILb0ELb0EjNS0_19identity_decomposerEEEEE10hipError_tT0_T1_T2_jT3_P12ihipStream_tbPNSt15iterator_traitsISD_E10value_typeEPNSJ_ISE_E10value_typeEPSF_NS1_7vsmem_tEENKUlT_SD_SE_SF_E_clIS7_S7_S8_S8_EESC_SS_SD_SE_SF_EUlSS_E1_NS1_11comp_targetILNS1_3genE8ELNS1_11target_archE1030ELNS1_3gpuE2ELNS1_3repE0EEENS1_36merge_oddeven_config_static_selectorELNS0_4arch9wavefront6targetE1EEEvSE_,comdat
	.protected	_ZN7rocprim17ROCPRIM_400000_NS6detail17trampoline_kernelINS0_14default_configENS1_38merge_sort_block_merge_config_selectorIjyEEZZNS1_27merge_sort_block_merge_implIS3_PjPyjNS1_19radix_merge_compareILb0ELb0EjNS0_19identity_decomposerEEEEE10hipError_tT0_T1_T2_jT3_P12ihipStream_tbPNSt15iterator_traitsISD_E10value_typeEPNSJ_ISE_E10value_typeEPSF_NS1_7vsmem_tEENKUlT_SD_SE_SF_E_clIS7_S7_S8_S8_EESC_SS_SD_SE_SF_EUlSS_E1_NS1_11comp_targetILNS1_3genE8ELNS1_11target_archE1030ELNS1_3gpuE2ELNS1_3repE0EEENS1_36merge_oddeven_config_static_selectorELNS0_4arch9wavefront6targetE1EEEvSE_ ; -- Begin function _ZN7rocprim17ROCPRIM_400000_NS6detail17trampoline_kernelINS0_14default_configENS1_38merge_sort_block_merge_config_selectorIjyEEZZNS1_27merge_sort_block_merge_implIS3_PjPyjNS1_19radix_merge_compareILb0ELb0EjNS0_19identity_decomposerEEEEE10hipError_tT0_T1_T2_jT3_P12ihipStream_tbPNSt15iterator_traitsISD_E10value_typeEPNSJ_ISE_E10value_typeEPSF_NS1_7vsmem_tEENKUlT_SD_SE_SF_E_clIS7_S7_S8_S8_EESC_SS_SD_SE_SF_EUlSS_E1_NS1_11comp_targetILNS1_3genE8ELNS1_11target_archE1030ELNS1_3gpuE2ELNS1_3repE0EEENS1_36merge_oddeven_config_static_selectorELNS0_4arch9wavefront6targetE1EEEvSE_
	.globl	_ZN7rocprim17ROCPRIM_400000_NS6detail17trampoline_kernelINS0_14default_configENS1_38merge_sort_block_merge_config_selectorIjyEEZZNS1_27merge_sort_block_merge_implIS3_PjPyjNS1_19radix_merge_compareILb0ELb0EjNS0_19identity_decomposerEEEEE10hipError_tT0_T1_T2_jT3_P12ihipStream_tbPNSt15iterator_traitsISD_E10value_typeEPNSJ_ISE_E10value_typeEPSF_NS1_7vsmem_tEENKUlT_SD_SE_SF_E_clIS7_S7_S8_S8_EESC_SS_SD_SE_SF_EUlSS_E1_NS1_11comp_targetILNS1_3genE8ELNS1_11target_archE1030ELNS1_3gpuE2ELNS1_3repE0EEENS1_36merge_oddeven_config_static_selectorELNS0_4arch9wavefront6targetE1EEEvSE_
	.p2align	8
	.type	_ZN7rocprim17ROCPRIM_400000_NS6detail17trampoline_kernelINS0_14default_configENS1_38merge_sort_block_merge_config_selectorIjyEEZZNS1_27merge_sort_block_merge_implIS3_PjPyjNS1_19radix_merge_compareILb0ELb0EjNS0_19identity_decomposerEEEEE10hipError_tT0_T1_T2_jT3_P12ihipStream_tbPNSt15iterator_traitsISD_E10value_typeEPNSJ_ISE_E10value_typeEPSF_NS1_7vsmem_tEENKUlT_SD_SE_SF_E_clIS7_S7_S8_S8_EESC_SS_SD_SE_SF_EUlSS_E1_NS1_11comp_targetILNS1_3genE8ELNS1_11target_archE1030ELNS1_3gpuE2ELNS1_3repE0EEENS1_36merge_oddeven_config_static_selectorELNS0_4arch9wavefront6targetE1EEEvSE_,@function
_ZN7rocprim17ROCPRIM_400000_NS6detail17trampoline_kernelINS0_14default_configENS1_38merge_sort_block_merge_config_selectorIjyEEZZNS1_27merge_sort_block_merge_implIS3_PjPyjNS1_19radix_merge_compareILb0ELb0EjNS0_19identity_decomposerEEEEE10hipError_tT0_T1_T2_jT3_P12ihipStream_tbPNSt15iterator_traitsISD_E10value_typeEPNSJ_ISE_E10value_typeEPSF_NS1_7vsmem_tEENKUlT_SD_SE_SF_E_clIS7_S7_S8_S8_EESC_SS_SD_SE_SF_EUlSS_E1_NS1_11comp_targetILNS1_3genE8ELNS1_11target_archE1030ELNS1_3gpuE2ELNS1_3repE0EEENS1_36merge_oddeven_config_static_selectorELNS0_4arch9wavefront6targetE1EEEvSE_: ; @_ZN7rocprim17ROCPRIM_400000_NS6detail17trampoline_kernelINS0_14default_configENS1_38merge_sort_block_merge_config_selectorIjyEEZZNS1_27merge_sort_block_merge_implIS3_PjPyjNS1_19radix_merge_compareILb0ELb0EjNS0_19identity_decomposerEEEEE10hipError_tT0_T1_T2_jT3_P12ihipStream_tbPNSt15iterator_traitsISD_E10value_typeEPNSJ_ISE_E10value_typeEPSF_NS1_7vsmem_tEENKUlT_SD_SE_SF_E_clIS7_S7_S8_S8_EESC_SS_SD_SE_SF_EUlSS_E1_NS1_11comp_targetILNS1_3genE8ELNS1_11target_archE1030ELNS1_3gpuE2ELNS1_3repE0EEENS1_36merge_oddeven_config_static_selectorELNS0_4arch9wavefront6targetE1EEEvSE_
; %bb.0:
	.section	.rodata,"a",@progbits
	.p2align	6, 0x0
	.amdhsa_kernel _ZN7rocprim17ROCPRIM_400000_NS6detail17trampoline_kernelINS0_14default_configENS1_38merge_sort_block_merge_config_selectorIjyEEZZNS1_27merge_sort_block_merge_implIS3_PjPyjNS1_19radix_merge_compareILb0ELb0EjNS0_19identity_decomposerEEEEE10hipError_tT0_T1_T2_jT3_P12ihipStream_tbPNSt15iterator_traitsISD_E10value_typeEPNSJ_ISE_E10value_typeEPSF_NS1_7vsmem_tEENKUlT_SD_SE_SF_E_clIS7_S7_S8_S8_EESC_SS_SD_SE_SF_EUlSS_E1_NS1_11comp_targetILNS1_3genE8ELNS1_11target_archE1030ELNS1_3gpuE2ELNS1_3repE0EEENS1_36merge_oddeven_config_static_selectorELNS0_4arch9wavefront6targetE1EEEvSE_
		.amdhsa_group_segment_fixed_size 0
		.amdhsa_private_segment_fixed_size 0
		.amdhsa_kernarg_size 48
		.amdhsa_user_sgpr_count 6
		.amdhsa_user_sgpr_private_segment_buffer 1
		.amdhsa_user_sgpr_dispatch_ptr 0
		.amdhsa_user_sgpr_queue_ptr 0
		.amdhsa_user_sgpr_kernarg_segment_ptr 1
		.amdhsa_user_sgpr_dispatch_id 0
		.amdhsa_user_sgpr_flat_scratch_init 0
		.amdhsa_user_sgpr_kernarg_preload_length 0
		.amdhsa_user_sgpr_kernarg_preload_offset 0
		.amdhsa_user_sgpr_private_segment_size 0
		.amdhsa_uses_dynamic_stack 0
		.amdhsa_system_sgpr_private_segment_wavefront_offset 0
		.amdhsa_system_sgpr_workgroup_id_x 1
		.amdhsa_system_sgpr_workgroup_id_y 0
		.amdhsa_system_sgpr_workgroup_id_z 0
		.amdhsa_system_sgpr_workgroup_info 0
		.amdhsa_system_vgpr_workitem_id 0
		.amdhsa_next_free_vgpr 1
		.amdhsa_next_free_sgpr 0
		.amdhsa_accum_offset 4
		.amdhsa_reserve_vcc 0
		.amdhsa_reserve_flat_scratch 0
		.amdhsa_float_round_mode_32 0
		.amdhsa_float_round_mode_16_64 0
		.amdhsa_float_denorm_mode_32 3
		.amdhsa_float_denorm_mode_16_64 3
		.amdhsa_dx10_clamp 1
		.amdhsa_ieee_mode 1
		.amdhsa_fp16_overflow 0
		.amdhsa_tg_split 0
		.amdhsa_exception_fp_ieee_invalid_op 0
		.amdhsa_exception_fp_denorm_src 0
		.amdhsa_exception_fp_ieee_div_zero 0
		.amdhsa_exception_fp_ieee_overflow 0
		.amdhsa_exception_fp_ieee_underflow 0
		.amdhsa_exception_fp_ieee_inexact 0
		.amdhsa_exception_int_div_zero 0
	.end_amdhsa_kernel
	.section	.text._ZN7rocprim17ROCPRIM_400000_NS6detail17trampoline_kernelINS0_14default_configENS1_38merge_sort_block_merge_config_selectorIjyEEZZNS1_27merge_sort_block_merge_implIS3_PjPyjNS1_19radix_merge_compareILb0ELb0EjNS0_19identity_decomposerEEEEE10hipError_tT0_T1_T2_jT3_P12ihipStream_tbPNSt15iterator_traitsISD_E10value_typeEPNSJ_ISE_E10value_typeEPSF_NS1_7vsmem_tEENKUlT_SD_SE_SF_E_clIS7_S7_S8_S8_EESC_SS_SD_SE_SF_EUlSS_E1_NS1_11comp_targetILNS1_3genE8ELNS1_11target_archE1030ELNS1_3gpuE2ELNS1_3repE0EEENS1_36merge_oddeven_config_static_selectorELNS0_4arch9wavefront6targetE1EEEvSE_,"axG",@progbits,_ZN7rocprim17ROCPRIM_400000_NS6detail17trampoline_kernelINS0_14default_configENS1_38merge_sort_block_merge_config_selectorIjyEEZZNS1_27merge_sort_block_merge_implIS3_PjPyjNS1_19radix_merge_compareILb0ELb0EjNS0_19identity_decomposerEEEEE10hipError_tT0_T1_T2_jT3_P12ihipStream_tbPNSt15iterator_traitsISD_E10value_typeEPNSJ_ISE_E10value_typeEPSF_NS1_7vsmem_tEENKUlT_SD_SE_SF_E_clIS7_S7_S8_S8_EESC_SS_SD_SE_SF_EUlSS_E1_NS1_11comp_targetILNS1_3genE8ELNS1_11target_archE1030ELNS1_3gpuE2ELNS1_3repE0EEENS1_36merge_oddeven_config_static_selectorELNS0_4arch9wavefront6targetE1EEEvSE_,comdat
.Lfunc_end485:
	.size	_ZN7rocprim17ROCPRIM_400000_NS6detail17trampoline_kernelINS0_14default_configENS1_38merge_sort_block_merge_config_selectorIjyEEZZNS1_27merge_sort_block_merge_implIS3_PjPyjNS1_19radix_merge_compareILb0ELb0EjNS0_19identity_decomposerEEEEE10hipError_tT0_T1_T2_jT3_P12ihipStream_tbPNSt15iterator_traitsISD_E10value_typeEPNSJ_ISE_E10value_typeEPSF_NS1_7vsmem_tEENKUlT_SD_SE_SF_E_clIS7_S7_S8_S8_EESC_SS_SD_SE_SF_EUlSS_E1_NS1_11comp_targetILNS1_3genE8ELNS1_11target_archE1030ELNS1_3gpuE2ELNS1_3repE0EEENS1_36merge_oddeven_config_static_selectorELNS0_4arch9wavefront6targetE1EEEvSE_, .Lfunc_end485-_ZN7rocprim17ROCPRIM_400000_NS6detail17trampoline_kernelINS0_14default_configENS1_38merge_sort_block_merge_config_selectorIjyEEZZNS1_27merge_sort_block_merge_implIS3_PjPyjNS1_19radix_merge_compareILb0ELb0EjNS0_19identity_decomposerEEEEE10hipError_tT0_T1_T2_jT3_P12ihipStream_tbPNSt15iterator_traitsISD_E10value_typeEPNSJ_ISE_E10value_typeEPSF_NS1_7vsmem_tEENKUlT_SD_SE_SF_E_clIS7_S7_S8_S8_EESC_SS_SD_SE_SF_EUlSS_E1_NS1_11comp_targetILNS1_3genE8ELNS1_11target_archE1030ELNS1_3gpuE2ELNS1_3repE0EEENS1_36merge_oddeven_config_static_selectorELNS0_4arch9wavefront6targetE1EEEvSE_
                                        ; -- End function
	.section	.AMDGPU.csdata,"",@progbits
; Kernel info:
; codeLenInByte = 0
; NumSgprs: 4
; NumVgprs: 0
; NumAgprs: 0
; TotalNumVgprs: 0
; ScratchSize: 0
; MemoryBound: 0
; FloatMode: 240
; IeeeMode: 1
; LDSByteSize: 0 bytes/workgroup (compile time only)
; SGPRBlocks: 0
; VGPRBlocks: 0
; NumSGPRsForWavesPerEU: 4
; NumVGPRsForWavesPerEU: 1
; AccumOffset: 4
; Occupancy: 8
; WaveLimiterHint : 0
; COMPUTE_PGM_RSRC2:SCRATCH_EN: 0
; COMPUTE_PGM_RSRC2:USER_SGPR: 6
; COMPUTE_PGM_RSRC2:TRAP_HANDLER: 0
; COMPUTE_PGM_RSRC2:TGID_X_EN: 1
; COMPUTE_PGM_RSRC2:TGID_Y_EN: 0
; COMPUTE_PGM_RSRC2:TGID_Z_EN: 0
; COMPUTE_PGM_RSRC2:TIDIG_COMP_CNT: 0
; COMPUTE_PGM_RSRC3_GFX90A:ACCUM_OFFSET: 0
; COMPUTE_PGM_RSRC3_GFX90A:TG_SPLIT: 0
	.section	.text._ZN7rocprim17ROCPRIM_400000_NS6detail17trampoline_kernelINS0_14default_configENS1_25transform_config_selectorIjLb1EEEZNS1_14transform_implILb1ES3_S5_PjS7_NS0_8identityIjEEEE10hipError_tT2_T3_mT4_P12ihipStream_tbEUlT_E_NS1_11comp_targetILNS1_3genE0ELNS1_11target_archE4294967295ELNS1_3gpuE0ELNS1_3repE0EEENS1_30default_config_static_selectorELNS0_4arch9wavefront6targetE1EEEvT1_,"axG",@progbits,_ZN7rocprim17ROCPRIM_400000_NS6detail17trampoline_kernelINS0_14default_configENS1_25transform_config_selectorIjLb1EEEZNS1_14transform_implILb1ES3_S5_PjS7_NS0_8identityIjEEEE10hipError_tT2_T3_mT4_P12ihipStream_tbEUlT_E_NS1_11comp_targetILNS1_3genE0ELNS1_11target_archE4294967295ELNS1_3gpuE0ELNS1_3repE0EEENS1_30default_config_static_selectorELNS0_4arch9wavefront6targetE1EEEvT1_,comdat
	.protected	_ZN7rocprim17ROCPRIM_400000_NS6detail17trampoline_kernelINS0_14default_configENS1_25transform_config_selectorIjLb1EEEZNS1_14transform_implILb1ES3_S5_PjS7_NS0_8identityIjEEEE10hipError_tT2_T3_mT4_P12ihipStream_tbEUlT_E_NS1_11comp_targetILNS1_3genE0ELNS1_11target_archE4294967295ELNS1_3gpuE0ELNS1_3repE0EEENS1_30default_config_static_selectorELNS0_4arch9wavefront6targetE1EEEvT1_ ; -- Begin function _ZN7rocprim17ROCPRIM_400000_NS6detail17trampoline_kernelINS0_14default_configENS1_25transform_config_selectorIjLb1EEEZNS1_14transform_implILb1ES3_S5_PjS7_NS0_8identityIjEEEE10hipError_tT2_T3_mT4_P12ihipStream_tbEUlT_E_NS1_11comp_targetILNS1_3genE0ELNS1_11target_archE4294967295ELNS1_3gpuE0ELNS1_3repE0EEENS1_30default_config_static_selectorELNS0_4arch9wavefront6targetE1EEEvT1_
	.globl	_ZN7rocprim17ROCPRIM_400000_NS6detail17trampoline_kernelINS0_14default_configENS1_25transform_config_selectorIjLb1EEEZNS1_14transform_implILb1ES3_S5_PjS7_NS0_8identityIjEEEE10hipError_tT2_T3_mT4_P12ihipStream_tbEUlT_E_NS1_11comp_targetILNS1_3genE0ELNS1_11target_archE4294967295ELNS1_3gpuE0ELNS1_3repE0EEENS1_30default_config_static_selectorELNS0_4arch9wavefront6targetE1EEEvT1_
	.p2align	8
	.type	_ZN7rocprim17ROCPRIM_400000_NS6detail17trampoline_kernelINS0_14default_configENS1_25transform_config_selectorIjLb1EEEZNS1_14transform_implILb1ES3_S5_PjS7_NS0_8identityIjEEEE10hipError_tT2_T3_mT4_P12ihipStream_tbEUlT_E_NS1_11comp_targetILNS1_3genE0ELNS1_11target_archE4294967295ELNS1_3gpuE0ELNS1_3repE0EEENS1_30default_config_static_selectorELNS0_4arch9wavefront6targetE1EEEvT1_,@function
_ZN7rocprim17ROCPRIM_400000_NS6detail17trampoline_kernelINS0_14default_configENS1_25transform_config_selectorIjLb1EEEZNS1_14transform_implILb1ES3_S5_PjS7_NS0_8identityIjEEEE10hipError_tT2_T3_mT4_P12ihipStream_tbEUlT_E_NS1_11comp_targetILNS1_3genE0ELNS1_11target_archE4294967295ELNS1_3gpuE0ELNS1_3repE0EEENS1_30default_config_static_selectorELNS0_4arch9wavefront6targetE1EEEvT1_: ; @_ZN7rocprim17ROCPRIM_400000_NS6detail17trampoline_kernelINS0_14default_configENS1_25transform_config_selectorIjLb1EEEZNS1_14transform_implILb1ES3_S5_PjS7_NS0_8identityIjEEEE10hipError_tT2_T3_mT4_P12ihipStream_tbEUlT_E_NS1_11comp_targetILNS1_3genE0ELNS1_11target_archE4294967295ELNS1_3gpuE0ELNS1_3repE0EEENS1_30default_config_static_selectorELNS0_4arch9wavefront6targetE1EEEvT1_
; %bb.0:
	.section	.rodata,"a",@progbits
	.p2align	6, 0x0
	.amdhsa_kernel _ZN7rocprim17ROCPRIM_400000_NS6detail17trampoline_kernelINS0_14default_configENS1_25transform_config_selectorIjLb1EEEZNS1_14transform_implILb1ES3_S5_PjS7_NS0_8identityIjEEEE10hipError_tT2_T3_mT4_P12ihipStream_tbEUlT_E_NS1_11comp_targetILNS1_3genE0ELNS1_11target_archE4294967295ELNS1_3gpuE0ELNS1_3repE0EEENS1_30default_config_static_selectorELNS0_4arch9wavefront6targetE1EEEvT1_
		.amdhsa_group_segment_fixed_size 0
		.amdhsa_private_segment_fixed_size 0
		.amdhsa_kernarg_size 40
		.amdhsa_user_sgpr_count 6
		.amdhsa_user_sgpr_private_segment_buffer 1
		.amdhsa_user_sgpr_dispatch_ptr 0
		.amdhsa_user_sgpr_queue_ptr 0
		.amdhsa_user_sgpr_kernarg_segment_ptr 1
		.amdhsa_user_sgpr_dispatch_id 0
		.amdhsa_user_sgpr_flat_scratch_init 0
		.amdhsa_user_sgpr_kernarg_preload_length 0
		.amdhsa_user_sgpr_kernarg_preload_offset 0
		.amdhsa_user_sgpr_private_segment_size 0
		.amdhsa_uses_dynamic_stack 0
		.amdhsa_system_sgpr_private_segment_wavefront_offset 0
		.amdhsa_system_sgpr_workgroup_id_x 1
		.amdhsa_system_sgpr_workgroup_id_y 0
		.amdhsa_system_sgpr_workgroup_id_z 0
		.amdhsa_system_sgpr_workgroup_info 0
		.amdhsa_system_vgpr_workitem_id 0
		.amdhsa_next_free_vgpr 1
		.amdhsa_next_free_sgpr 0
		.amdhsa_accum_offset 4
		.amdhsa_reserve_vcc 0
		.amdhsa_reserve_flat_scratch 0
		.amdhsa_float_round_mode_32 0
		.amdhsa_float_round_mode_16_64 0
		.amdhsa_float_denorm_mode_32 3
		.amdhsa_float_denorm_mode_16_64 3
		.amdhsa_dx10_clamp 1
		.amdhsa_ieee_mode 1
		.amdhsa_fp16_overflow 0
		.amdhsa_tg_split 0
		.amdhsa_exception_fp_ieee_invalid_op 0
		.amdhsa_exception_fp_denorm_src 0
		.amdhsa_exception_fp_ieee_div_zero 0
		.amdhsa_exception_fp_ieee_overflow 0
		.amdhsa_exception_fp_ieee_underflow 0
		.amdhsa_exception_fp_ieee_inexact 0
		.amdhsa_exception_int_div_zero 0
	.end_amdhsa_kernel
	.section	.text._ZN7rocprim17ROCPRIM_400000_NS6detail17trampoline_kernelINS0_14default_configENS1_25transform_config_selectorIjLb1EEEZNS1_14transform_implILb1ES3_S5_PjS7_NS0_8identityIjEEEE10hipError_tT2_T3_mT4_P12ihipStream_tbEUlT_E_NS1_11comp_targetILNS1_3genE0ELNS1_11target_archE4294967295ELNS1_3gpuE0ELNS1_3repE0EEENS1_30default_config_static_selectorELNS0_4arch9wavefront6targetE1EEEvT1_,"axG",@progbits,_ZN7rocprim17ROCPRIM_400000_NS6detail17trampoline_kernelINS0_14default_configENS1_25transform_config_selectorIjLb1EEEZNS1_14transform_implILb1ES3_S5_PjS7_NS0_8identityIjEEEE10hipError_tT2_T3_mT4_P12ihipStream_tbEUlT_E_NS1_11comp_targetILNS1_3genE0ELNS1_11target_archE4294967295ELNS1_3gpuE0ELNS1_3repE0EEENS1_30default_config_static_selectorELNS0_4arch9wavefront6targetE1EEEvT1_,comdat
.Lfunc_end486:
	.size	_ZN7rocprim17ROCPRIM_400000_NS6detail17trampoline_kernelINS0_14default_configENS1_25transform_config_selectorIjLb1EEEZNS1_14transform_implILb1ES3_S5_PjS7_NS0_8identityIjEEEE10hipError_tT2_T3_mT4_P12ihipStream_tbEUlT_E_NS1_11comp_targetILNS1_3genE0ELNS1_11target_archE4294967295ELNS1_3gpuE0ELNS1_3repE0EEENS1_30default_config_static_selectorELNS0_4arch9wavefront6targetE1EEEvT1_, .Lfunc_end486-_ZN7rocprim17ROCPRIM_400000_NS6detail17trampoline_kernelINS0_14default_configENS1_25transform_config_selectorIjLb1EEEZNS1_14transform_implILb1ES3_S5_PjS7_NS0_8identityIjEEEE10hipError_tT2_T3_mT4_P12ihipStream_tbEUlT_E_NS1_11comp_targetILNS1_3genE0ELNS1_11target_archE4294967295ELNS1_3gpuE0ELNS1_3repE0EEENS1_30default_config_static_selectorELNS0_4arch9wavefront6targetE1EEEvT1_
                                        ; -- End function
	.section	.AMDGPU.csdata,"",@progbits
; Kernel info:
; codeLenInByte = 0
; NumSgprs: 4
; NumVgprs: 0
; NumAgprs: 0
; TotalNumVgprs: 0
; ScratchSize: 0
; MemoryBound: 0
; FloatMode: 240
; IeeeMode: 1
; LDSByteSize: 0 bytes/workgroup (compile time only)
; SGPRBlocks: 0
; VGPRBlocks: 0
; NumSGPRsForWavesPerEU: 4
; NumVGPRsForWavesPerEU: 1
; AccumOffset: 4
; Occupancy: 8
; WaveLimiterHint : 0
; COMPUTE_PGM_RSRC2:SCRATCH_EN: 0
; COMPUTE_PGM_RSRC2:USER_SGPR: 6
; COMPUTE_PGM_RSRC2:TRAP_HANDLER: 0
; COMPUTE_PGM_RSRC2:TGID_X_EN: 1
; COMPUTE_PGM_RSRC2:TGID_Y_EN: 0
; COMPUTE_PGM_RSRC2:TGID_Z_EN: 0
; COMPUTE_PGM_RSRC2:TIDIG_COMP_CNT: 0
; COMPUTE_PGM_RSRC3_GFX90A:ACCUM_OFFSET: 0
; COMPUTE_PGM_RSRC3_GFX90A:TG_SPLIT: 0
	.section	.text._ZN7rocprim17ROCPRIM_400000_NS6detail17trampoline_kernelINS0_14default_configENS1_25transform_config_selectorIjLb1EEEZNS1_14transform_implILb1ES3_S5_PjS7_NS0_8identityIjEEEE10hipError_tT2_T3_mT4_P12ihipStream_tbEUlT_E_NS1_11comp_targetILNS1_3genE10ELNS1_11target_archE1201ELNS1_3gpuE5ELNS1_3repE0EEENS1_30default_config_static_selectorELNS0_4arch9wavefront6targetE1EEEvT1_,"axG",@progbits,_ZN7rocprim17ROCPRIM_400000_NS6detail17trampoline_kernelINS0_14default_configENS1_25transform_config_selectorIjLb1EEEZNS1_14transform_implILb1ES3_S5_PjS7_NS0_8identityIjEEEE10hipError_tT2_T3_mT4_P12ihipStream_tbEUlT_E_NS1_11comp_targetILNS1_3genE10ELNS1_11target_archE1201ELNS1_3gpuE5ELNS1_3repE0EEENS1_30default_config_static_selectorELNS0_4arch9wavefront6targetE1EEEvT1_,comdat
	.protected	_ZN7rocprim17ROCPRIM_400000_NS6detail17trampoline_kernelINS0_14default_configENS1_25transform_config_selectorIjLb1EEEZNS1_14transform_implILb1ES3_S5_PjS7_NS0_8identityIjEEEE10hipError_tT2_T3_mT4_P12ihipStream_tbEUlT_E_NS1_11comp_targetILNS1_3genE10ELNS1_11target_archE1201ELNS1_3gpuE5ELNS1_3repE0EEENS1_30default_config_static_selectorELNS0_4arch9wavefront6targetE1EEEvT1_ ; -- Begin function _ZN7rocprim17ROCPRIM_400000_NS6detail17trampoline_kernelINS0_14default_configENS1_25transform_config_selectorIjLb1EEEZNS1_14transform_implILb1ES3_S5_PjS7_NS0_8identityIjEEEE10hipError_tT2_T3_mT4_P12ihipStream_tbEUlT_E_NS1_11comp_targetILNS1_3genE10ELNS1_11target_archE1201ELNS1_3gpuE5ELNS1_3repE0EEENS1_30default_config_static_selectorELNS0_4arch9wavefront6targetE1EEEvT1_
	.globl	_ZN7rocprim17ROCPRIM_400000_NS6detail17trampoline_kernelINS0_14default_configENS1_25transform_config_selectorIjLb1EEEZNS1_14transform_implILb1ES3_S5_PjS7_NS0_8identityIjEEEE10hipError_tT2_T3_mT4_P12ihipStream_tbEUlT_E_NS1_11comp_targetILNS1_3genE10ELNS1_11target_archE1201ELNS1_3gpuE5ELNS1_3repE0EEENS1_30default_config_static_selectorELNS0_4arch9wavefront6targetE1EEEvT1_
	.p2align	8
	.type	_ZN7rocprim17ROCPRIM_400000_NS6detail17trampoline_kernelINS0_14default_configENS1_25transform_config_selectorIjLb1EEEZNS1_14transform_implILb1ES3_S5_PjS7_NS0_8identityIjEEEE10hipError_tT2_T3_mT4_P12ihipStream_tbEUlT_E_NS1_11comp_targetILNS1_3genE10ELNS1_11target_archE1201ELNS1_3gpuE5ELNS1_3repE0EEENS1_30default_config_static_selectorELNS0_4arch9wavefront6targetE1EEEvT1_,@function
_ZN7rocprim17ROCPRIM_400000_NS6detail17trampoline_kernelINS0_14default_configENS1_25transform_config_selectorIjLb1EEEZNS1_14transform_implILb1ES3_S5_PjS7_NS0_8identityIjEEEE10hipError_tT2_T3_mT4_P12ihipStream_tbEUlT_E_NS1_11comp_targetILNS1_3genE10ELNS1_11target_archE1201ELNS1_3gpuE5ELNS1_3repE0EEENS1_30default_config_static_selectorELNS0_4arch9wavefront6targetE1EEEvT1_: ; @_ZN7rocprim17ROCPRIM_400000_NS6detail17trampoline_kernelINS0_14default_configENS1_25transform_config_selectorIjLb1EEEZNS1_14transform_implILb1ES3_S5_PjS7_NS0_8identityIjEEEE10hipError_tT2_T3_mT4_P12ihipStream_tbEUlT_E_NS1_11comp_targetILNS1_3genE10ELNS1_11target_archE1201ELNS1_3gpuE5ELNS1_3repE0EEENS1_30default_config_static_selectorELNS0_4arch9wavefront6targetE1EEEvT1_
; %bb.0:
	.section	.rodata,"a",@progbits
	.p2align	6, 0x0
	.amdhsa_kernel _ZN7rocprim17ROCPRIM_400000_NS6detail17trampoline_kernelINS0_14default_configENS1_25transform_config_selectorIjLb1EEEZNS1_14transform_implILb1ES3_S5_PjS7_NS0_8identityIjEEEE10hipError_tT2_T3_mT4_P12ihipStream_tbEUlT_E_NS1_11comp_targetILNS1_3genE10ELNS1_11target_archE1201ELNS1_3gpuE5ELNS1_3repE0EEENS1_30default_config_static_selectorELNS0_4arch9wavefront6targetE1EEEvT1_
		.amdhsa_group_segment_fixed_size 0
		.amdhsa_private_segment_fixed_size 0
		.amdhsa_kernarg_size 40
		.amdhsa_user_sgpr_count 6
		.amdhsa_user_sgpr_private_segment_buffer 1
		.amdhsa_user_sgpr_dispatch_ptr 0
		.amdhsa_user_sgpr_queue_ptr 0
		.amdhsa_user_sgpr_kernarg_segment_ptr 1
		.amdhsa_user_sgpr_dispatch_id 0
		.amdhsa_user_sgpr_flat_scratch_init 0
		.amdhsa_user_sgpr_kernarg_preload_length 0
		.amdhsa_user_sgpr_kernarg_preload_offset 0
		.amdhsa_user_sgpr_private_segment_size 0
		.amdhsa_uses_dynamic_stack 0
		.amdhsa_system_sgpr_private_segment_wavefront_offset 0
		.amdhsa_system_sgpr_workgroup_id_x 1
		.amdhsa_system_sgpr_workgroup_id_y 0
		.amdhsa_system_sgpr_workgroup_id_z 0
		.amdhsa_system_sgpr_workgroup_info 0
		.amdhsa_system_vgpr_workitem_id 0
		.amdhsa_next_free_vgpr 1
		.amdhsa_next_free_sgpr 0
		.amdhsa_accum_offset 4
		.amdhsa_reserve_vcc 0
		.amdhsa_reserve_flat_scratch 0
		.amdhsa_float_round_mode_32 0
		.amdhsa_float_round_mode_16_64 0
		.amdhsa_float_denorm_mode_32 3
		.amdhsa_float_denorm_mode_16_64 3
		.amdhsa_dx10_clamp 1
		.amdhsa_ieee_mode 1
		.amdhsa_fp16_overflow 0
		.amdhsa_tg_split 0
		.amdhsa_exception_fp_ieee_invalid_op 0
		.amdhsa_exception_fp_denorm_src 0
		.amdhsa_exception_fp_ieee_div_zero 0
		.amdhsa_exception_fp_ieee_overflow 0
		.amdhsa_exception_fp_ieee_underflow 0
		.amdhsa_exception_fp_ieee_inexact 0
		.amdhsa_exception_int_div_zero 0
	.end_amdhsa_kernel
	.section	.text._ZN7rocprim17ROCPRIM_400000_NS6detail17trampoline_kernelINS0_14default_configENS1_25transform_config_selectorIjLb1EEEZNS1_14transform_implILb1ES3_S5_PjS7_NS0_8identityIjEEEE10hipError_tT2_T3_mT4_P12ihipStream_tbEUlT_E_NS1_11comp_targetILNS1_3genE10ELNS1_11target_archE1201ELNS1_3gpuE5ELNS1_3repE0EEENS1_30default_config_static_selectorELNS0_4arch9wavefront6targetE1EEEvT1_,"axG",@progbits,_ZN7rocprim17ROCPRIM_400000_NS6detail17trampoline_kernelINS0_14default_configENS1_25transform_config_selectorIjLb1EEEZNS1_14transform_implILb1ES3_S5_PjS7_NS0_8identityIjEEEE10hipError_tT2_T3_mT4_P12ihipStream_tbEUlT_E_NS1_11comp_targetILNS1_3genE10ELNS1_11target_archE1201ELNS1_3gpuE5ELNS1_3repE0EEENS1_30default_config_static_selectorELNS0_4arch9wavefront6targetE1EEEvT1_,comdat
.Lfunc_end487:
	.size	_ZN7rocprim17ROCPRIM_400000_NS6detail17trampoline_kernelINS0_14default_configENS1_25transform_config_selectorIjLb1EEEZNS1_14transform_implILb1ES3_S5_PjS7_NS0_8identityIjEEEE10hipError_tT2_T3_mT4_P12ihipStream_tbEUlT_E_NS1_11comp_targetILNS1_3genE10ELNS1_11target_archE1201ELNS1_3gpuE5ELNS1_3repE0EEENS1_30default_config_static_selectorELNS0_4arch9wavefront6targetE1EEEvT1_, .Lfunc_end487-_ZN7rocprim17ROCPRIM_400000_NS6detail17trampoline_kernelINS0_14default_configENS1_25transform_config_selectorIjLb1EEEZNS1_14transform_implILb1ES3_S5_PjS7_NS0_8identityIjEEEE10hipError_tT2_T3_mT4_P12ihipStream_tbEUlT_E_NS1_11comp_targetILNS1_3genE10ELNS1_11target_archE1201ELNS1_3gpuE5ELNS1_3repE0EEENS1_30default_config_static_selectorELNS0_4arch9wavefront6targetE1EEEvT1_
                                        ; -- End function
	.section	.AMDGPU.csdata,"",@progbits
; Kernel info:
; codeLenInByte = 0
; NumSgprs: 4
; NumVgprs: 0
; NumAgprs: 0
; TotalNumVgprs: 0
; ScratchSize: 0
; MemoryBound: 0
; FloatMode: 240
; IeeeMode: 1
; LDSByteSize: 0 bytes/workgroup (compile time only)
; SGPRBlocks: 0
; VGPRBlocks: 0
; NumSGPRsForWavesPerEU: 4
; NumVGPRsForWavesPerEU: 1
; AccumOffset: 4
; Occupancy: 8
; WaveLimiterHint : 0
; COMPUTE_PGM_RSRC2:SCRATCH_EN: 0
; COMPUTE_PGM_RSRC2:USER_SGPR: 6
; COMPUTE_PGM_RSRC2:TRAP_HANDLER: 0
; COMPUTE_PGM_RSRC2:TGID_X_EN: 1
; COMPUTE_PGM_RSRC2:TGID_Y_EN: 0
; COMPUTE_PGM_RSRC2:TGID_Z_EN: 0
; COMPUTE_PGM_RSRC2:TIDIG_COMP_CNT: 0
; COMPUTE_PGM_RSRC3_GFX90A:ACCUM_OFFSET: 0
; COMPUTE_PGM_RSRC3_GFX90A:TG_SPLIT: 0
	.section	.text._ZN7rocprim17ROCPRIM_400000_NS6detail17trampoline_kernelINS0_14default_configENS1_25transform_config_selectorIjLb1EEEZNS1_14transform_implILb1ES3_S5_PjS7_NS0_8identityIjEEEE10hipError_tT2_T3_mT4_P12ihipStream_tbEUlT_E_NS1_11comp_targetILNS1_3genE5ELNS1_11target_archE942ELNS1_3gpuE9ELNS1_3repE0EEENS1_30default_config_static_selectorELNS0_4arch9wavefront6targetE1EEEvT1_,"axG",@progbits,_ZN7rocprim17ROCPRIM_400000_NS6detail17trampoline_kernelINS0_14default_configENS1_25transform_config_selectorIjLb1EEEZNS1_14transform_implILb1ES3_S5_PjS7_NS0_8identityIjEEEE10hipError_tT2_T3_mT4_P12ihipStream_tbEUlT_E_NS1_11comp_targetILNS1_3genE5ELNS1_11target_archE942ELNS1_3gpuE9ELNS1_3repE0EEENS1_30default_config_static_selectorELNS0_4arch9wavefront6targetE1EEEvT1_,comdat
	.protected	_ZN7rocprim17ROCPRIM_400000_NS6detail17trampoline_kernelINS0_14default_configENS1_25transform_config_selectorIjLb1EEEZNS1_14transform_implILb1ES3_S5_PjS7_NS0_8identityIjEEEE10hipError_tT2_T3_mT4_P12ihipStream_tbEUlT_E_NS1_11comp_targetILNS1_3genE5ELNS1_11target_archE942ELNS1_3gpuE9ELNS1_3repE0EEENS1_30default_config_static_selectorELNS0_4arch9wavefront6targetE1EEEvT1_ ; -- Begin function _ZN7rocprim17ROCPRIM_400000_NS6detail17trampoline_kernelINS0_14default_configENS1_25transform_config_selectorIjLb1EEEZNS1_14transform_implILb1ES3_S5_PjS7_NS0_8identityIjEEEE10hipError_tT2_T3_mT4_P12ihipStream_tbEUlT_E_NS1_11comp_targetILNS1_3genE5ELNS1_11target_archE942ELNS1_3gpuE9ELNS1_3repE0EEENS1_30default_config_static_selectorELNS0_4arch9wavefront6targetE1EEEvT1_
	.globl	_ZN7rocprim17ROCPRIM_400000_NS6detail17trampoline_kernelINS0_14default_configENS1_25transform_config_selectorIjLb1EEEZNS1_14transform_implILb1ES3_S5_PjS7_NS0_8identityIjEEEE10hipError_tT2_T3_mT4_P12ihipStream_tbEUlT_E_NS1_11comp_targetILNS1_3genE5ELNS1_11target_archE942ELNS1_3gpuE9ELNS1_3repE0EEENS1_30default_config_static_selectorELNS0_4arch9wavefront6targetE1EEEvT1_
	.p2align	8
	.type	_ZN7rocprim17ROCPRIM_400000_NS6detail17trampoline_kernelINS0_14default_configENS1_25transform_config_selectorIjLb1EEEZNS1_14transform_implILb1ES3_S5_PjS7_NS0_8identityIjEEEE10hipError_tT2_T3_mT4_P12ihipStream_tbEUlT_E_NS1_11comp_targetILNS1_3genE5ELNS1_11target_archE942ELNS1_3gpuE9ELNS1_3repE0EEENS1_30default_config_static_selectorELNS0_4arch9wavefront6targetE1EEEvT1_,@function
_ZN7rocprim17ROCPRIM_400000_NS6detail17trampoline_kernelINS0_14default_configENS1_25transform_config_selectorIjLb1EEEZNS1_14transform_implILb1ES3_S5_PjS7_NS0_8identityIjEEEE10hipError_tT2_T3_mT4_P12ihipStream_tbEUlT_E_NS1_11comp_targetILNS1_3genE5ELNS1_11target_archE942ELNS1_3gpuE9ELNS1_3repE0EEENS1_30default_config_static_selectorELNS0_4arch9wavefront6targetE1EEEvT1_: ; @_ZN7rocprim17ROCPRIM_400000_NS6detail17trampoline_kernelINS0_14default_configENS1_25transform_config_selectorIjLb1EEEZNS1_14transform_implILb1ES3_S5_PjS7_NS0_8identityIjEEEE10hipError_tT2_T3_mT4_P12ihipStream_tbEUlT_E_NS1_11comp_targetILNS1_3genE5ELNS1_11target_archE942ELNS1_3gpuE9ELNS1_3repE0EEENS1_30default_config_static_selectorELNS0_4arch9wavefront6targetE1EEEvT1_
; %bb.0:
	.section	.rodata,"a",@progbits
	.p2align	6, 0x0
	.amdhsa_kernel _ZN7rocprim17ROCPRIM_400000_NS6detail17trampoline_kernelINS0_14default_configENS1_25transform_config_selectorIjLb1EEEZNS1_14transform_implILb1ES3_S5_PjS7_NS0_8identityIjEEEE10hipError_tT2_T3_mT4_P12ihipStream_tbEUlT_E_NS1_11comp_targetILNS1_3genE5ELNS1_11target_archE942ELNS1_3gpuE9ELNS1_3repE0EEENS1_30default_config_static_selectorELNS0_4arch9wavefront6targetE1EEEvT1_
		.amdhsa_group_segment_fixed_size 0
		.amdhsa_private_segment_fixed_size 0
		.amdhsa_kernarg_size 40
		.amdhsa_user_sgpr_count 6
		.amdhsa_user_sgpr_private_segment_buffer 1
		.amdhsa_user_sgpr_dispatch_ptr 0
		.amdhsa_user_sgpr_queue_ptr 0
		.amdhsa_user_sgpr_kernarg_segment_ptr 1
		.amdhsa_user_sgpr_dispatch_id 0
		.amdhsa_user_sgpr_flat_scratch_init 0
		.amdhsa_user_sgpr_kernarg_preload_length 0
		.amdhsa_user_sgpr_kernarg_preload_offset 0
		.amdhsa_user_sgpr_private_segment_size 0
		.amdhsa_uses_dynamic_stack 0
		.amdhsa_system_sgpr_private_segment_wavefront_offset 0
		.amdhsa_system_sgpr_workgroup_id_x 1
		.amdhsa_system_sgpr_workgroup_id_y 0
		.amdhsa_system_sgpr_workgroup_id_z 0
		.amdhsa_system_sgpr_workgroup_info 0
		.amdhsa_system_vgpr_workitem_id 0
		.amdhsa_next_free_vgpr 1
		.amdhsa_next_free_sgpr 0
		.amdhsa_accum_offset 4
		.amdhsa_reserve_vcc 0
		.amdhsa_reserve_flat_scratch 0
		.amdhsa_float_round_mode_32 0
		.amdhsa_float_round_mode_16_64 0
		.amdhsa_float_denorm_mode_32 3
		.amdhsa_float_denorm_mode_16_64 3
		.amdhsa_dx10_clamp 1
		.amdhsa_ieee_mode 1
		.amdhsa_fp16_overflow 0
		.amdhsa_tg_split 0
		.amdhsa_exception_fp_ieee_invalid_op 0
		.amdhsa_exception_fp_denorm_src 0
		.amdhsa_exception_fp_ieee_div_zero 0
		.amdhsa_exception_fp_ieee_overflow 0
		.amdhsa_exception_fp_ieee_underflow 0
		.amdhsa_exception_fp_ieee_inexact 0
		.amdhsa_exception_int_div_zero 0
	.end_amdhsa_kernel
	.section	.text._ZN7rocprim17ROCPRIM_400000_NS6detail17trampoline_kernelINS0_14default_configENS1_25transform_config_selectorIjLb1EEEZNS1_14transform_implILb1ES3_S5_PjS7_NS0_8identityIjEEEE10hipError_tT2_T3_mT4_P12ihipStream_tbEUlT_E_NS1_11comp_targetILNS1_3genE5ELNS1_11target_archE942ELNS1_3gpuE9ELNS1_3repE0EEENS1_30default_config_static_selectorELNS0_4arch9wavefront6targetE1EEEvT1_,"axG",@progbits,_ZN7rocprim17ROCPRIM_400000_NS6detail17trampoline_kernelINS0_14default_configENS1_25transform_config_selectorIjLb1EEEZNS1_14transform_implILb1ES3_S5_PjS7_NS0_8identityIjEEEE10hipError_tT2_T3_mT4_P12ihipStream_tbEUlT_E_NS1_11comp_targetILNS1_3genE5ELNS1_11target_archE942ELNS1_3gpuE9ELNS1_3repE0EEENS1_30default_config_static_selectorELNS0_4arch9wavefront6targetE1EEEvT1_,comdat
.Lfunc_end488:
	.size	_ZN7rocprim17ROCPRIM_400000_NS6detail17trampoline_kernelINS0_14default_configENS1_25transform_config_selectorIjLb1EEEZNS1_14transform_implILb1ES3_S5_PjS7_NS0_8identityIjEEEE10hipError_tT2_T3_mT4_P12ihipStream_tbEUlT_E_NS1_11comp_targetILNS1_3genE5ELNS1_11target_archE942ELNS1_3gpuE9ELNS1_3repE0EEENS1_30default_config_static_selectorELNS0_4arch9wavefront6targetE1EEEvT1_, .Lfunc_end488-_ZN7rocprim17ROCPRIM_400000_NS6detail17trampoline_kernelINS0_14default_configENS1_25transform_config_selectorIjLb1EEEZNS1_14transform_implILb1ES3_S5_PjS7_NS0_8identityIjEEEE10hipError_tT2_T3_mT4_P12ihipStream_tbEUlT_E_NS1_11comp_targetILNS1_3genE5ELNS1_11target_archE942ELNS1_3gpuE9ELNS1_3repE0EEENS1_30default_config_static_selectorELNS0_4arch9wavefront6targetE1EEEvT1_
                                        ; -- End function
	.section	.AMDGPU.csdata,"",@progbits
; Kernel info:
; codeLenInByte = 0
; NumSgprs: 4
; NumVgprs: 0
; NumAgprs: 0
; TotalNumVgprs: 0
; ScratchSize: 0
; MemoryBound: 0
; FloatMode: 240
; IeeeMode: 1
; LDSByteSize: 0 bytes/workgroup (compile time only)
; SGPRBlocks: 0
; VGPRBlocks: 0
; NumSGPRsForWavesPerEU: 4
; NumVGPRsForWavesPerEU: 1
; AccumOffset: 4
; Occupancy: 8
; WaveLimiterHint : 0
; COMPUTE_PGM_RSRC2:SCRATCH_EN: 0
; COMPUTE_PGM_RSRC2:USER_SGPR: 6
; COMPUTE_PGM_RSRC2:TRAP_HANDLER: 0
; COMPUTE_PGM_RSRC2:TGID_X_EN: 1
; COMPUTE_PGM_RSRC2:TGID_Y_EN: 0
; COMPUTE_PGM_RSRC2:TGID_Z_EN: 0
; COMPUTE_PGM_RSRC2:TIDIG_COMP_CNT: 0
; COMPUTE_PGM_RSRC3_GFX90A:ACCUM_OFFSET: 0
; COMPUTE_PGM_RSRC3_GFX90A:TG_SPLIT: 0
	.section	.text._ZN7rocprim17ROCPRIM_400000_NS6detail17trampoline_kernelINS0_14default_configENS1_25transform_config_selectorIjLb1EEEZNS1_14transform_implILb1ES3_S5_PjS7_NS0_8identityIjEEEE10hipError_tT2_T3_mT4_P12ihipStream_tbEUlT_E_NS1_11comp_targetILNS1_3genE4ELNS1_11target_archE910ELNS1_3gpuE8ELNS1_3repE0EEENS1_30default_config_static_selectorELNS0_4arch9wavefront6targetE1EEEvT1_,"axG",@progbits,_ZN7rocprim17ROCPRIM_400000_NS6detail17trampoline_kernelINS0_14default_configENS1_25transform_config_selectorIjLb1EEEZNS1_14transform_implILb1ES3_S5_PjS7_NS0_8identityIjEEEE10hipError_tT2_T3_mT4_P12ihipStream_tbEUlT_E_NS1_11comp_targetILNS1_3genE4ELNS1_11target_archE910ELNS1_3gpuE8ELNS1_3repE0EEENS1_30default_config_static_selectorELNS0_4arch9wavefront6targetE1EEEvT1_,comdat
	.protected	_ZN7rocprim17ROCPRIM_400000_NS6detail17trampoline_kernelINS0_14default_configENS1_25transform_config_selectorIjLb1EEEZNS1_14transform_implILb1ES3_S5_PjS7_NS0_8identityIjEEEE10hipError_tT2_T3_mT4_P12ihipStream_tbEUlT_E_NS1_11comp_targetILNS1_3genE4ELNS1_11target_archE910ELNS1_3gpuE8ELNS1_3repE0EEENS1_30default_config_static_selectorELNS0_4arch9wavefront6targetE1EEEvT1_ ; -- Begin function _ZN7rocprim17ROCPRIM_400000_NS6detail17trampoline_kernelINS0_14default_configENS1_25transform_config_selectorIjLb1EEEZNS1_14transform_implILb1ES3_S5_PjS7_NS0_8identityIjEEEE10hipError_tT2_T3_mT4_P12ihipStream_tbEUlT_E_NS1_11comp_targetILNS1_3genE4ELNS1_11target_archE910ELNS1_3gpuE8ELNS1_3repE0EEENS1_30default_config_static_selectorELNS0_4arch9wavefront6targetE1EEEvT1_
	.globl	_ZN7rocprim17ROCPRIM_400000_NS6detail17trampoline_kernelINS0_14default_configENS1_25transform_config_selectorIjLb1EEEZNS1_14transform_implILb1ES3_S5_PjS7_NS0_8identityIjEEEE10hipError_tT2_T3_mT4_P12ihipStream_tbEUlT_E_NS1_11comp_targetILNS1_3genE4ELNS1_11target_archE910ELNS1_3gpuE8ELNS1_3repE0EEENS1_30default_config_static_selectorELNS0_4arch9wavefront6targetE1EEEvT1_
	.p2align	8
	.type	_ZN7rocprim17ROCPRIM_400000_NS6detail17trampoline_kernelINS0_14default_configENS1_25transform_config_selectorIjLb1EEEZNS1_14transform_implILb1ES3_S5_PjS7_NS0_8identityIjEEEE10hipError_tT2_T3_mT4_P12ihipStream_tbEUlT_E_NS1_11comp_targetILNS1_3genE4ELNS1_11target_archE910ELNS1_3gpuE8ELNS1_3repE0EEENS1_30default_config_static_selectorELNS0_4arch9wavefront6targetE1EEEvT1_,@function
_ZN7rocprim17ROCPRIM_400000_NS6detail17trampoline_kernelINS0_14default_configENS1_25transform_config_selectorIjLb1EEEZNS1_14transform_implILb1ES3_S5_PjS7_NS0_8identityIjEEEE10hipError_tT2_T3_mT4_P12ihipStream_tbEUlT_E_NS1_11comp_targetILNS1_3genE4ELNS1_11target_archE910ELNS1_3gpuE8ELNS1_3repE0EEENS1_30default_config_static_selectorELNS0_4arch9wavefront6targetE1EEEvT1_: ; @_ZN7rocprim17ROCPRIM_400000_NS6detail17trampoline_kernelINS0_14default_configENS1_25transform_config_selectorIjLb1EEEZNS1_14transform_implILb1ES3_S5_PjS7_NS0_8identityIjEEEE10hipError_tT2_T3_mT4_P12ihipStream_tbEUlT_E_NS1_11comp_targetILNS1_3genE4ELNS1_11target_archE910ELNS1_3gpuE8ELNS1_3repE0EEENS1_30default_config_static_selectorELNS0_4arch9wavefront6targetE1EEEvT1_
; %bb.0:
	s_load_dwordx8 s[8:15], s[4:5], 0x0
	s_load_dword s2, s[4:5], 0x28
	s_waitcnt lgkmcnt(0)
	s_lshl_b64 s[0:1], s[10:11], 2
	s_add_u32 s3, s8, s0
	s_addc_u32 s4, s9, s1
	s_add_u32 s13, s14, s0
	s_addc_u32 s14, s15, s1
	s_lshl_b32 s0, s6, 12
	s_mov_b32 s1, 0
	s_add_i32 s2, s2, -1
	s_lshl_b64 s[8:9], s[0:1], 2
	s_add_u32 s10, s3, s8
	s_addc_u32 s11, s4, s9
	s_cmp_lg_u32 s6, s2
	s_mov_b64 s[2:3], -1
	s_cbranch_scc0 .LBB489_2
; %bb.1:
	v_lshlrev_b32_e32 v1, 4, v0
	global_load_dwordx4 v[2:5], v1, s[10:11]
	s_add_u32 s2, s13, s8
	s_addc_u32 s3, s14, s9
	s_waitcnt vmcnt(0)
	global_store_dwordx4 v1, v[2:5], s[2:3]
	s_mov_b64 s[2:3], 0
.LBB489_2:
	s_andn2_b64 vcc, exec, s[2:3]
	s_cbranch_vccnz .LBB489_16
; %bb.3:
	s_sub_i32 s6, s12, s0
	v_cmp_gt_u32_e32 vcc, s6, v0
	v_lshlrev_b32_e32 v1, 2, v0
                                        ; implicit-def: $vgpr2_vgpr3_vgpr4_vgpr5
	s_and_saveexec_b64 s[0:1], vcc
	s_cbranch_execz .LBB489_5
; %bb.4:
	global_load_dword v2, v1, s[10:11]
.LBB489_5:
	s_or_b64 exec, exec, s[0:1]
	v_or_b32_e32 v6, 0x400, v0
	v_cmp_gt_u32_e64 s[4:5], s6, v6
	s_and_saveexec_b64 s[0:1], s[4:5]
	s_cbranch_execz .LBB489_7
; %bb.6:
	v_lshlrev_b32_e32 v3, 2, v6
	global_load_dword v3, v3, s[10:11]
.LBB489_7:
	s_or_b64 exec, exec, s[0:1]
	v_or_b32_e32 v6, 0x800, v0
	v_cmp_gt_u32_e64 s[0:1], s6, v6
	s_and_saveexec_b64 s[2:3], s[0:1]
	s_cbranch_execz .LBB489_9
; %bb.8:
	v_lshlrev_b32_e32 v4, 2, v6
	global_load_dword v4, v4, s[10:11]
.LBB489_9:
	s_or_b64 exec, exec, s[2:3]
	v_or_b32_e32 v0, 0xc00, v0
	v_cmp_gt_u32_e64 s[2:3], s6, v0
	s_and_saveexec_b64 s[6:7], s[2:3]
	s_cbranch_execz .LBB489_11
; %bb.10:
	v_lshlrev_b32_e32 v0, 2, v0
	global_load_dword v5, v0, s[10:11]
.LBB489_11:
	s_or_b64 exec, exec, s[6:7]
	s_add_u32 s6, s13, s8
	s_addc_u32 s7, s14, s9
	v_mov_b32_e32 v6, s7
	v_add_co_u32_e64 v0, s[6:7], s6, v1
	v_addc_co_u32_e64 v1, s[6:7], 0, v6, s[6:7]
	s_and_saveexec_b64 s[6:7], vcc
	s_cbranch_execnz .LBB489_17
; %bb.12:
	s_or_b64 exec, exec, s[6:7]
	s_and_saveexec_b64 s[6:7], s[4:5]
	s_cbranch_execnz .LBB489_18
.LBB489_13:
	s_or_b64 exec, exec, s[6:7]
	s_and_saveexec_b64 s[4:5], s[0:1]
	s_cbranch_execnz .LBB489_19
.LBB489_14:
	s_or_b64 exec, exec, s[4:5]
	s_and_saveexec_b64 s[0:1], s[2:3]
	s_cbranch_execz .LBB489_16
.LBB489_15:
	v_add_co_u32_e32 v0, vcc, 0x3000, v0
	s_waitcnt vmcnt(0)
	v_cndmask_b32_e64 v2, v5, v5, s[2:3]
	v_addc_co_u32_e32 v1, vcc, 0, v1, vcc
	global_store_dword v[0:1], v2, off
.LBB489_16:
	s_endpgm
.LBB489_17:
	s_waitcnt vmcnt(0)
	global_store_dword v[0:1], v2, off
	s_or_b64 exec, exec, s[6:7]
	s_and_saveexec_b64 s[6:7], s[4:5]
	s_cbranch_execz .LBB489_13
.LBB489_18:
	v_add_co_u32_e32 v6, vcc, 0x1000, v0
	v_addc_co_u32_e32 v7, vcc, 0, v1, vcc
	s_waitcnt vmcnt(0)
	global_store_dword v[6:7], v3, off
	s_or_b64 exec, exec, s[6:7]
	s_and_saveexec_b64 s[4:5], s[0:1]
	s_cbranch_execz .LBB489_14
.LBB489_19:
	s_waitcnt vmcnt(0)
	v_add_co_u32_e32 v2, vcc, 0x2000, v0
	v_cndmask_b32_e64 v4, v4, v4, s[0:1]
	v_addc_co_u32_e32 v3, vcc, 0, v1, vcc
	global_store_dword v[2:3], v4, off
	s_or_b64 exec, exec, s[4:5]
	s_and_saveexec_b64 s[0:1], s[2:3]
	s_cbranch_execnz .LBB489_15
	s_branch .LBB489_16
	.section	.rodata,"a",@progbits
	.p2align	6, 0x0
	.amdhsa_kernel _ZN7rocprim17ROCPRIM_400000_NS6detail17trampoline_kernelINS0_14default_configENS1_25transform_config_selectorIjLb1EEEZNS1_14transform_implILb1ES3_S5_PjS7_NS0_8identityIjEEEE10hipError_tT2_T3_mT4_P12ihipStream_tbEUlT_E_NS1_11comp_targetILNS1_3genE4ELNS1_11target_archE910ELNS1_3gpuE8ELNS1_3repE0EEENS1_30default_config_static_selectorELNS0_4arch9wavefront6targetE1EEEvT1_
		.amdhsa_group_segment_fixed_size 0
		.amdhsa_private_segment_fixed_size 0
		.amdhsa_kernarg_size 296
		.amdhsa_user_sgpr_count 6
		.amdhsa_user_sgpr_private_segment_buffer 1
		.amdhsa_user_sgpr_dispatch_ptr 0
		.amdhsa_user_sgpr_queue_ptr 0
		.amdhsa_user_sgpr_kernarg_segment_ptr 1
		.amdhsa_user_sgpr_dispatch_id 0
		.amdhsa_user_sgpr_flat_scratch_init 0
		.amdhsa_user_sgpr_kernarg_preload_length 0
		.amdhsa_user_sgpr_kernarg_preload_offset 0
		.amdhsa_user_sgpr_private_segment_size 0
		.amdhsa_uses_dynamic_stack 0
		.amdhsa_system_sgpr_private_segment_wavefront_offset 0
		.amdhsa_system_sgpr_workgroup_id_x 1
		.amdhsa_system_sgpr_workgroup_id_y 0
		.amdhsa_system_sgpr_workgroup_id_z 0
		.amdhsa_system_sgpr_workgroup_info 0
		.amdhsa_system_vgpr_workitem_id 0
		.amdhsa_next_free_vgpr 8
		.amdhsa_next_free_sgpr 16
		.amdhsa_accum_offset 8
		.amdhsa_reserve_vcc 1
		.amdhsa_reserve_flat_scratch 0
		.amdhsa_float_round_mode_32 0
		.amdhsa_float_round_mode_16_64 0
		.amdhsa_float_denorm_mode_32 3
		.amdhsa_float_denorm_mode_16_64 3
		.amdhsa_dx10_clamp 1
		.amdhsa_ieee_mode 1
		.amdhsa_fp16_overflow 0
		.amdhsa_tg_split 0
		.amdhsa_exception_fp_ieee_invalid_op 0
		.amdhsa_exception_fp_denorm_src 0
		.amdhsa_exception_fp_ieee_div_zero 0
		.amdhsa_exception_fp_ieee_overflow 0
		.amdhsa_exception_fp_ieee_underflow 0
		.amdhsa_exception_fp_ieee_inexact 0
		.amdhsa_exception_int_div_zero 0
	.end_amdhsa_kernel
	.section	.text._ZN7rocprim17ROCPRIM_400000_NS6detail17trampoline_kernelINS0_14default_configENS1_25transform_config_selectorIjLb1EEEZNS1_14transform_implILb1ES3_S5_PjS7_NS0_8identityIjEEEE10hipError_tT2_T3_mT4_P12ihipStream_tbEUlT_E_NS1_11comp_targetILNS1_3genE4ELNS1_11target_archE910ELNS1_3gpuE8ELNS1_3repE0EEENS1_30default_config_static_selectorELNS0_4arch9wavefront6targetE1EEEvT1_,"axG",@progbits,_ZN7rocprim17ROCPRIM_400000_NS6detail17trampoline_kernelINS0_14default_configENS1_25transform_config_selectorIjLb1EEEZNS1_14transform_implILb1ES3_S5_PjS7_NS0_8identityIjEEEE10hipError_tT2_T3_mT4_P12ihipStream_tbEUlT_E_NS1_11comp_targetILNS1_3genE4ELNS1_11target_archE910ELNS1_3gpuE8ELNS1_3repE0EEENS1_30default_config_static_selectorELNS0_4arch9wavefront6targetE1EEEvT1_,comdat
.Lfunc_end489:
	.size	_ZN7rocprim17ROCPRIM_400000_NS6detail17trampoline_kernelINS0_14default_configENS1_25transform_config_selectorIjLb1EEEZNS1_14transform_implILb1ES3_S5_PjS7_NS0_8identityIjEEEE10hipError_tT2_T3_mT4_P12ihipStream_tbEUlT_E_NS1_11comp_targetILNS1_3genE4ELNS1_11target_archE910ELNS1_3gpuE8ELNS1_3repE0EEENS1_30default_config_static_selectorELNS0_4arch9wavefront6targetE1EEEvT1_, .Lfunc_end489-_ZN7rocprim17ROCPRIM_400000_NS6detail17trampoline_kernelINS0_14default_configENS1_25transform_config_selectorIjLb1EEEZNS1_14transform_implILb1ES3_S5_PjS7_NS0_8identityIjEEEE10hipError_tT2_T3_mT4_P12ihipStream_tbEUlT_E_NS1_11comp_targetILNS1_3genE4ELNS1_11target_archE910ELNS1_3gpuE8ELNS1_3repE0EEENS1_30default_config_static_selectorELNS0_4arch9wavefront6targetE1EEEvT1_
                                        ; -- End function
	.section	.AMDGPU.csdata,"",@progbits
; Kernel info:
; codeLenInByte = 488
; NumSgprs: 20
; NumVgprs: 8
; NumAgprs: 0
; TotalNumVgprs: 8
; ScratchSize: 0
; MemoryBound: 1
; FloatMode: 240
; IeeeMode: 1
; LDSByteSize: 0 bytes/workgroup (compile time only)
; SGPRBlocks: 2
; VGPRBlocks: 0
; NumSGPRsForWavesPerEU: 20
; NumVGPRsForWavesPerEU: 8
; AccumOffset: 8
; Occupancy: 8
; WaveLimiterHint : 0
; COMPUTE_PGM_RSRC2:SCRATCH_EN: 0
; COMPUTE_PGM_RSRC2:USER_SGPR: 6
; COMPUTE_PGM_RSRC2:TRAP_HANDLER: 0
; COMPUTE_PGM_RSRC2:TGID_X_EN: 1
; COMPUTE_PGM_RSRC2:TGID_Y_EN: 0
; COMPUTE_PGM_RSRC2:TGID_Z_EN: 0
; COMPUTE_PGM_RSRC2:TIDIG_COMP_CNT: 0
; COMPUTE_PGM_RSRC3_GFX90A:ACCUM_OFFSET: 1
; COMPUTE_PGM_RSRC3_GFX90A:TG_SPLIT: 0
	.section	.text._ZN7rocprim17ROCPRIM_400000_NS6detail17trampoline_kernelINS0_14default_configENS1_25transform_config_selectorIjLb1EEEZNS1_14transform_implILb1ES3_S5_PjS7_NS0_8identityIjEEEE10hipError_tT2_T3_mT4_P12ihipStream_tbEUlT_E_NS1_11comp_targetILNS1_3genE3ELNS1_11target_archE908ELNS1_3gpuE7ELNS1_3repE0EEENS1_30default_config_static_selectorELNS0_4arch9wavefront6targetE1EEEvT1_,"axG",@progbits,_ZN7rocprim17ROCPRIM_400000_NS6detail17trampoline_kernelINS0_14default_configENS1_25transform_config_selectorIjLb1EEEZNS1_14transform_implILb1ES3_S5_PjS7_NS0_8identityIjEEEE10hipError_tT2_T3_mT4_P12ihipStream_tbEUlT_E_NS1_11comp_targetILNS1_3genE3ELNS1_11target_archE908ELNS1_3gpuE7ELNS1_3repE0EEENS1_30default_config_static_selectorELNS0_4arch9wavefront6targetE1EEEvT1_,comdat
	.protected	_ZN7rocprim17ROCPRIM_400000_NS6detail17trampoline_kernelINS0_14default_configENS1_25transform_config_selectorIjLb1EEEZNS1_14transform_implILb1ES3_S5_PjS7_NS0_8identityIjEEEE10hipError_tT2_T3_mT4_P12ihipStream_tbEUlT_E_NS1_11comp_targetILNS1_3genE3ELNS1_11target_archE908ELNS1_3gpuE7ELNS1_3repE0EEENS1_30default_config_static_selectorELNS0_4arch9wavefront6targetE1EEEvT1_ ; -- Begin function _ZN7rocprim17ROCPRIM_400000_NS6detail17trampoline_kernelINS0_14default_configENS1_25transform_config_selectorIjLb1EEEZNS1_14transform_implILb1ES3_S5_PjS7_NS0_8identityIjEEEE10hipError_tT2_T3_mT4_P12ihipStream_tbEUlT_E_NS1_11comp_targetILNS1_3genE3ELNS1_11target_archE908ELNS1_3gpuE7ELNS1_3repE0EEENS1_30default_config_static_selectorELNS0_4arch9wavefront6targetE1EEEvT1_
	.globl	_ZN7rocprim17ROCPRIM_400000_NS6detail17trampoline_kernelINS0_14default_configENS1_25transform_config_selectorIjLb1EEEZNS1_14transform_implILb1ES3_S5_PjS7_NS0_8identityIjEEEE10hipError_tT2_T3_mT4_P12ihipStream_tbEUlT_E_NS1_11comp_targetILNS1_3genE3ELNS1_11target_archE908ELNS1_3gpuE7ELNS1_3repE0EEENS1_30default_config_static_selectorELNS0_4arch9wavefront6targetE1EEEvT1_
	.p2align	8
	.type	_ZN7rocprim17ROCPRIM_400000_NS6detail17trampoline_kernelINS0_14default_configENS1_25transform_config_selectorIjLb1EEEZNS1_14transform_implILb1ES3_S5_PjS7_NS0_8identityIjEEEE10hipError_tT2_T3_mT4_P12ihipStream_tbEUlT_E_NS1_11comp_targetILNS1_3genE3ELNS1_11target_archE908ELNS1_3gpuE7ELNS1_3repE0EEENS1_30default_config_static_selectorELNS0_4arch9wavefront6targetE1EEEvT1_,@function
_ZN7rocprim17ROCPRIM_400000_NS6detail17trampoline_kernelINS0_14default_configENS1_25transform_config_selectorIjLb1EEEZNS1_14transform_implILb1ES3_S5_PjS7_NS0_8identityIjEEEE10hipError_tT2_T3_mT4_P12ihipStream_tbEUlT_E_NS1_11comp_targetILNS1_3genE3ELNS1_11target_archE908ELNS1_3gpuE7ELNS1_3repE0EEENS1_30default_config_static_selectorELNS0_4arch9wavefront6targetE1EEEvT1_: ; @_ZN7rocprim17ROCPRIM_400000_NS6detail17trampoline_kernelINS0_14default_configENS1_25transform_config_selectorIjLb1EEEZNS1_14transform_implILb1ES3_S5_PjS7_NS0_8identityIjEEEE10hipError_tT2_T3_mT4_P12ihipStream_tbEUlT_E_NS1_11comp_targetILNS1_3genE3ELNS1_11target_archE908ELNS1_3gpuE7ELNS1_3repE0EEENS1_30default_config_static_selectorELNS0_4arch9wavefront6targetE1EEEvT1_
; %bb.0:
	.section	.rodata,"a",@progbits
	.p2align	6, 0x0
	.amdhsa_kernel _ZN7rocprim17ROCPRIM_400000_NS6detail17trampoline_kernelINS0_14default_configENS1_25transform_config_selectorIjLb1EEEZNS1_14transform_implILb1ES3_S5_PjS7_NS0_8identityIjEEEE10hipError_tT2_T3_mT4_P12ihipStream_tbEUlT_E_NS1_11comp_targetILNS1_3genE3ELNS1_11target_archE908ELNS1_3gpuE7ELNS1_3repE0EEENS1_30default_config_static_selectorELNS0_4arch9wavefront6targetE1EEEvT1_
		.amdhsa_group_segment_fixed_size 0
		.amdhsa_private_segment_fixed_size 0
		.amdhsa_kernarg_size 40
		.amdhsa_user_sgpr_count 6
		.amdhsa_user_sgpr_private_segment_buffer 1
		.amdhsa_user_sgpr_dispatch_ptr 0
		.amdhsa_user_sgpr_queue_ptr 0
		.amdhsa_user_sgpr_kernarg_segment_ptr 1
		.amdhsa_user_sgpr_dispatch_id 0
		.amdhsa_user_sgpr_flat_scratch_init 0
		.amdhsa_user_sgpr_kernarg_preload_length 0
		.amdhsa_user_sgpr_kernarg_preload_offset 0
		.amdhsa_user_sgpr_private_segment_size 0
		.amdhsa_uses_dynamic_stack 0
		.amdhsa_system_sgpr_private_segment_wavefront_offset 0
		.amdhsa_system_sgpr_workgroup_id_x 1
		.amdhsa_system_sgpr_workgroup_id_y 0
		.amdhsa_system_sgpr_workgroup_id_z 0
		.amdhsa_system_sgpr_workgroup_info 0
		.amdhsa_system_vgpr_workitem_id 0
		.amdhsa_next_free_vgpr 1
		.amdhsa_next_free_sgpr 0
		.amdhsa_accum_offset 4
		.amdhsa_reserve_vcc 0
		.amdhsa_reserve_flat_scratch 0
		.amdhsa_float_round_mode_32 0
		.amdhsa_float_round_mode_16_64 0
		.amdhsa_float_denorm_mode_32 3
		.amdhsa_float_denorm_mode_16_64 3
		.amdhsa_dx10_clamp 1
		.amdhsa_ieee_mode 1
		.amdhsa_fp16_overflow 0
		.amdhsa_tg_split 0
		.amdhsa_exception_fp_ieee_invalid_op 0
		.amdhsa_exception_fp_denorm_src 0
		.amdhsa_exception_fp_ieee_div_zero 0
		.amdhsa_exception_fp_ieee_overflow 0
		.amdhsa_exception_fp_ieee_underflow 0
		.amdhsa_exception_fp_ieee_inexact 0
		.amdhsa_exception_int_div_zero 0
	.end_amdhsa_kernel
	.section	.text._ZN7rocprim17ROCPRIM_400000_NS6detail17trampoline_kernelINS0_14default_configENS1_25transform_config_selectorIjLb1EEEZNS1_14transform_implILb1ES3_S5_PjS7_NS0_8identityIjEEEE10hipError_tT2_T3_mT4_P12ihipStream_tbEUlT_E_NS1_11comp_targetILNS1_3genE3ELNS1_11target_archE908ELNS1_3gpuE7ELNS1_3repE0EEENS1_30default_config_static_selectorELNS0_4arch9wavefront6targetE1EEEvT1_,"axG",@progbits,_ZN7rocprim17ROCPRIM_400000_NS6detail17trampoline_kernelINS0_14default_configENS1_25transform_config_selectorIjLb1EEEZNS1_14transform_implILb1ES3_S5_PjS7_NS0_8identityIjEEEE10hipError_tT2_T3_mT4_P12ihipStream_tbEUlT_E_NS1_11comp_targetILNS1_3genE3ELNS1_11target_archE908ELNS1_3gpuE7ELNS1_3repE0EEENS1_30default_config_static_selectorELNS0_4arch9wavefront6targetE1EEEvT1_,comdat
.Lfunc_end490:
	.size	_ZN7rocprim17ROCPRIM_400000_NS6detail17trampoline_kernelINS0_14default_configENS1_25transform_config_selectorIjLb1EEEZNS1_14transform_implILb1ES3_S5_PjS7_NS0_8identityIjEEEE10hipError_tT2_T3_mT4_P12ihipStream_tbEUlT_E_NS1_11comp_targetILNS1_3genE3ELNS1_11target_archE908ELNS1_3gpuE7ELNS1_3repE0EEENS1_30default_config_static_selectorELNS0_4arch9wavefront6targetE1EEEvT1_, .Lfunc_end490-_ZN7rocprim17ROCPRIM_400000_NS6detail17trampoline_kernelINS0_14default_configENS1_25transform_config_selectorIjLb1EEEZNS1_14transform_implILb1ES3_S5_PjS7_NS0_8identityIjEEEE10hipError_tT2_T3_mT4_P12ihipStream_tbEUlT_E_NS1_11comp_targetILNS1_3genE3ELNS1_11target_archE908ELNS1_3gpuE7ELNS1_3repE0EEENS1_30default_config_static_selectorELNS0_4arch9wavefront6targetE1EEEvT1_
                                        ; -- End function
	.section	.AMDGPU.csdata,"",@progbits
; Kernel info:
; codeLenInByte = 0
; NumSgprs: 4
; NumVgprs: 0
; NumAgprs: 0
; TotalNumVgprs: 0
; ScratchSize: 0
; MemoryBound: 0
; FloatMode: 240
; IeeeMode: 1
; LDSByteSize: 0 bytes/workgroup (compile time only)
; SGPRBlocks: 0
; VGPRBlocks: 0
; NumSGPRsForWavesPerEU: 4
; NumVGPRsForWavesPerEU: 1
; AccumOffset: 4
; Occupancy: 8
; WaveLimiterHint : 0
; COMPUTE_PGM_RSRC2:SCRATCH_EN: 0
; COMPUTE_PGM_RSRC2:USER_SGPR: 6
; COMPUTE_PGM_RSRC2:TRAP_HANDLER: 0
; COMPUTE_PGM_RSRC2:TGID_X_EN: 1
; COMPUTE_PGM_RSRC2:TGID_Y_EN: 0
; COMPUTE_PGM_RSRC2:TGID_Z_EN: 0
; COMPUTE_PGM_RSRC2:TIDIG_COMP_CNT: 0
; COMPUTE_PGM_RSRC3_GFX90A:ACCUM_OFFSET: 0
; COMPUTE_PGM_RSRC3_GFX90A:TG_SPLIT: 0
	.section	.text._ZN7rocprim17ROCPRIM_400000_NS6detail17trampoline_kernelINS0_14default_configENS1_25transform_config_selectorIjLb1EEEZNS1_14transform_implILb1ES3_S5_PjS7_NS0_8identityIjEEEE10hipError_tT2_T3_mT4_P12ihipStream_tbEUlT_E_NS1_11comp_targetILNS1_3genE2ELNS1_11target_archE906ELNS1_3gpuE6ELNS1_3repE0EEENS1_30default_config_static_selectorELNS0_4arch9wavefront6targetE1EEEvT1_,"axG",@progbits,_ZN7rocprim17ROCPRIM_400000_NS6detail17trampoline_kernelINS0_14default_configENS1_25transform_config_selectorIjLb1EEEZNS1_14transform_implILb1ES3_S5_PjS7_NS0_8identityIjEEEE10hipError_tT2_T3_mT4_P12ihipStream_tbEUlT_E_NS1_11comp_targetILNS1_3genE2ELNS1_11target_archE906ELNS1_3gpuE6ELNS1_3repE0EEENS1_30default_config_static_selectorELNS0_4arch9wavefront6targetE1EEEvT1_,comdat
	.protected	_ZN7rocprim17ROCPRIM_400000_NS6detail17trampoline_kernelINS0_14default_configENS1_25transform_config_selectorIjLb1EEEZNS1_14transform_implILb1ES3_S5_PjS7_NS0_8identityIjEEEE10hipError_tT2_T3_mT4_P12ihipStream_tbEUlT_E_NS1_11comp_targetILNS1_3genE2ELNS1_11target_archE906ELNS1_3gpuE6ELNS1_3repE0EEENS1_30default_config_static_selectorELNS0_4arch9wavefront6targetE1EEEvT1_ ; -- Begin function _ZN7rocprim17ROCPRIM_400000_NS6detail17trampoline_kernelINS0_14default_configENS1_25transform_config_selectorIjLb1EEEZNS1_14transform_implILb1ES3_S5_PjS7_NS0_8identityIjEEEE10hipError_tT2_T3_mT4_P12ihipStream_tbEUlT_E_NS1_11comp_targetILNS1_3genE2ELNS1_11target_archE906ELNS1_3gpuE6ELNS1_3repE0EEENS1_30default_config_static_selectorELNS0_4arch9wavefront6targetE1EEEvT1_
	.globl	_ZN7rocprim17ROCPRIM_400000_NS6detail17trampoline_kernelINS0_14default_configENS1_25transform_config_selectorIjLb1EEEZNS1_14transform_implILb1ES3_S5_PjS7_NS0_8identityIjEEEE10hipError_tT2_T3_mT4_P12ihipStream_tbEUlT_E_NS1_11comp_targetILNS1_3genE2ELNS1_11target_archE906ELNS1_3gpuE6ELNS1_3repE0EEENS1_30default_config_static_selectorELNS0_4arch9wavefront6targetE1EEEvT1_
	.p2align	8
	.type	_ZN7rocprim17ROCPRIM_400000_NS6detail17trampoline_kernelINS0_14default_configENS1_25transform_config_selectorIjLb1EEEZNS1_14transform_implILb1ES3_S5_PjS7_NS0_8identityIjEEEE10hipError_tT2_T3_mT4_P12ihipStream_tbEUlT_E_NS1_11comp_targetILNS1_3genE2ELNS1_11target_archE906ELNS1_3gpuE6ELNS1_3repE0EEENS1_30default_config_static_selectorELNS0_4arch9wavefront6targetE1EEEvT1_,@function
_ZN7rocprim17ROCPRIM_400000_NS6detail17trampoline_kernelINS0_14default_configENS1_25transform_config_selectorIjLb1EEEZNS1_14transform_implILb1ES3_S5_PjS7_NS0_8identityIjEEEE10hipError_tT2_T3_mT4_P12ihipStream_tbEUlT_E_NS1_11comp_targetILNS1_3genE2ELNS1_11target_archE906ELNS1_3gpuE6ELNS1_3repE0EEENS1_30default_config_static_selectorELNS0_4arch9wavefront6targetE1EEEvT1_: ; @_ZN7rocprim17ROCPRIM_400000_NS6detail17trampoline_kernelINS0_14default_configENS1_25transform_config_selectorIjLb1EEEZNS1_14transform_implILb1ES3_S5_PjS7_NS0_8identityIjEEEE10hipError_tT2_T3_mT4_P12ihipStream_tbEUlT_E_NS1_11comp_targetILNS1_3genE2ELNS1_11target_archE906ELNS1_3gpuE6ELNS1_3repE0EEENS1_30default_config_static_selectorELNS0_4arch9wavefront6targetE1EEEvT1_
; %bb.0:
	.section	.rodata,"a",@progbits
	.p2align	6, 0x0
	.amdhsa_kernel _ZN7rocprim17ROCPRIM_400000_NS6detail17trampoline_kernelINS0_14default_configENS1_25transform_config_selectorIjLb1EEEZNS1_14transform_implILb1ES3_S5_PjS7_NS0_8identityIjEEEE10hipError_tT2_T3_mT4_P12ihipStream_tbEUlT_E_NS1_11comp_targetILNS1_3genE2ELNS1_11target_archE906ELNS1_3gpuE6ELNS1_3repE0EEENS1_30default_config_static_selectorELNS0_4arch9wavefront6targetE1EEEvT1_
		.amdhsa_group_segment_fixed_size 0
		.amdhsa_private_segment_fixed_size 0
		.amdhsa_kernarg_size 40
		.amdhsa_user_sgpr_count 6
		.amdhsa_user_sgpr_private_segment_buffer 1
		.amdhsa_user_sgpr_dispatch_ptr 0
		.amdhsa_user_sgpr_queue_ptr 0
		.amdhsa_user_sgpr_kernarg_segment_ptr 1
		.amdhsa_user_sgpr_dispatch_id 0
		.amdhsa_user_sgpr_flat_scratch_init 0
		.amdhsa_user_sgpr_kernarg_preload_length 0
		.amdhsa_user_sgpr_kernarg_preload_offset 0
		.amdhsa_user_sgpr_private_segment_size 0
		.amdhsa_uses_dynamic_stack 0
		.amdhsa_system_sgpr_private_segment_wavefront_offset 0
		.amdhsa_system_sgpr_workgroup_id_x 1
		.amdhsa_system_sgpr_workgroup_id_y 0
		.amdhsa_system_sgpr_workgroup_id_z 0
		.amdhsa_system_sgpr_workgroup_info 0
		.amdhsa_system_vgpr_workitem_id 0
		.amdhsa_next_free_vgpr 1
		.amdhsa_next_free_sgpr 0
		.amdhsa_accum_offset 4
		.amdhsa_reserve_vcc 0
		.amdhsa_reserve_flat_scratch 0
		.amdhsa_float_round_mode_32 0
		.amdhsa_float_round_mode_16_64 0
		.amdhsa_float_denorm_mode_32 3
		.amdhsa_float_denorm_mode_16_64 3
		.amdhsa_dx10_clamp 1
		.amdhsa_ieee_mode 1
		.amdhsa_fp16_overflow 0
		.amdhsa_tg_split 0
		.amdhsa_exception_fp_ieee_invalid_op 0
		.amdhsa_exception_fp_denorm_src 0
		.amdhsa_exception_fp_ieee_div_zero 0
		.amdhsa_exception_fp_ieee_overflow 0
		.amdhsa_exception_fp_ieee_underflow 0
		.amdhsa_exception_fp_ieee_inexact 0
		.amdhsa_exception_int_div_zero 0
	.end_amdhsa_kernel
	.section	.text._ZN7rocprim17ROCPRIM_400000_NS6detail17trampoline_kernelINS0_14default_configENS1_25transform_config_selectorIjLb1EEEZNS1_14transform_implILb1ES3_S5_PjS7_NS0_8identityIjEEEE10hipError_tT2_T3_mT4_P12ihipStream_tbEUlT_E_NS1_11comp_targetILNS1_3genE2ELNS1_11target_archE906ELNS1_3gpuE6ELNS1_3repE0EEENS1_30default_config_static_selectorELNS0_4arch9wavefront6targetE1EEEvT1_,"axG",@progbits,_ZN7rocprim17ROCPRIM_400000_NS6detail17trampoline_kernelINS0_14default_configENS1_25transform_config_selectorIjLb1EEEZNS1_14transform_implILb1ES3_S5_PjS7_NS0_8identityIjEEEE10hipError_tT2_T3_mT4_P12ihipStream_tbEUlT_E_NS1_11comp_targetILNS1_3genE2ELNS1_11target_archE906ELNS1_3gpuE6ELNS1_3repE0EEENS1_30default_config_static_selectorELNS0_4arch9wavefront6targetE1EEEvT1_,comdat
.Lfunc_end491:
	.size	_ZN7rocprim17ROCPRIM_400000_NS6detail17trampoline_kernelINS0_14default_configENS1_25transform_config_selectorIjLb1EEEZNS1_14transform_implILb1ES3_S5_PjS7_NS0_8identityIjEEEE10hipError_tT2_T3_mT4_P12ihipStream_tbEUlT_E_NS1_11comp_targetILNS1_3genE2ELNS1_11target_archE906ELNS1_3gpuE6ELNS1_3repE0EEENS1_30default_config_static_selectorELNS0_4arch9wavefront6targetE1EEEvT1_, .Lfunc_end491-_ZN7rocprim17ROCPRIM_400000_NS6detail17trampoline_kernelINS0_14default_configENS1_25transform_config_selectorIjLb1EEEZNS1_14transform_implILb1ES3_S5_PjS7_NS0_8identityIjEEEE10hipError_tT2_T3_mT4_P12ihipStream_tbEUlT_E_NS1_11comp_targetILNS1_3genE2ELNS1_11target_archE906ELNS1_3gpuE6ELNS1_3repE0EEENS1_30default_config_static_selectorELNS0_4arch9wavefront6targetE1EEEvT1_
                                        ; -- End function
	.section	.AMDGPU.csdata,"",@progbits
; Kernel info:
; codeLenInByte = 0
; NumSgprs: 4
; NumVgprs: 0
; NumAgprs: 0
; TotalNumVgprs: 0
; ScratchSize: 0
; MemoryBound: 0
; FloatMode: 240
; IeeeMode: 1
; LDSByteSize: 0 bytes/workgroup (compile time only)
; SGPRBlocks: 0
; VGPRBlocks: 0
; NumSGPRsForWavesPerEU: 4
; NumVGPRsForWavesPerEU: 1
; AccumOffset: 4
; Occupancy: 8
; WaveLimiterHint : 0
; COMPUTE_PGM_RSRC2:SCRATCH_EN: 0
; COMPUTE_PGM_RSRC2:USER_SGPR: 6
; COMPUTE_PGM_RSRC2:TRAP_HANDLER: 0
; COMPUTE_PGM_RSRC2:TGID_X_EN: 1
; COMPUTE_PGM_RSRC2:TGID_Y_EN: 0
; COMPUTE_PGM_RSRC2:TGID_Z_EN: 0
; COMPUTE_PGM_RSRC2:TIDIG_COMP_CNT: 0
; COMPUTE_PGM_RSRC3_GFX90A:ACCUM_OFFSET: 0
; COMPUTE_PGM_RSRC3_GFX90A:TG_SPLIT: 0
	.section	.text._ZN7rocprim17ROCPRIM_400000_NS6detail17trampoline_kernelINS0_14default_configENS1_25transform_config_selectorIjLb1EEEZNS1_14transform_implILb1ES3_S5_PjS7_NS0_8identityIjEEEE10hipError_tT2_T3_mT4_P12ihipStream_tbEUlT_E_NS1_11comp_targetILNS1_3genE9ELNS1_11target_archE1100ELNS1_3gpuE3ELNS1_3repE0EEENS1_30default_config_static_selectorELNS0_4arch9wavefront6targetE1EEEvT1_,"axG",@progbits,_ZN7rocprim17ROCPRIM_400000_NS6detail17trampoline_kernelINS0_14default_configENS1_25transform_config_selectorIjLb1EEEZNS1_14transform_implILb1ES3_S5_PjS7_NS0_8identityIjEEEE10hipError_tT2_T3_mT4_P12ihipStream_tbEUlT_E_NS1_11comp_targetILNS1_3genE9ELNS1_11target_archE1100ELNS1_3gpuE3ELNS1_3repE0EEENS1_30default_config_static_selectorELNS0_4arch9wavefront6targetE1EEEvT1_,comdat
	.protected	_ZN7rocprim17ROCPRIM_400000_NS6detail17trampoline_kernelINS0_14default_configENS1_25transform_config_selectorIjLb1EEEZNS1_14transform_implILb1ES3_S5_PjS7_NS0_8identityIjEEEE10hipError_tT2_T3_mT4_P12ihipStream_tbEUlT_E_NS1_11comp_targetILNS1_3genE9ELNS1_11target_archE1100ELNS1_3gpuE3ELNS1_3repE0EEENS1_30default_config_static_selectorELNS0_4arch9wavefront6targetE1EEEvT1_ ; -- Begin function _ZN7rocprim17ROCPRIM_400000_NS6detail17trampoline_kernelINS0_14default_configENS1_25transform_config_selectorIjLb1EEEZNS1_14transform_implILb1ES3_S5_PjS7_NS0_8identityIjEEEE10hipError_tT2_T3_mT4_P12ihipStream_tbEUlT_E_NS1_11comp_targetILNS1_3genE9ELNS1_11target_archE1100ELNS1_3gpuE3ELNS1_3repE0EEENS1_30default_config_static_selectorELNS0_4arch9wavefront6targetE1EEEvT1_
	.globl	_ZN7rocprim17ROCPRIM_400000_NS6detail17trampoline_kernelINS0_14default_configENS1_25transform_config_selectorIjLb1EEEZNS1_14transform_implILb1ES3_S5_PjS7_NS0_8identityIjEEEE10hipError_tT2_T3_mT4_P12ihipStream_tbEUlT_E_NS1_11comp_targetILNS1_3genE9ELNS1_11target_archE1100ELNS1_3gpuE3ELNS1_3repE0EEENS1_30default_config_static_selectorELNS0_4arch9wavefront6targetE1EEEvT1_
	.p2align	8
	.type	_ZN7rocprim17ROCPRIM_400000_NS6detail17trampoline_kernelINS0_14default_configENS1_25transform_config_selectorIjLb1EEEZNS1_14transform_implILb1ES3_S5_PjS7_NS0_8identityIjEEEE10hipError_tT2_T3_mT4_P12ihipStream_tbEUlT_E_NS1_11comp_targetILNS1_3genE9ELNS1_11target_archE1100ELNS1_3gpuE3ELNS1_3repE0EEENS1_30default_config_static_selectorELNS0_4arch9wavefront6targetE1EEEvT1_,@function
_ZN7rocprim17ROCPRIM_400000_NS6detail17trampoline_kernelINS0_14default_configENS1_25transform_config_selectorIjLb1EEEZNS1_14transform_implILb1ES3_S5_PjS7_NS0_8identityIjEEEE10hipError_tT2_T3_mT4_P12ihipStream_tbEUlT_E_NS1_11comp_targetILNS1_3genE9ELNS1_11target_archE1100ELNS1_3gpuE3ELNS1_3repE0EEENS1_30default_config_static_selectorELNS0_4arch9wavefront6targetE1EEEvT1_: ; @_ZN7rocprim17ROCPRIM_400000_NS6detail17trampoline_kernelINS0_14default_configENS1_25transform_config_selectorIjLb1EEEZNS1_14transform_implILb1ES3_S5_PjS7_NS0_8identityIjEEEE10hipError_tT2_T3_mT4_P12ihipStream_tbEUlT_E_NS1_11comp_targetILNS1_3genE9ELNS1_11target_archE1100ELNS1_3gpuE3ELNS1_3repE0EEENS1_30default_config_static_selectorELNS0_4arch9wavefront6targetE1EEEvT1_
; %bb.0:
	.section	.rodata,"a",@progbits
	.p2align	6, 0x0
	.amdhsa_kernel _ZN7rocprim17ROCPRIM_400000_NS6detail17trampoline_kernelINS0_14default_configENS1_25transform_config_selectorIjLb1EEEZNS1_14transform_implILb1ES3_S5_PjS7_NS0_8identityIjEEEE10hipError_tT2_T3_mT4_P12ihipStream_tbEUlT_E_NS1_11comp_targetILNS1_3genE9ELNS1_11target_archE1100ELNS1_3gpuE3ELNS1_3repE0EEENS1_30default_config_static_selectorELNS0_4arch9wavefront6targetE1EEEvT1_
		.amdhsa_group_segment_fixed_size 0
		.amdhsa_private_segment_fixed_size 0
		.amdhsa_kernarg_size 40
		.amdhsa_user_sgpr_count 6
		.amdhsa_user_sgpr_private_segment_buffer 1
		.amdhsa_user_sgpr_dispatch_ptr 0
		.amdhsa_user_sgpr_queue_ptr 0
		.amdhsa_user_sgpr_kernarg_segment_ptr 1
		.amdhsa_user_sgpr_dispatch_id 0
		.amdhsa_user_sgpr_flat_scratch_init 0
		.amdhsa_user_sgpr_kernarg_preload_length 0
		.amdhsa_user_sgpr_kernarg_preload_offset 0
		.amdhsa_user_sgpr_private_segment_size 0
		.amdhsa_uses_dynamic_stack 0
		.amdhsa_system_sgpr_private_segment_wavefront_offset 0
		.amdhsa_system_sgpr_workgroup_id_x 1
		.amdhsa_system_sgpr_workgroup_id_y 0
		.amdhsa_system_sgpr_workgroup_id_z 0
		.amdhsa_system_sgpr_workgroup_info 0
		.amdhsa_system_vgpr_workitem_id 0
		.amdhsa_next_free_vgpr 1
		.amdhsa_next_free_sgpr 0
		.amdhsa_accum_offset 4
		.amdhsa_reserve_vcc 0
		.amdhsa_reserve_flat_scratch 0
		.amdhsa_float_round_mode_32 0
		.amdhsa_float_round_mode_16_64 0
		.amdhsa_float_denorm_mode_32 3
		.amdhsa_float_denorm_mode_16_64 3
		.amdhsa_dx10_clamp 1
		.amdhsa_ieee_mode 1
		.amdhsa_fp16_overflow 0
		.amdhsa_tg_split 0
		.amdhsa_exception_fp_ieee_invalid_op 0
		.amdhsa_exception_fp_denorm_src 0
		.amdhsa_exception_fp_ieee_div_zero 0
		.amdhsa_exception_fp_ieee_overflow 0
		.amdhsa_exception_fp_ieee_underflow 0
		.amdhsa_exception_fp_ieee_inexact 0
		.amdhsa_exception_int_div_zero 0
	.end_amdhsa_kernel
	.section	.text._ZN7rocprim17ROCPRIM_400000_NS6detail17trampoline_kernelINS0_14default_configENS1_25transform_config_selectorIjLb1EEEZNS1_14transform_implILb1ES3_S5_PjS7_NS0_8identityIjEEEE10hipError_tT2_T3_mT4_P12ihipStream_tbEUlT_E_NS1_11comp_targetILNS1_3genE9ELNS1_11target_archE1100ELNS1_3gpuE3ELNS1_3repE0EEENS1_30default_config_static_selectorELNS0_4arch9wavefront6targetE1EEEvT1_,"axG",@progbits,_ZN7rocprim17ROCPRIM_400000_NS6detail17trampoline_kernelINS0_14default_configENS1_25transform_config_selectorIjLb1EEEZNS1_14transform_implILb1ES3_S5_PjS7_NS0_8identityIjEEEE10hipError_tT2_T3_mT4_P12ihipStream_tbEUlT_E_NS1_11comp_targetILNS1_3genE9ELNS1_11target_archE1100ELNS1_3gpuE3ELNS1_3repE0EEENS1_30default_config_static_selectorELNS0_4arch9wavefront6targetE1EEEvT1_,comdat
.Lfunc_end492:
	.size	_ZN7rocprim17ROCPRIM_400000_NS6detail17trampoline_kernelINS0_14default_configENS1_25transform_config_selectorIjLb1EEEZNS1_14transform_implILb1ES3_S5_PjS7_NS0_8identityIjEEEE10hipError_tT2_T3_mT4_P12ihipStream_tbEUlT_E_NS1_11comp_targetILNS1_3genE9ELNS1_11target_archE1100ELNS1_3gpuE3ELNS1_3repE0EEENS1_30default_config_static_selectorELNS0_4arch9wavefront6targetE1EEEvT1_, .Lfunc_end492-_ZN7rocprim17ROCPRIM_400000_NS6detail17trampoline_kernelINS0_14default_configENS1_25transform_config_selectorIjLb1EEEZNS1_14transform_implILb1ES3_S5_PjS7_NS0_8identityIjEEEE10hipError_tT2_T3_mT4_P12ihipStream_tbEUlT_E_NS1_11comp_targetILNS1_3genE9ELNS1_11target_archE1100ELNS1_3gpuE3ELNS1_3repE0EEENS1_30default_config_static_selectorELNS0_4arch9wavefront6targetE1EEEvT1_
                                        ; -- End function
	.section	.AMDGPU.csdata,"",@progbits
; Kernel info:
; codeLenInByte = 0
; NumSgprs: 4
; NumVgprs: 0
; NumAgprs: 0
; TotalNumVgprs: 0
; ScratchSize: 0
; MemoryBound: 0
; FloatMode: 240
; IeeeMode: 1
; LDSByteSize: 0 bytes/workgroup (compile time only)
; SGPRBlocks: 0
; VGPRBlocks: 0
; NumSGPRsForWavesPerEU: 4
; NumVGPRsForWavesPerEU: 1
; AccumOffset: 4
; Occupancy: 8
; WaveLimiterHint : 0
; COMPUTE_PGM_RSRC2:SCRATCH_EN: 0
; COMPUTE_PGM_RSRC2:USER_SGPR: 6
; COMPUTE_PGM_RSRC2:TRAP_HANDLER: 0
; COMPUTE_PGM_RSRC2:TGID_X_EN: 1
; COMPUTE_PGM_RSRC2:TGID_Y_EN: 0
; COMPUTE_PGM_RSRC2:TGID_Z_EN: 0
; COMPUTE_PGM_RSRC2:TIDIG_COMP_CNT: 0
; COMPUTE_PGM_RSRC3_GFX90A:ACCUM_OFFSET: 0
; COMPUTE_PGM_RSRC3_GFX90A:TG_SPLIT: 0
	.section	.text._ZN7rocprim17ROCPRIM_400000_NS6detail17trampoline_kernelINS0_14default_configENS1_25transform_config_selectorIjLb1EEEZNS1_14transform_implILb1ES3_S5_PjS7_NS0_8identityIjEEEE10hipError_tT2_T3_mT4_P12ihipStream_tbEUlT_E_NS1_11comp_targetILNS1_3genE8ELNS1_11target_archE1030ELNS1_3gpuE2ELNS1_3repE0EEENS1_30default_config_static_selectorELNS0_4arch9wavefront6targetE1EEEvT1_,"axG",@progbits,_ZN7rocprim17ROCPRIM_400000_NS6detail17trampoline_kernelINS0_14default_configENS1_25transform_config_selectorIjLb1EEEZNS1_14transform_implILb1ES3_S5_PjS7_NS0_8identityIjEEEE10hipError_tT2_T3_mT4_P12ihipStream_tbEUlT_E_NS1_11comp_targetILNS1_3genE8ELNS1_11target_archE1030ELNS1_3gpuE2ELNS1_3repE0EEENS1_30default_config_static_selectorELNS0_4arch9wavefront6targetE1EEEvT1_,comdat
	.protected	_ZN7rocprim17ROCPRIM_400000_NS6detail17trampoline_kernelINS0_14default_configENS1_25transform_config_selectorIjLb1EEEZNS1_14transform_implILb1ES3_S5_PjS7_NS0_8identityIjEEEE10hipError_tT2_T3_mT4_P12ihipStream_tbEUlT_E_NS1_11comp_targetILNS1_3genE8ELNS1_11target_archE1030ELNS1_3gpuE2ELNS1_3repE0EEENS1_30default_config_static_selectorELNS0_4arch9wavefront6targetE1EEEvT1_ ; -- Begin function _ZN7rocprim17ROCPRIM_400000_NS6detail17trampoline_kernelINS0_14default_configENS1_25transform_config_selectorIjLb1EEEZNS1_14transform_implILb1ES3_S5_PjS7_NS0_8identityIjEEEE10hipError_tT2_T3_mT4_P12ihipStream_tbEUlT_E_NS1_11comp_targetILNS1_3genE8ELNS1_11target_archE1030ELNS1_3gpuE2ELNS1_3repE0EEENS1_30default_config_static_selectorELNS0_4arch9wavefront6targetE1EEEvT1_
	.globl	_ZN7rocprim17ROCPRIM_400000_NS6detail17trampoline_kernelINS0_14default_configENS1_25transform_config_selectorIjLb1EEEZNS1_14transform_implILb1ES3_S5_PjS7_NS0_8identityIjEEEE10hipError_tT2_T3_mT4_P12ihipStream_tbEUlT_E_NS1_11comp_targetILNS1_3genE8ELNS1_11target_archE1030ELNS1_3gpuE2ELNS1_3repE0EEENS1_30default_config_static_selectorELNS0_4arch9wavefront6targetE1EEEvT1_
	.p2align	8
	.type	_ZN7rocprim17ROCPRIM_400000_NS6detail17trampoline_kernelINS0_14default_configENS1_25transform_config_selectorIjLb1EEEZNS1_14transform_implILb1ES3_S5_PjS7_NS0_8identityIjEEEE10hipError_tT2_T3_mT4_P12ihipStream_tbEUlT_E_NS1_11comp_targetILNS1_3genE8ELNS1_11target_archE1030ELNS1_3gpuE2ELNS1_3repE0EEENS1_30default_config_static_selectorELNS0_4arch9wavefront6targetE1EEEvT1_,@function
_ZN7rocprim17ROCPRIM_400000_NS6detail17trampoline_kernelINS0_14default_configENS1_25transform_config_selectorIjLb1EEEZNS1_14transform_implILb1ES3_S5_PjS7_NS0_8identityIjEEEE10hipError_tT2_T3_mT4_P12ihipStream_tbEUlT_E_NS1_11comp_targetILNS1_3genE8ELNS1_11target_archE1030ELNS1_3gpuE2ELNS1_3repE0EEENS1_30default_config_static_selectorELNS0_4arch9wavefront6targetE1EEEvT1_: ; @_ZN7rocprim17ROCPRIM_400000_NS6detail17trampoline_kernelINS0_14default_configENS1_25transform_config_selectorIjLb1EEEZNS1_14transform_implILb1ES3_S5_PjS7_NS0_8identityIjEEEE10hipError_tT2_T3_mT4_P12ihipStream_tbEUlT_E_NS1_11comp_targetILNS1_3genE8ELNS1_11target_archE1030ELNS1_3gpuE2ELNS1_3repE0EEENS1_30default_config_static_selectorELNS0_4arch9wavefront6targetE1EEEvT1_
; %bb.0:
	.section	.rodata,"a",@progbits
	.p2align	6, 0x0
	.amdhsa_kernel _ZN7rocprim17ROCPRIM_400000_NS6detail17trampoline_kernelINS0_14default_configENS1_25transform_config_selectorIjLb1EEEZNS1_14transform_implILb1ES3_S5_PjS7_NS0_8identityIjEEEE10hipError_tT2_T3_mT4_P12ihipStream_tbEUlT_E_NS1_11comp_targetILNS1_3genE8ELNS1_11target_archE1030ELNS1_3gpuE2ELNS1_3repE0EEENS1_30default_config_static_selectorELNS0_4arch9wavefront6targetE1EEEvT1_
		.amdhsa_group_segment_fixed_size 0
		.amdhsa_private_segment_fixed_size 0
		.amdhsa_kernarg_size 40
		.amdhsa_user_sgpr_count 6
		.amdhsa_user_sgpr_private_segment_buffer 1
		.amdhsa_user_sgpr_dispatch_ptr 0
		.amdhsa_user_sgpr_queue_ptr 0
		.amdhsa_user_sgpr_kernarg_segment_ptr 1
		.amdhsa_user_sgpr_dispatch_id 0
		.amdhsa_user_sgpr_flat_scratch_init 0
		.amdhsa_user_sgpr_kernarg_preload_length 0
		.amdhsa_user_sgpr_kernarg_preload_offset 0
		.amdhsa_user_sgpr_private_segment_size 0
		.amdhsa_uses_dynamic_stack 0
		.amdhsa_system_sgpr_private_segment_wavefront_offset 0
		.amdhsa_system_sgpr_workgroup_id_x 1
		.amdhsa_system_sgpr_workgroup_id_y 0
		.amdhsa_system_sgpr_workgroup_id_z 0
		.amdhsa_system_sgpr_workgroup_info 0
		.amdhsa_system_vgpr_workitem_id 0
		.amdhsa_next_free_vgpr 1
		.amdhsa_next_free_sgpr 0
		.amdhsa_accum_offset 4
		.amdhsa_reserve_vcc 0
		.amdhsa_reserve_flat_scratch 0
		.amdhsa_float_round_mode_32 0
		.amdhsa_float_round_mode_16_64 0
		.amdhsa_float_denorm_mode_32 3
		.amdhsa_float_denorm_mode_16_64 3
		.amdhsa_dx10_clamp 1
		.amdhsa_ieee_mode 1
		.amdhsa_fp16_overflow 0
		.amdhsa_tg_split 0
		.amdhsa_exception_fp_ieee_invalid_op 0
		.amdhsa_exception_fp_denorm_src 0
		.amdhsa_exception_fp_ieee_div_zero 0
		.amdhsa_exception_fp_ieee_overflow 0
		.amdhsa_exception_fp_ieee_underflow 0
		.amdhsa_exception_fp_ieee_inexact 0
		.amdhsa_exception_int_div_zero 0
	.end_amdhsa_kernel
	.section	.text._ZN7rocprim17ROCPRIM_400000_NS6detail17trampoline_kernelINS0_14default_configENS1_25transform_config_selectorIjLb1EEEZNS1_14transform_implILb1ES3_S5_PjS7_NS0_8identityIjEEEE10hipError_tT2_T3_mT4_P12ihipStream_tbEUlT_E_NS1_11comp_targetILNS1_3genE8ELNS1_11target_archE1030ELNS1_3gpuE2ELNS1_3repE0EEENS1_30default_config_static_selectorELNS0_4arch9wavefront6targetE1EEEvT1_,"axG",@progbits,_ZN7rocprim17ROCPRIM_400000_NS6detail17trampoline_kernelINS0_14default_configENS1_25transform_config_selectorIjLb1EEEZNS1_14transform_implILb1ES3_S5_PjS7_NS0_8identityIjEEEE10hipError_tT2_T3_mT4_P12ihipStream_tbEUlT_E_NS1_11comp_targetILNS1_3genE8ELNS1_11target_archE1030ELNS1_3gpuE2ELNS1_3repE0EEENS1_30default_config_static_selectorELNS0_4arch9wavefront6targetE1EEEvT1_,comdat
.Lfunc_end493:
	.size	_ZN7rocprim17ROCPRIM_400000_NS6detail17trampoline_kernelINS0_14default_configENS1_25transform_config_selectorIjLb1EEEZNS1_14transform_implILb1ES3_S5_PjS7_NS0_8identityIjEEEE10hipError_tT2_T3_mT4_P12ihipStream_tbEUlT_E_NS1_11comp_targetILNS1_3genE8ELNS1_11target_archE1030ELNS1_3gpuE2ELNS1_3repE0EEENS1_30default_config_static_selectorELNS0_4arch9wavefront6targetE1EEEvT1_, .Lfunc_end493-_ZN7rocprim17ROCPRIM_400000_NS6detail17trampoline_kernelINS0_14default_configENS1_25transform_config_selectorIjLb1EEEZNS1_14transform_implILb1ES3_S5_PjS7_NS0_8identityIjEEEE10hipError_tT2_T3_mT4_P12ihipStream_tbEUlT_E_NS1_11comp_targetILNS1_3genE8ELNS1_11target_archE1030ELNS1_3gpuE2ELNS1_3repE0EEENS1_30default_config_static_selectorELNS0_4arch9wavefront6targetE1EEEvT1_
                                        ; -- End function
	.section	.AMDGPU.csdata,"",@progbits
; Kernel info:
; codeLenInByte = 0
; NumSgprs: 4
; NumVgprs: 0
; NumAgprs: 0
; TotalNumVgprs: 0
; ScratchSize: 0
; MemoryBound: 0
; FloatMode: 240
; IeeeMode: 1
; LDSByteSize: 0 bytes/workgroup (compile time only)
; SGPRBlocks: 0
; VGPRBlocks: 0
; NumSGPRsForWavesPerEU: 4
; NumVGPRsForWavesPerEU: 1
; AccumOffset: 4
; Occupancy: 8
; WaveLimiterHint : 0
; COMPUTE_PGM_RSRC2:SCRATCH_EN: 0
; COMPUTE_PGM_RSRC2:USER_SGPR: 6
; COMPUTE_PGM_RSRC2:TRAP_HANDLER: 0
; COMPUTE_PGM_RSRC2:TGID_X_EN: 1
; COMPUTE_PGM_RSRC2:TGID_Y_EN: 0
; COMPUTE_PGM_RSRC2:TGID_Z_EN: 0
; COMPUTE_PGM_RSRC2:TIDIG_COMP_CNT: 0
; COMPUTE_PGM_RSRC3_GFX90A:ACCUM_OFFSET: 0
; COMPUTE_PGM_RSRC3_GFX90A:TG_SPLIT: 0
	.section	.text._ZN7rocprim17ROCPRIM_400000_NS6detail17trampoline_kernelINS0_14default_configENS1_25transform_config_selectorIyLb1EEEZNS1_14transform_implILb1ES3_S5_PyS7_NS0_8identityIyEEEE10hipError_tT2_T3_mT4_P12ihipStream_tbEUlT_E_NS1_11comp_targetILNS1_3genE0ELNS1_11target_archE4294967295ELNS1_3gpuE0ELNS1_3repE0EEENS1_30default_config_static_selectorELNS0_4arch9wavefront6targetE1EEEvT1_,"axG",@progbits,_ZN7rocprim17ROCPRIM_400000_NS6detail17trampoline_kernelINS0_14default_configENS1_25transform_config_selectorIyLb1EEEZNS1_14transform_implILb1ES3_S5_PyS7_NS0_8identityIyEEEE10hipError_tT2_T3_mT4_P12ihipStream_tbEUlT_E_NS1_11comp_targetILNS1_3genE0ELNS1_11target_archE4294967295ELNS1_3gpuE0ELNS1_3repE0EEENS1_30default_config_static_selectorELNS0_4arch9wavefront6targetE1EEEvT1_,comdat
	.protected	_ZN7rocprim17ROCPRIM_400000_NS6detail17trampoline_kernelINS0_14default_configENS1_25transform_config_selectorIyLb1EEEZNS1_14transform_implILb1ES3_S5_PyS7_NS0_8identityIyEEEE10hipError_tT2_T3_mT4_P12ihipStream_tbEUlT_E_NS1_11comp_targetILNS1_3genE0ELNS1_11target_archE4294967295ELNS1_3gpuE0ELNS1_3repE0EEENS1_30default_config_static_selectorELNS0_4arch9wavefront6targetE1EEEvT1_ ; -- Begin function _ZN7rocprim17ROCPRIM_400000_NS6detail17trampoline_kernelINS0_14default_configENS1_25transform_config_selectorIyLb1EEEZNS1_14transform_implILb1ES3_S5_PyS7_NS0_8identityIyEEEE10hipError_tT2_T3_mT4_P12ihipStream_tbEUlT_E_NS1_11comp_targetILNS1_3genE0ELNS1_11target_archE4294967295ELNS1_3gpuE0ELNS1_3repE0EEENS1_30default_config_static_selectorELNS0_4arch9wavefront6targetE1EEEvT1_
	.globl	_ZN7rocprim17ROCPRIM_400000_NS6detail17trampoline_kernelINS0_14default_configENS1_25transform_config_selectorIyLb1EEEZNS1_14transform_implILb1ES3_S5_PyS7_NS0_8identityIyEEEE10hipError_tT2_T3_mT4_P12ihipStream_tbEUlT_E_NS1_11comp_targetILNS1_3genE0ELNS1_11target_archE4294967295ELNS1_3gpuE0ELNS1_3repE0EEENS1_30default_config_static_selectorELNS0_4arch9wavefront6targetE1EEEvT1_
	.p2align	8
	.type	_ZN7rocprim17ROCPRIM_400000_NS6detail17trampoline_kernelINS0_14default_configENS1_25transform_config_selectorIyLb1EEEZNS1_14transform_implILb1ES3_S5_PyS7_NS0_8identityIyEEEE10hipError_tT2_T3_mT4_P12ihipStream_tbEUlT_E_NS1_11comp_targetILNS1_3genE0ELNS1_11target_archE4294967295ELNS1_3gpuE0ELNS1_3repE0EEENS1_30default_config_static_selectorELNS0_4arch9wavefront6targetE1EEEvT1_,@function
_ZN7rocprim17ROCPRIM_400000_NS6detail17trampoline_kernelINS0_14default_configENS1_25transform_config_selectorIyLb1EEEZNS1_14transform_implILb1ES3_S5_PyS7_NS0_8identityIyEEEE10hipError_tT2_T3_mT4_P12ihipStream_tbEUlT_E_NS1_11comp_targetILNS1_3genE0ELNS1_11target_archE4294967295ELNS1_3gpuE0ELNS1_3repE0EEENS1_30default_config_static_selectorELNS0_4arch9wavefront6targetE1EEEvT1_: ; @_ZN7rocprim17ROCPRIM_400000_NS6detail17trampoline_kernelINS0_14default_configENS1_25transform_config_selectorIyLb1EEEZNS1_14transform_implILb1ES3_S5_PyS7_NS0_8identityIyEEEE10hipError_tT2_T3_mT4_P12ihipStream_tbEUlT_E_NS1_11comp_targetILNS1_3genE0ELNS1_11target_archE4294967295ELNS1_3gpuE0ELNS1_3repE0EEENS1_30default_config_static_selectorELNS0_4arch9wavefront6targetE1EEEvT1_
; %bb.0:
	.section	.rodata,"a",@progbits
	.p2align	6, 0x0
	.amdhsa_kernel _ZN7rocprim17ROCPRIM_400000_NS6detail17trampoline_kernelINS0_14default_configENS1_25transform_config_selectorIyLb1EEEZNS1_14transform_implILb1ES3_S5_PyS7_NS0_8identityIyEEEE10hipError_tT2_T3_mT4_P12ihipStream_tbEUlT_E_NS1_11comp_targetILNS1_3genE0ELNS1_11target_archE4294967295ELNS1_3gpuE0ELNS1_3repE0EEENS1_30default_config_static_selectorELNS0_4arch9wavefront6targetE1EEEvT1_
		.amdhsa_group_segment_fixed_size 0
		.amdhsa_private_segment_fixed_size 0
		.amdhsa_kernarg_size 40
		.amdhsa_user_sgpr_count 6
		.amdhsa_user_sgpr_private_segment_buffer 1
		.amdhsa_user_sgpr_dispatch_ptr 0
		.amdhsa_user_sgpr_queue_ptr 0
		.amdhsa_user_sgpr_kernarg_segment_ptr 1
		.amdhsa_user_sgpr_dispatch_id 0
		.amdhsa_user_sgpr_flat_scratch_init 0
		.amdhsa_user_sgpr_kernarg_preload_length 0
		.amdhsa_user_sgpr_kernarg_preload_offset 0
		.amdhsa_user_sgpr_private_segment_size 0
		.amdhsa_uses_dynamic_stack 0
		.amdhsa_system_sgpr_private_segment_wavefront_offset 0
		.amdhsa_system_sgpr_workgroup_id_x 1
		.amdhsa_system_sgpr_workgroup_id_y 0
		.amdhsa_system_sgpr_workgroup_id_z 0
		.amdhsa_system_sgpr_workgroup_info 0
		.amdhsa_system_vgpr_workitem_id 0
		.amdhsa_next_free_vgpr 1
		.amdhsa_next_free_sgpr 0
		.amdhsa_accum_offset 4
		.amdhsa_reserve_vcc 0
		.amdhsa_reserve_flat_scratch 0
		.amdhsa_float_round_mode_32 0
		.amdhsa_float_round_mode_16_64 0
		.amdhsa_float_denorm_mode_32 3
		.amdhsa_float_denorm_mode_16_64 3
		.amdhsa_dx10_clamp 1
		.amdhsa_ieee_mode 1
		.amdhsa_fp16_overflow 0
		.amdhsa_tg_split 0
		.amdhsa_exception_fp_ieee_invalid_op 0
		.amdhsa_exception_fp_denorm_src 0
		.amdhsa_exception_fp_ieee_div_zero 0
		.amdhsa_exception_fp_ieee_overflow 0
		.amdhsa_exception_fp_ieee_underflow 0
		.amdhsa_exception_fp_ieee_inexact 0
		.amdhsa_exception_int_div_zero 0
	.end_amdhsa_kernel
	.section	.text._ZN7rocprim17ROCPRIM_400000_NS6detail17trampoline_kernelINS0_14default_configENS1_25transform_config_selectorIyLb1EEEZNS1_14transform_implILb1ES3_S5_PyS7_NS0_8identityIyEEEE10hipError_tT2_T3_mT4_P12ihipStream_tbEUlT_E_NS1_11comp_targetILNS1_3genE0ELNS1_11target_archE4294967295ELNS1_3gpuE0ELNS1_3repE0EEENS1_30default_config_static_selectorELNS0_4arch9wavefront6targetE1EEEvT1_,"axG",@progbits,_ZN7rocprim17ROCPRIM_400000_NS6detail17trampoline_kernelINS0_14default_configENS1_25transform_config_selectorIyLb1EEEZNS1_14transform_implILb1ES3_S5_PyS7_NS0_8identityIyEEEE10hipError_tT2_T3_mT4_P12ihipStream_tbEUlT_E_NS1_11comp_targetILNS1_3genE0ELNS1_11target_archE4294967295ELNS1_3gpuE0ELNS1_3repE0EEENS1_30default_config_static_selectorELNS0_4arch9wavefront6targetE1EEEvT1_,comdat
.Lfunc_end494:
	.size	_ZN7rocprim17ROCPRIM_400000_NS6detail17trampoline_kernelINS0_14default_configENS1_25transform_config_selectorIyLb1EEEZNS1_14transform_implILb1ES3_S5_PyS7_NS0_8identityIyEEEE10hipError_tT2_T3_mT4_P12ihipStream_tbEUlT_E_NS1_11comp_targetILNS1_3genE0ELNS1_11target_archE4294967295ELNS1_3gpuE0ELNS1_3repE0EEENS1_30default_config_static_selectorELNS0_4arch9wavefront6targetE1EEEvT1_, .Lfunc_end494-_ZN7rocprim17ROCPRIM_400000_NS6detail17trampoline_kernelINS0_14default_configENS1_25transform_config_selectorIyLb1EEEZNS1_14transform_implILb1ES3_S5_PyS7_NS0_8identityIyEEEE10hipError_tT2_T3_mT4_P12ihipStream_tbEUlT_E_NS1_11comp_targetILNS1_3genE0ELNS1_11target_archE4294967295ELNS1_3gpuE0ELNS1_3repE0EEENS1_30default_config_static_selectorELNS0_4arch9wavefront6targetE1EEEvT1_
                                        ; -- End function
	.section	.AMDGPU.csdata,"",@progbits
; Kernel info:
; codeLenInByte = 0
; NumSgprs: 4
; NumVgprs: 0
; NumAgprs: 0
; TotalNumVgprs: 0
; ScratchSize: 0
; MemoryBound: 0
; FloatMode: 240
; IeeeMode: 1
; LDSByteSize: 0 bytes/workgroup (compile time only)
; SGPRBlocks: 0
; VGPRBlocks: 0
; NumSGPRsForWavesPerEU: 4
; NumVGPRsForWavesPerEU: 1
; AccumOffset: 4
; Occupancy: 8
; WaveLimiterHint : 0
; COMPUTE_PGM_RSRC2:SCRATCH_EN: 0
; COMPUTE_PGM_RSRC2:USER_SGPR: 6
; COMPUTE_PGM_RSRC2:TRAP_HANDLER: 0
; COMPUTE_PGM_RSRC2:TGID_X_EN: 1
; COMPUTE_PGM_RSRC2:TGID_Y_EN: 0
; COMPUTE_PGM_RSRC2:TGID_Z_EN: 0
; COMPUTE_PGM_RSRC2:TIDIG_COMP_CNT: 0
; COMPUTE_PGM_RSRC3_GFX90A:ACCUM_OFFSET: 0
; COMPUTE_PGM_RSRC3_GFX90A:TG_SPLIT: 0
	.section	.text._ZN7rocprim17ROCPRIM_400000_NS6detail17trampoline_kernelINS0_14default_configENS1_25transform_config_selectorIyLb1EEEZNS1_14transform_implILb1ES3_S5_PyS7_NS0_8identityIyEEEE10hipError_tT2_T3_mT4_P12ihipStream_tbEUlT_E_NS1_11comp_targetILNS1_3genE10ELNS1_11target_archE1201ELNS1_3gpuE5ELNS1_3repE0EEENS1_30default_config_static_selectorELNS0_4arch9wavefront6targetE1EEEvT1_,"axG",@progbits,_ZN7rocprim17ROCPRIM_400000_NS6detail17trampoline_kernelINS0_14default_configENS1_25transform_config_selectorIyLb1EEEZNS1_14transform_implILb1ES3_S5_PyS7_NS0_8identityIyEEEE10hipError_tT2_T3_mT4_P12ihipStream_tbEUlT_E_NS1_11comp_targetILNS1_3genE10ELNS1_11target_archE1201ELNS1_3gpuE5ELNS1_3repE0EEENS1_30default_config_static_selectorELNS0_4arch9wavefront6targetE1EEEvT1_,comdat
	.protected	_ZN7rocprim17ROCPRIM_400000_NS6detail17trampoline_kernelINS0_14default_configENS1_25transform_config_selectorIyLb1EEEZNS1_14transform_implILb1ES3_S5_PyS7_NS0_8identityIyEEEE10hipError_tT2_T3_mT4_P12ihipStream_tbEUlT_E_NS1_11comp_targetILNS1_3genE10ELNS1_11target_archE1201ELNS1_3gpuE5ELNS1_3repE0EEENS1_30default_config_static_selectorELNS0_4arch9wavefront6targetE1EEEvT1_ ; -- Begin function _ZN7rocprim17ROCPRIM_400000_NS6detail17trampoline_kernelINS0_14default_configENS1_25transform_config_selectorIyLb1EEEZNS1_14transform_implILb1ES3_S5_PyS7_NS0_8identityIyEEEE10hipError_tT2_T3_mT4_P12ihipStream_tbEUlT_E_NS1_11comp_targetILNS1_3genE10ELNS1_11target_archE1201ELNS1_3gpuE5ELNS1_3repE0EEENS1_30default_config_static_selectorELNS0_4arch9wavefront6targetE1EEEvT1_
	.globl	_ZN7rocprim17ROCPRIM_400000_NS6detail17trampoline_kernelINS0_14default_configENS1_25transform_config_selectorIyLb1EEEZNS1_14transform_implILb1ES3_S5_PyS7_NS0_8identityIyEEEE10hipError_tT2_T3_mT4_P12ihipStream_tbEUlT_E_NS1_11comp_targetILNS1_3genE10ELNS1_11target_archE1201ELNS1_3gpuE5ELNS1_3repE0EEENS1_30default_config_static_selectorELNS0_4arch9wavefront6targetE1EEEvT1_
	.p2align	8
	.type	_ZN7rocprim17ROCPRIM_400000_NS6detail17trampoline_kernelINS0_14default_configENS1_25transform_config_selectorIyLb1EEEZNS1_14transform_implILb1ES3_S5_PyS7_NS0_8identityIyEEEE10hipError_tT2_T3_mT4_P12ihipStream_tbEUlT_E_NS1_11comp_targetILNS1_3genE10ELNS1_11target_archE1201ELNS1_3gpuE5ELNS1_3repE0EEENS1_30default_config_static_selectorELNS0_4arch9wavefront6targetE1EEEvT1_,@function
_ZN7rocprim17ROCPRIM_400000_NS6detail17trampoline_kernelINS0_14default_configENS1_25transform_config_selectorIyLb1EEEZNS1_14transform_implILb1ES3_S5_PyS7_NS0_8identityIyEEEE10hipError_tT2_T3_mT4_P12ihipStream_tbEUlT_E_NS1_11comp_targetILNS1_3genE10ELNS1_11target_archE1201ELNS1_3gpuE5ELNS1_3repE0EEENS1_30default_config_static_selectorELNS0_4arch9wavefront6targetE1EEEvT1_: ; @_ZN7rocprim17ROCPRIM_400000_NS6detail17trampoline_kernelINS0_14default_configENS1_25transform_config_selectorIyLb1EEEZNS1_14transform_implILb1ES3_S5_PyS7_NS0_8identityIyEEEE10hipError_tT2_T3_mT4_P12ihipStream_tbEUlT_E_NS1_11comp_targetILNS1_3genE10ELNS1_11target_archE1201ELNS1_3gpuE5ELNS1_3repE0EEENS1_30default_config_static_selectorELNS0_4arch9wavefront6targetE1EEEvT1_
; %bb.0:
	.section	.rodata,"a",@progbits
	.p2align	6, 0x0
	.amdhsa_kernel _ZN7rocprim17ROCPRIM_400000_NS6detail17trampoline_kernelINS0_14default_configENS1_25transform_config_selectorIyLb1EEEZNS1_14transform_implILb1ES3_S5_PyS7_NS0_8identityIyEEEE10hipError_tT2_T3_mT4_P12ihipStream_tbEUlT_E_NS1_11comp_targetILNS1_3genE10ELNS1_11target_archE1201ELNS1_3gpuE5ELNS1_3repE0EEENS1_30default_config_static_selectorELNS0_4arch9wavefront6targetE1EEEvT1_
		.amdhsa_group_segment_fixed_size 0
		.amdhsa_private_segment_fixed_size 0
		.amdhsa_kernarg_size 40
		.amdhsa_user_sgpr_count 6
		.amdhsa_user_sgpr_private_segment_buffer 1
		.amdhsa_user_sgpr_dispatch_ptr 0
		.amdhsa_user_sgpr_queue_ptr 0
		.amdhsa_user_sgpr_kernarg_segment_ptr 1
		.amdhsa_user_sgpr_dispatch_id 0
		.amdhsa_user_sgpr_flat_scratch_init 0
		.amdhsa_user_sgpr_kernarg_preload_length 0
		.amdhsa_user_sgpr_kernarg_preload_offset 0
		.amdhsa_user_sgpr_private_segment_size 0
		.amdhsa_uses_dynamic_stack 0
		.amdhsa_system_sgpr_private_segment_wavefront_offset 0
		.amdhsa_system_sgpr_workgroup_id_x 1
		.amdhsa_system_sgpr_workgroup_id_y 0
		.amdhsa_system_sgpr_workgroup_id_z 0
		.amdhsa_system_sgpr_workgroup_info 0
		.amdhsa_system_vgpr_workitem_id 0
		.amdhsa_next_free_vgpr 1
		.amdhsa_next_free_sgpr 0
		.amdhsa_accum_offset 4
		.amdhsa_reserve_vcc 0
		.amdhsa_reserve_flat_scratch 0
		.amdhsa_float_round_mode_32 0
		.amdhsa_float_round_mode_16_64 0
		.amdhsa_float_denorm_mode_32 3
		.amdhsa_float_denorm_mode_16_64 3
		.amdhsa_dx10_clamp 1
		.amdhsa_ieee_mode 1
		.amdhsa_fp16_overflow 0
		.amdhsa_tg_split 0
		.amdhsa_exception_fp_ieee_invalid_op 0
		.amdhsa_exception_fp_denorm_src 0
		.amdhsa_exception_fp_ieee_div_zero 0
		.amdhsa_exception_fp_ieee_overflow 0
		.amdhsa_exception_fp_ieee_underflow 0
		.amdhsa_exception_fp_ieee_inexact 0
		.amdhsa_exception_int_div_zero 0
	.end_amdhsa_kernel
	.section	.text._ZN7rocprim17ROCPRIM_400000_NS6detail17trampoline_kernelINS0_14default_configENS1_25transform_config_selectorIyLb1EEEZNS1_14transform_implILb1ES3_S5_PyS7_NS0_8identityIyEEEE10hipError_tT2_T3_mT4_P12ihipStream_tbEUlT_E_NS1_11comp_targetILNS1_3genE10ELNS1_11target_archE1201ELNS1_3gpuE5ELNS1_3repE0EEENS1_30default_config_static_selectorELNS0_4arch9wavefront6targetE1EEEvT1_,"axG",@progbits,_ZN7rocprim17ROCPRIM_400000_NS6detail17trampoline_kernelINS0_14default_configENS1_25transform_config_selectorIyLb1EEEZNS1_14transform_implILb1ES3_S5_PyS7_NS0_8identityIyEEEE10hipError_tT2_T3_mT4_P12ihipStream_tbEUlT_E_NS1_11comp_targetILNS1_3genE10ELNS1_11target_archE1201ELNS1_3gpuE5ELNS1_3repE0EEENS1_30default_config_static_selectorELNS0_4arch9wavefront6targetE1EEEvT1_,comdat
.Lfunc_end495:
	.size	_ZN7rocprim17ROCPRIM_400000_NS6detail17trampoline_kernelINS0_14default_configENS1_25transform_config_selectorIyLb1EEEZNS1_14transform_implILb1ES3_S5_PyS7_NS0_8identityIyEEEE10hipError_tT2_T3_mT4_P12ihipStream_tbEUlT_E_NS1_11comp_targetILNS1_3genE10ELNS1_11target_archE1201ELNS1_3gpuE5ELNS1_3repE0EEENS1_30default_config_static_selectorELNS0_4arch9wavefront6targetE1EEEvT1_, .Lfunc_end495-_ZN7rocprim17ROCPRIM_400000_NS6detail17trampoline_kernelINS0_14default_configENS1_25transform_config_selectorIyLb1EEEZNS1_14transform_implILb1ES3_S5_PyS7_NS0_8identityIyEEEE10hipError_tT2_T3_mT4_P12ihipStream_tbEUlT_E_NS1_11comp_targetILNS1_3genE10ELNS1_11target_archE1201ELNS1_3gpuE5ELNS1_3repE0EEENS1_30default_config_static_selectorELNS0_4arch9wavefront6targetE1EEEvT1_
                                        ; -- End function
	.section	.AMDGPU.csdata,"",@progbits
; Kernel info:
; codeLenInByte = 0
; NumSgprs: 4
; NumVgprs: 0
; NumAgprs: 0
; TotalNumVgprs: 0
; ScratchSize: 0
; MemoryBound: 0
; FloatMode: 240
; IeeeMode: 1
; LDSByteSize: 0 bytes/workgroup (compile time only)
; SGPRBlocks: 0
; VGPRBlocks: 0
; NumSGPRsForWavesPerEU: 4
; NumVGPRsForWavesPerEU: 1
; AccumOffset: 4
; Occupancy: 8
; WaveLimiterHint : 0
; COMPUTE_PGM_RSRC2:SCRATCH_EN: 0
; COMPUTE_PGM_RSRC2:USER_SGPR: 6
; COMPUTE_PGM_RSRC2:TRAP_HANDLER: 0
; COMPUTE_PGM_RSRC2:TGID_X_EN: 1
; COMPUTE_PGM_RSRC2:TGID_Y_EN: 0
; COMPUTE_PGM_RSRC2:TGID_Z_EN: 0
; COMPUTE_PGM_RSRC2:TIDIG_COMP_CNT: 0
; COMPUTE_PGM_RSRC3_GFX90A:ACCUM_OFFSET: 0
; COMPUTE_PGM_RSRC3_GFX90A:TG_SPLIT: 0
	.section	.text._ZN7rocprim17ROCPRIM_400000_NS6detail17trampoline_kernelINS0_14default_configENS1_25transform_config_selectorIyLb1EEEZNS1_14transform_implILb1ES3_S5_PyS7_NS0_8identityIyEEEE10hipError_tT2_T3_mT4_P12ihipStream_tbEUlT_E_NS1_11comp_targetILNS1_3genE5ELNS1_11target_archE942ELNS1_3gpuE9ELNS1_3repE0EEENS1_30default_config_static_selectorELNS0_4arch9wavefront6targetE1EEEvT1_,"axG",@progbits,_ZN7rocprim17ROCPRIM_400000_NS6detail17trampoline_kernelINS0_14default_configENS1_25transform_config_selectorIyLb1EEEZNS1_14transform_implILb1ES3_S5_PyS7_NS0_8identityIyEEEE10hipError_tT2_T3_mT4_P12ihipStream_tbEUlT_E_NS1_11comp_targetILNS1_3genE5ELNS1_11target_archE942ELNS1_3gpuE9ELNS1_3repE0EEENS1_30default_config_static_selectorELNS0_4arch9wavefront6targetE1EEEvT1_,comdat
	.protected	_ZN7rocprim17ROCPRIM_400000_NS6detail17trampoline_kernelINS0_14default_configENS1_25transform_config_selectorIyLb1EEEZNS1_14transform_implILb1ES3_S5_PyS7_NS0_8identityIyEEEE10hipError_tT2_T3_mT4_P12ihipStream_tbEUlT_E_NS1_11comp_targetILNS1_3genE5ELNS1_11target_archE942ELNS1_3gpuE9ELNS1_3repE0EEENS1_30default_config_static_selectorELNS0_4arch9wavefront6targetE1EEEvT1_ ; -- Begin function _ZN7rocprim17ROCPRIM_400000_NS6detail17trampoline_kernelINS0_14default_configENS1_25transform_config_selectorIyLb1EEEZNS1_14transform_implILb1ES3_S5_PyS7_NS0_8identityIyEEEE10hipError_tT2_T3_mT4_P12ihipStream_tbEUlT_E_NS1_11comp_targetILNS1_3genE5ELNS1_11target_archE942ELNS1_3gpuE9ELNS1_3repE0EEENS1_30default_config_static_selectorELNS0_4arch9wavefront6targetE1EEEvT1_
	.globl	_ZN7rocprim17ROCPRIM_400000_NS6detail17trampoline_kernelINS0_14default_configENS1_25transform_config_selectorIyLb1EEEZNS1_14transform_implILb1ES3_S5_PyS7_NS0_8identityIyEEEE10hipError_tT2_T3_mT4_P12ihipStream_tbEUlT_E_NS1_11comp_targetILNS1_3genE5ELNS1_11target_archE942ELNS1_3gpuE9ELNS1_3repE0EEENS1_30default_config_static_selectorELNS0_4arch9wavefront6targetE1EEEvT1_
	.p2align	8
	.type	_ZN7rocprim17ROCPRIM_400000_NS6detail17trampoline_kernelINS0_14default_configENS1_25transform_config_selectorIyLb1EEEZNS1_14transform_implILb1ES3_S5_PyS7_NS0_8identityIyEEEE10hipError_tT2_T3_mT4_P12ihipStream_tbEUlT_E_NS1_11comp_targetILNS1_3genE5ELNS1_11target_archE942ELNS1_3gpuE9ELNS1_3repE0EEENS1_30default_config_static_selectorELNS0_4arch9wavefront6targetE1EEEvT1_,@function
_ZN7rocprim17ROCPRIM_400000_NS6detail17trampoline_kernelINS0_14default_configENS1_25transform_config_selectorIyLb1EEEZNS1_14transform_implILb1ES3_S5_PyS7_NS0_8identityIyEEEE10hipError_tT2_T3_mT4_P12ihipStream_tbEUlT_E_NS1_11comp_targetILNS1_3genE5ELNS1_11target_archE942ELNS1_3gpuE9ELNS1_3repE0EEENS1_30default_config_static_selectorELNS0_4arch9wavefront6targetE1EEEvT1_: ; @_ZN7rocprim17ROCPRIM_400000_NS6detail17trampoline_kernelINS0_14default_configENS1_25transform_config_selectorIyLb1EEEZNS1_14transform_implILb1ES3_S5_PyS7_NS0_8identityIyEEEE10hipError_tT2_T3_mT4_P12ihipStream_tbEUlT_E_NS1_11comp_targetILNS1_3genE5ELNS1_11target_archE942ELNS1_3gpuE9ELNS1_3repE0EEENS1_30default_config_static_selectorELNS0_4arch9wavefront6targetE1EEEvT1_
; %bb.0:
	.section	.rodata,"a",@progbits
	.p2align	6, 0x0
	.amdhsa_kernel _ZN7rocprim17ROCPRIM_400000_NS6detail17trampoline_kernelINS0_14default_configENS1_25transform_config_selectorIyLb1EEEZNS1_14transform_implILb1ES3_S5_PyS7_NS0_8identityIyEEEE10hipError_tT2_T3_mT4_P12ihipStream_tbEUlT_E_NS1_11comp_targetILNS1_3genE5ELNS1_11target_archE942ELNS1_3gpuE9ELNS1_3repE0EEENS1_30default_config_static_selectorELNS0_4arch9wavefront6targetE1EEEvT1_
		.amdhsa_group_segment_fixed_size 0
		.amdhsa_private_segment_fixed_size 0
		.amdhsa_kernarg_size 40
		.amdhsa_user_sgpr_count 6
		.amdhsa_user_sgpr_private_segment_buffer 1
		.amdhsa_user_sgpr_dispatch_ptr 0
		.amdhsa_user_sgpr_queue_ptr 0
		.amdhsa_user_sgpr_kernarg_segment_ptr 1
		.amdhsa_user_sgpr_dispatch_id 0
		.amdhsa_user_sgpr_flat_scratch_init 0
		.amdhsa_user_sgpr_kernarg_preload_length 0
		.amdhsa_user_sgpr_kernarg_preload_offset 0
		.amdhsa_user_sgpr_private_segment_size 0
		.amdhsa_uses_dynamic_stack 0
		.amdhsa_system_sgpr_private_segment_wavefront_offset 0
		.amdhsa_system_sgpr_workgroup_id_x 1
		.amdhsa_system_sgpr_workgroup_id_y 0
		.amdhsa_system_sgpr_workgroup_id_z 0
		.amdhsa_system_sgpr_workgroup_info 0
		.amdhsa_system_vgpr_workitem_id 0
		.amdhsa_next_free_vgpr 1
		.amdhsa_next_free_sgpr 0
		.amdhsa_accum_offset 4
		.amdhsa_reserve_vcc 0
		.amdhsa_reserve_flat_scratch 0
		.amdhsa_float_round_mode_32 0
		.amdhsa_float_round_mode_16_64 0
		.amdhsa_float_denorm_mode_32 3
		.amdhsa_float_denorm_mode_16_64 3
		.amdhsa_dx10_clamp 1
		.amdhsa_ieee_mode 1
		.amdhsa_fp16_overflow 0
		.amdhsa_tg_split 0
		.amdhsa_exception_fp_ieee_invalid_op 0
		.amdhsa_exception_fp_denorm_src 0
		.amdhsa_exception_fp_ieee_div_zero 0
		.amdhsa_exception_fp_ieee_overflow 0
		.amdhsa_exception_fp_ieee_underflow 0
		.amdhsa_exception_fp_ieee_inexact 0
		.amdhsa_exception_int_div_zero 0
	.end_amdhsa_kernel
	.section	.text._ZN7rocprim17ROCPRIM_400000_NS6detail17trampoline_kernelINS0_14default_configENS1_25transform_config_selectorIyLb1EEEZNS1_14transform_implILb1ES3_S5_PyS7_NS0_8identityIyEEEE10hipError_tT2_T3_mT4_P12ihipStream_tbEUlT_E_NS1_11comp_targetILNS1_3genE5ELNS1_11target_archE942ELNS1_3gpuE9ELNS1_3repE0EEENS1_30default_config_static_selectorELNS0_4arch9wavefront6targetE1EEEvT1_,"axG",@progbits,_ZN7rocprim17ROCPRIM_400000_NS6detail17trampoline_kernelINS0_14default_configENS1_25transform_config_selectorIyLb1EEEZNS1_14transform_implILb1ES3_S5_PyS7_NS0_8identityIyEEEE10hipError_tT2_T3_mT4_P12ihipStream_tbEUlT_E_NS1_11comp_targetILNS1_3genE5ELNS1_11target_archE942ELNS1_3gpuE9ELNS1_3repE0EEENS1_30default_config_static_selectorELNS0_4arch9wavefront6targetE1EEEvT1_,comdat
.Lfunc_end496:
	.size	_ZN7rocprim17ROCPRIM_400000_NS6detail17trampoline_kernelINS0_14default_configENS1_25transform_config_selectorIyLb1EEEZNS1_14transform_implILb1ES3_S5_PyS7_NS0_8identityIyEEEE10hipError_tT2_T3_mT4_P12ihipStream_tbEUlT_E_NS1_11comp_targetILNS1_3genE5ELNS1_11target_archE942ELNS1_3gpuE9ELNS1_3repE0EEENS1_30default_config_static_selectorELNS0_4arch9wavefront6targetE1EEEvT1_, .Lfunc_end496-_ZN7rocprim17ROCPRIM_400000_NS6detail17trampoline_kernelINS0_14default_configENS1_25transform_config_selectorIyLb1EEEZNS1_14transform_implILb1ES3_S5_PyS7_NS0_8identityIyEEEE10hipError_tT2_T3_mT4_P12ihipStream_tbEUlT_E_NS1_11comp_targetILNS1_3genE5ELNS1_11target_archE942ELNS1_3gpuE9ELNS1_3repE0EEENS1_30default_config_static_selectorELNS0_4arch9wavefront6targetE1EEEvT1_
                                        ; -- End function
	.section	.AMDGPU.csdata,"",@progbits
; Kernel info:
; codeLenInByte = 0
; NumSgprs: 4
; NumVgprs: 0
; NumAgprs: 0
; TotalNumVgprs: 0
; ScratchSize: 0
; MemoryBound: 0
; FloatMode: 240
; IeeeMode: 1
; LDSByteSize: 0 bytes/workgroup (compile time only)
; SGPRBlocks: 0
; VGPRBlocks: 0
; NumSGPRsForWavesPerEU: 4
; NumVGPRsForWavesPerEU: 1
; AccumOffset: 4
; Occupancy: 8
; WaveLimiterHint : 0
; COMPUTE_PGM_RSRC2:SCRATCH_EN: 0
; COMPUTE_PGM_RSRC2:USER_SGPR: 6
; COMPUTE_PGM_RSRC2:TRAP_HANDLER: 0
; COMPUTE_PGM_RSRC2:TGID_X_EN: 1
; COMPUTE_PGM_RSRC2:TGID_Y_EN: 0
; COMPUTE_PGM_RSRC2:TGID_Z_EN: 0
; COMPUTE_PGM_RSRC2:TIDIG_COMP_CNT: 0
; COMPUTE_PGM_RSRC3_GFX90A:ACCUM_OFFSET: 0
; COMPUTE_PGM_RSRC3_GFX90A:TG_SPLIT: 0
	.section	.text._ZN7rocprim17ROCPRIM_400000_NS6detail17trampoline_kernelINS0_14default_configENS1_25transform_config_selectorIyLb1EEEZNS1_14transform_implILb1ES3_S5_PyS7_NS0_8identityIyEEEE10hipError_tT2_T3_mT4_P12ihipStream_tbEUlT_E_NS1_11comp_targetILNS1_3genE4ELNS1_11target_archE910ELNS1_3gpuE8ELNS1_3repE0EEENS1_30default_config_static_selectorELNS0_4arch9wavefront6targetE1EEEvT1_,"axG",@progbits,_ZN7rocprim17ROCPRIM_400000_NS6detail17trampoline_kernelINS0_14default_configENS1_25transform_config_selectorIyLb1EEEZNS1_14transform_implILb1ES3_S5_PyS7_NS0_8identityIyEEEE10hipError_tT2_T3_mT4_P12ihipStream_tbEUlT_E_NS1_11comp_targetILNS1_3genE4ELNS1_11target_archE910ELNS1_3gpuE8ELNS1_3repE0EEENS1_30default_config_static_selectorELNS0_4arch9wavefront6targetE1EEEvT1_,comdat
	.protected	_ZN7rocprim17ROCPRIM_400000_NS6detail17trampoline_kernelINS0_14default_configENS1_25transform_config_selectorIyLb1EEEZNS1_14transform_implILb1ES3_S5_PyS7_NS0_8identityIyEEEE10hipError_tT2_T3_mT4_P12ihipStream_tbEUlT_E_NS1_11comp_targetILNS1_3genE4ELNS1_11target_archE910ELNS1_3gpuE8ELNS1_3repE0EEENS1_30default_config_static_selectorELNS0_4arch9wavefront6targetE1EEEvT1_ ; -- Begin function _ZN7rocprim17ROCPRIM_400000_NS6detail17trampoline_kernelINS0_14default_configENS1_25transform_config_selectorIyLb1EEEZNS1_14transform_implILb1ES3_S5_PyS7_NS0_8identityIyEEEE10hipError_tT2_T3_mT4_P12ihipStream_tbEUlT_E_NS1_11comp_targetILNS1_3genE4ELNS1_11target_archE910ELNS1_3gpuE8ELNS1_3repE0EEENS1_30default_config_static_selectorELNS0_4arch9wavefront6targetE1EEEvT1_
	.globl	_ZN7rocprim17ROCPRIM_400000_NS6detail17trampoline_kernelINS0_14default_configENS1_25transform_config_selectorIyLb1EEEZNS1_14transform_implILb1ES3_S5_PyS7_NS0_8identityIyEEEE10hipError_tT2_T3_mT4_P12ihipStream_tbEUlT_E_NS1_11comp_targetILNS1_3genE4ELNS1_11target_archE910ELNS1_3gpuE8ELNS1_3repE0EEENS1_30default_config_static_selectorELNS0_4arch9wavefront6targetE1EEEvT1_
	.p2align	8
	.type	_ZN7rocprim17ROCPRIM_400000_NS6detail17trampoline_kernelINS0_14default_configENS1_25transform_config_selectorIyLb1EEEZNS1_14transform_implILb1ES3_S5_PyS7_NS0_8identityIyEEEE10hipError_tT2_T3_mT4_P12ihipStream_tbEUlT_E_NS1_11comp_targetILNS1_3genE4ELNS1_11target_archE910ELNS1_3gpuE8ELNS1_3repE0EEENS1_30default_config_static_selectorELNS0_4arch9wavefront6targetE1EEEvT1_,@function
_ZN7rocprim17ROCPRIM_400000_NS6detail17trampoline_kernelINS0_14default_configENS1_25transform_config_selectorIyLb1EEEZNS1_14transform_implILb1ES3_S5_PyS7_NS0_8identityIyEEEE10hipError_tT2_T3_mT4_P12ihipStream_tbEUlT_E_NS1_11comp_targetILNS1_3genE4ELNS1_11target_archE910ELNS1_3gpuE8ELNS1_3repE0EEENS1_30default_config_static_selectorELNS0_4arch9wavefront6targetE1EEEvT1_: ; @_ZN7rocprim17ROCPRIM_400000_NS6detail17trampoline_kernelINS0_14default_configENS1_25transform_config_selectorIyLb1EEEZNS1_14transform_implILb1ES3_S5_PyS7_NS0_8identityIyEEEE10hipError_tT2_T3_mT4_P12ihipStream_tbEUlT_E_NS1_11comp_targetILNS1_3genE4ELNS1_11target_archE910ELNS1_3gpuE8ELNS1_3repE0EEENS1_30default_config_static_selectorELNS0_4arch9wavefront6targetE1EEEvT1_
; %bb.0:
	s_load_dwordx8 s[8:15], s[4:5], 0x0
	s_load_dword s2, s[4:5], 0x28
	s_waitcnt lgkmcnt(0)
	s_lshl_b64 s[0:1], s[10:11], 3
	s_add_u32 s4, s8, s0
	s_addc_u32 s5, s9, s1
	s_add_u32 s8, s14, s0
	s_addc_u32 s9, s15, s1
	s_lshl_b32 s0, s6, 11
	s_mov_b32 s1, 0
	s_add_i32 s7, s2, -1
	s_lshl_b64 s[2:3], s[0:1], 3
	s_add_u32 s4, s4, s2
	s_addc_u32 s5, s5, s3
	s_cmp_lg_u32 s6, s7
	s_mov_b64 s[6:7], -1
	s_cbranch_scc0 .LBB497_2
; %bb.1:
	v_lshlrev_b32_e32 v1, 4, v0
	global_load_dwordx4 v[2:5], v1, s[4:5]
	s_add_u32 s6, s8, s2
	s_addc_u32 s7, s9, s3
	s_waitcnt vmcnt(0)
	global_store_dwordx4 v1, v[2:5], s[6:7]
	s_mov_b64 s[6:7], 0
.LBB497_2:
	s_andn2_b64 vcc, exec, s[6:7]
	s_cbranch_vccnz .LBB497_11
; %bb.3:
	s_sub_i32 s6, s12, s0
	v_cmp_gt_u32_e32 vcc, s6, v0
	v_lshlrev_b32_e32 v1, 3, v0
                                        ; implicit-def: $vgpr2_vgpr3_vgpr4_vgpr5
	s_and_saveexec_b64 s[0:1], vcc
	s_cbranch_execz .LBB497_5
; %bb.4:
	global_load_dwordx2 v[2:3], v1, s[4:5]
.LBB497_5:
	s_or_b64 exec, exec, s[0:1]
	v_or_b32_e32 v0, 0x400, v0
	v_cmp_gt_u32_e64 s[0:1], s6, v0
	s_and_saveexec_b64 s[6:7], s[0:1]
	s_cbranch_execz .LBB497_7
; %bb.6:
	v_lshlrev_b32_e32 v0, 3, v0
	global_load_dwordx2 v[4:5], v0, s[4:5]
.LBB497_7:
	s_or_b64 exec, exec, s[6:7]
	s_add_u32 s2, s8, s2
	s_addc_u32 s3, s9, s3
	v_mov_b32_e32 v6, s3
	v_add_co_u32_e64 v0, s[2:3], s2, v1
	v_addc_co_u32_e64 v1, s[2:3], 0, v6, s[2:3]
	s_and_saveexec_b64 s[2:3], vcc
	s_cbranch_execz .LBB497_9
; %bb.8:
	s_waitcnt vmcnt(0)
	global_store_dwordx2 v[0:1], v[2:3], off
.LBB497_9:
	s_or_b64 exec, exec, s[2:3]
	s_and_saveexec_b64 s[2:3], s[0:1]
	s_cbranch_execz .LBB497_11
; %bb.10:
	v_add_co_u32_e32 v0, vcc, 0x2000, v0
	v_addc_co_u32_e32 v1, vcc, 0, v1, vcc
	s_waitcnt vmcnt(0)
	global_store_dwordx2 v[0:1], v[4:5], off
.LBB497_11:
	s_endpgm
	.section	.rodata,"a",@progbits
	.p2align	6, 0x0
	.amdhsa_kernel _ZN7rocprim17ROCPRIM_400000_NS6detail17trampoline_kernelINS0_14default_configENS1_25transform_config_selectorIyLb1EEEZNS1_14transform_implILb1ES3_S5_PyS7_NS0_8identityIyEEEE10hipError_tT2_T3_mT4_P12ihipStream_tbEUlT_E_NS1_11comp_targetILNS1_3genE4ELNS1_11target_archE910ELNS1_3gpuE8ELNS1_3repE0EEENS1_30default_config_static_selectorELNS0_4arch9wavefront6targetE1EEEvT1_
		.amdhsa_group_segment_fixed_size 0
		.amdhsa_private_segment_fixed_size 0
		.amdhsa_kernarg_size 296
		.amdhsa_user_sgpr_count 6
		.amdhsa_user_sgpr_private_segment_buffer 1
		.amdhsa_user_sgpr_dispatch_ptr 0
		.amdhsa_user_sgpr_queue_ptr 0
		.amdhsa_user_sgpr_kernarg_segment_ptr 1
		.amdhsa_user_sgpr_dispatch_id 0
		.amdhsa_user_sgpr_flat_scratch_init 0
		.amdhsa_user_sgpr_kernarg_preload_length 0
		.amdhsa_user_sgpr_kernarg_preload_offset 0
		.amdhsa_user_sgpr_private_segment_size 0
		.amdhsa_uses_dynamic_stack 0
		.amdhsa_system_sgpr_private_segment_wavefront_offset 0
		.amdhsa_system_sgpr_workgroup_id_x 1
		.amdhsa_system_sgpr_workgroup_id_y 0
		.amdhsa_system_sgpr_workgroup_id_z 0
		.amdhsa_system_sgpr_workgroup_info 0
		.amdhsa_system_vgpr_workitem_id 0
		.amdhsa_next_free_vgpr 7
		.amdhsa_next_free_sgpr 16
		.amdhsa_accum_offset 8
		.amdhsa_reserve_vcc 1
		.amdhsa_reserve_flat_scratch 0
		.amdhsa_float_round_mode_32 0
		.amdhsa_float_round_mode_16_64 0
		.amdhsa_float_denorm_mode_32 3
		.amdhsa_float_denorm_mode_16_64 3
		.amdhsa_dx10_clamp 1
		.amdhsa_ieee_mode 1
		.amdhsa_fp16_overflow 0
		.amdhsa_tg_split 0
		.amdhsa_exception_fp_ieee_invalid_op 0
		.amdhsa_exception_fp_denorm_src 0
		.amdhsa_exception_fp_ieee_div_zero 0
		.amdhsa_exception_fp_ieee_overflow 0
		.amdhsa_exception_fp_ieee_underflow 0
		.amdhsa_exception_fp_ieee_inexact 0
		.amdhsa_exception_int_div_zero 0
	.end_amdhsa_kernel
	.section	.text._ZN7rocprim17ROCPRIM_400000_NS6detail17trampoline_kernelINS0_14default_configENS1_25transform_config_selectorIyLb1EEEZNS1_14transform_implILb1ES3_S5_PyS7_NS0_8identityIyEEEE10hipError_tT2_T3_mT4_P12ihipStream_tbEUlT_E_NS1_11comp_targetILNS1_3genE4ELNS1_11target_archE910ELNS1_3gpuE8ELNS1_3repE0EEENS1_30default_config_static_selectorELNS0_4arch9wavefront6targetE1EEEvT1_,"axG",@progbits,_ZN7rocprim17ROCPRIM_400000_NS6detail17trampoline_kernelINS0_14default_configENS1_25transform_config_selectorIyLb1EEEZNS1_14transform_implILb1ES3_S5_PyS7_NS0_8identityIyEEEE10hipError_tT2_T3_mT4_P12ihipStream_tbEUlT_E_NS1_11comp_targetILNS1_3genE4ELNS1_11target_archE910ELNS1_3gpuE8ELNS1_3repE0EEENS1_30default_config_static_selectorELNS0_4arch9wavefront6targetE1EEEvT1_,comdat
.Lfunc_end497:
	.size	_ZN7rocprim17ROCPRIM_400000_NS6detail17trampoline_kernelINS0_14default_configENS1_25transform_config_selectorIyLb1EEEZNS1_14transform_implILb1ES3_S5_PyS7_NS0_8identityIyEEEE10hipError_tT2_T3_mT4_P12ihipStream_tbEUlT_E_NS1_11comp_targetILNS1_3genE4ELNS1_11target_archE910ELNS1_3gpuE8ELNS1_3repE0EEENS1_30default_config_static_selectorELNS0_4arch9wavefront6targetE1EEEvT1_, .Lfunc_end497-_ZN7rocprim17ROCPRIM_400000_NS6detail17trampoline_kernelINS0_14default_configENS1_25transform_config_selectorIyLb1EEEZNS1_14transform_implILb1ES3_S5_PyS7_NS0_8identityIyEEEE10hipError_tT2_T3_mT4_P12ihipStream_tbEUlT_E_NS1_11comp_targetILNS1_3genE4ELNS1_11target_archE910ELNS1_3gpuE8ELNS1_3repE0EEENS1_30default_config_static_selectorELNS0_4arch9wavefront6targetE1EEEvT1_
                                        ; -- End function
	.section	.AMDGPU.csdata,"",@progbits
; Kernel info:
; codeLenInByte = 280
; NumSgprs: 20
; NumVgprs: 7
; NumAgprs: 0
; TotalNumVgprs: 7
; ScratchSize: 0
; MemoryBound: 1
; FloatMode: 240
; IeeeMode: 1
; LDSByteSize: 0 bytes/workgroup (compile time only)
; SGPRBlocks: 2
; VGPRBlocks: 0
; NumSGPRsForWavesPerEU: 20
; NumVGPRsForWavesPerEU: 7
; AccumOffset: 8
; Occupancy: 8
; WaveLimiterHint : 0
; COMPUTE_PGM_RSRC2:SCRATCH_EN: 0
; COMPUTE_PGM_RSRC2:USER_SGPR: 6
; COMPUTE_PGM_RSRC2:TRAP_HANDLER: 0
; COMPUTE_PGM_RSRC2:TGID_X_EN: 1
; COMPUTE_PGM_RSRC2:TGID_Y_EN: 0
; COMPUTE_PGM_RSRC2:TGID_Z_EN: 0
; COMPUTE_PGM_RSRC2:TIDIG_COMP_CNT: 0
; COMPUTE_PGM_RSRC3_GFX90A:ACCUM_OFFSET: 1
; COMPUTE_PGM_RSRC3_GFX90A:TG_SPLIT: 0
	.section	.text._ZN7rocprim17ROCPRIM_400000_NS6detail17trampoline_kernelINS0_14default_configENS1_25transform_config_selectorIyLb1EEEZNS1_14transform_implILb1ES3_S5_PyS7_NS0_8identityIyEEEE10hipError_tT2_T3_mT4_P12ihipStream_tbEUlT_E_NS1_11comp_targetILNS1_3genE3ELNS1_11target_archE908ELNS1_3gpuE7ELNS1_3repE0EEENS1_30default_config_static_selectorELNS0_4arch9wavefront6targetE1EEEvT1_,"axG",@progbits,_ZN7rocprim17ROCPRIM_400000_NS6detail17trampoline_kernelINS0_14default_configENS1_25transform_config_selectorIyLb1EEEZNS1_14transform_implILb1ES3_S5_PyS7_NS0_8identityIyEEEE10hipError_tT2_T3_mT4_P12ihipStream_tbEUlT_E_NS1_11comp_targetILNS1_3genE3ELNS1_11target_archE908ELNS1_3gpuE7ELNS1_3repE0EEENS1_30default_config_static_selectorELNS0_4arch9wavefront6targetE1EEEvT1_,comdat
	.protected	_ZN7rocprim17ROCPRIM_400000_NS6detail17trampoline_kernelINS0_14default_configENS1_25transform_config_selectorIyLb1EEEZNS1_14transform_implILb1ES3_S5_PyS7_NS0_8identityIyEEEE10hipError_tT2_T3_mT4_P12ihipStream_tbEUlT_E_NS1_11comp_targetILNS1_3genE3ELNS1_11target_archE908ELNS1_3gpuE7ELNS1_3repE0EEENS1_30default_config_static_selectorELNS0_4arch9wavefront6targetE1EEEvT1_ ; -- Begin function _ZN7rocprim17ROCPRIM_400000_NS6detail17trampoline_kernelINS0_14default_configENS1_25transform_config_selectorIyLb1EEEZNS1_14transform_implILb1ES3_S5_PyS7_NS0_8identityIyEEEE10hipError_tT2_T3_mT4_P12ihipStream_tbEUlT_E_NS1_11comp_targetILNS1_3genE3ELNS1_11target_archE908ELNS1_3gpuE7ELNS1_3repE0EEENS1_30default_config_static_selectorELNS0_4arch9wavefront6targetE1EEEvT1_
	.globl	_ZN7rocprim17ROCPRIM_400000_NS6detail17trampoline_kernelINS0_14default_configENS1_25transform_config_selectorIyLb1EEEZNS1_14transform_implILb1ES3_S5_PyS7_NS0_8identityIyEEEE10hipError_tT2_T3_mT4_P12ihipStream_tbEUlT_E_NS1_11comp_targetILNS1_3genE3ELNS1_11target_archE908ELNS1_3gpuE7ELNS1_3repE0EEENS1_30default_config_static_selectorELNS0_4arch9wavefront6targetE1EEEvT1_
	.p2align	8
	.type	_ZN7rocprim17ROCPRIM_400000_NS6detail17trampoline_kernelINS0_14default_configENS1_25transform_config_selectorIyLb1EEEZNS1_14transform_implILb1ES3_S5_PyS7_NS0_8identityIyEEEE10hipError_tT2_T3_mT4_P12ihipStream_tbEUlT_E_NS1_11comp_targetILNS1_3genE3ELNS1_11target_archE908ELNS1_3gpuE7ELNS1_3repE0EEENS1_30default_config_static_selectorELNS0_4arch9wavefront6targetE1EEEvT1_,@function
_ZN7rocprim17ROCPRIM_400000_NS6detail17trampoline_kernelINS0_14default_configENS1_25transform_config_selectorIyLb1EEEZNS1_14transform_implILb1ES3_S5_PyS7_NS0_8identityIyEEEE10hipError_tT2_T3_mT4_P12ihipStream_tbEUlT_E_NS1_11comp_targetILNS1_3genE3ELNS1_11target_archE908ELNS1_3gpuE7ELNS1_3repE0EEENS1_30default_config_static_selectorELNS0_4arch9wavefront6targetE1EEEvT1_: ; @_ZN7rocprim17ROCPRIM_400000_NS6detail17trampoline_kernelINS0_14default_configENS1_25transform_config_selectorIyLb1EEEZNS1_14transform_implILb1ES3_S5_PyS7_NS0_8identityIyEEEE10hipError_tT2_T3_mT4_P12ihipStream_tbEUlT_E_NS1_11comp_targetILNS1_3genE3ELNS1_11target_archE908ELNS1_3gpuE7ELNS1_3repE0EEENS1_30default_config_static_selectorELNS0_4arch9wavefront6targetE1EEEvT1_
; %bb.0:
	.section	.rodata,"a",@progbits
	.p2align	6, 0x0
	.amdhsa_kernel _ZN7rocprim17ROCPRIM_400000_NS6detail17trampoline_kernelINS0_14default_configENS1_25transform_config_selectorIyLb1EEEZNS1_14transform_implILb1ES3_S5_PyS7_NS0_8identityIyEEEE10hipError_tT2_T3_mT4_P12ihipStream_tbEUlT_E_NS1_11comp_targetILNS1_3genE3ELNS1_11target_archE908ELNS1_3gpuE7ELNS1_3repE0EEENS1_30default_config_static_selectorELNS0_4arch9wavefront6targetE1EEEvT1_
		.amdhsa_group_segment_fixed_size 0
		.amdhsa_private_segment_fixed_size 0
		.amdhsa_kernarg_size 40
		.amdhsa_user_sgpr_count 6
		.amdhsa_user_sgpr_private_segment_buffer 1
		.amdhsa_user_sgpr_dispatch_ptr 0
		.amdhsa_user_sgpr_queue_ptr 0
		.amdhsa_user_sgpr_kernarg_segment_ptr 1
		.amdhsa_user_sgpr_dispatch_id 0
		.amdhsa_user_sgpr_flat_scratch_init 0
		.amdhsa_user_sgpr_kernarg_preload_length 0
		.amdhsa_user_sgpr_kernarg_preload_offset 0
		.amdhsa_user_sgpr_private_segment_size 0
		.amdhsa_uses_dynamic_stack 0
		.amdhsa_system_sgpr_private_segment_wavefront_offset 0
		.amdhsa_system_sgpr_workgroup_id_x 1
		.amdhsa_system_sgpr_workgroup_id_y 0
		.amdhsa_system_sgpr_workgroup_id_z 0
		.amdhsa_system_sgpr_workgroup_info 0
		.amdhsa_system_vgpr_workitem_id 0
		.amdhsa_next_free_vgpr 1
		.amdhsa_next_free_sgpr 0
		.amdhsa_accum_offset 4
		.amdhsa_reserve_vcc 0
		.amdhsa_reserve_flat_scratch 0
		.amdhsa_float_round_mode_32 0
		.amdhsa_float_round_mode_16_64 0
		.amdhsa_float_denorm_mode_32 3
		.amdhsa_float_denorm_mode_16_64 3
		.amdhsa_dx10_clamp 1
		.amdhsa_ieee_mode 1
		.amdhsa_fp16_overflow 0
		.amdhsa_tg_split 0
		.amdhsa_exception_fp_ieee_invalid_op 0
		.amdhsa_exception_fp_denorm_src 0
		.amdhsa_exception_fp_ieee_div_zero 0
		.amdhsa_exception_fp_ieee_overflow 0
		.amdhsa_exception_fp_ieee_underflow 0
		.amdhsa_exception_fp_ieee_inexact 0
		.amdhsa_exception_int_div_zero 0
	.end_amdhsa_kernel
	.section	.text._ZN7rocprim17ROCPRIM_400000_NS6detail17trampoline_kernelINS0_14default_configENS1_25transform_config_selectorIyLb1EEEZNS1_14transform_implILb1ES3_S5_PyS7_NS0_8identityIyEEEE10hipError_tT2_T3_mT4_P12ihipStream_tbEUlT_E_NS1_11comp_targetILNS1_3genE3ELNS1_11target_archE908ELNS1_3gpuE7ELNS1_3repE0EEENS1_30default_config_static_selectorELNS0_4arch9wavefront6targetE1EEEvT1_,"axG",@progbits,_ZN7rocprim17ROCPRIM_400000_NS6detail17trampoline_kernelINS0_14default_configENS1_25transform_config_selectorIyLb1EEEZNS1_14transform_implILb1ES3_S5_PyS7_NS0_8identityIyEEEE10hipError_tT2_T3_mT4_P12ihipStream_tbEUlT_E_NS1_11comp_targetILNS1_3genE3ELNS1_11target_archE908ELNS1_3gpuE7ELNS1_3repE0EEENS1_30default_config_static_selectorELNS0_4arch9wavefront6targetE1EEEvT1_,comdat
.Lfunc_end498:
	.size	_ZN7rocprim17ROCPRIM_400000_NS6detail17trampoline_kernelINS0_14default_configENS1_25transform_config_selectorIyLb1EEEZNS1_14transform_implILb1ES3_S5_PyS7_NS0_8identityIyEEEE10hipError_tT2_T3_mT4_P12ihipStream_tbEUlT_E_NS1_11comp_targetILNS1_3genE3ELNS1_11target_archE908ELNS1_3gpuE7ELNS1_3repE0EEENS1_30default_config_static_selectorELNS0_4arch9wavefront6targetE1EEEvT1_, .Lfunc_end498-_ZN7rocprim17ROCPRIM_400000_NS6detail17trampoline_kernelINS0_14default_configENS1_25transform_config_selectorIyLb1EEEZNS1_14transform_implILb1ES3_S5_PyS7_NS0_8identityIyEEEE10hipError_tT2_T3_mT4_P12ihipStream_tbEUlT_E_NS1_11comp_targetILNS1_3genE3ELNS1_11target_archE908ELNS1_3gpuE7ELNS1_3repE0EEENS1_30default_config_static_selectorELNS0_4arch9wavefront6targetE1EEEvT1_
                                        ; -- End function
	.section	.AMDGPU.csdata,"",@progbits
; Kernel info:
; codeLenInByte = 0
; NumSgprs: 4
; NumVgprs: 0
; NumAgprs: 0
; TotalNumVgprs: 0
; ScratchSize: 0
; MemoryBound: 0
; FloatMode: 240
; IeeeMode: 1
; LDSByteSize: 0 bytes/workgroup (compile time only)
; SGPRBlocks: 0
; VGPRBlocks: 0
; NumSGPRsForWavesPerEU: 4
; NumVGPRsForWavesPerEU: 1
; AccumOffset: 4
; Occupancy: 8
; WaveLimiterHint : 0
; COMPUTE_PGM_RSRC2:SCRATCH_EN: 0
; COMPUTE_PGM_RSRC2:USER_SGPR: 6
; COMPUTE_PGM_RSRC2:TRAP_HANDLER: 0
; COMPUTE_PGM_RSRC2:TGID_X_EN: 1
; COMPUTE_PGM_RSRC2:TGID_Y_EN: 0
; COMPUTE_PGM_RSRC2:TGID_Z_EN: 0
; COMPUTE_PGM_RSRC2:TIDIG_COMP_CNT: 0
; COMPUTE_PGM_RSRC3_GFX90A:ACCUM_OFFSET: 0
; COMPUTE_PGM_RSRC3_GFX90A:TG_SPLIT: 0
	.section	.text._ZN7rocprim17ROCPRIM_400000_NS6detail17trampoline_kernelINS0_14default_configENS1_25transform_config_selectorIyLb1EEEZNS1_14transform_implILb1ES3_S5_PyS7_NS0_8identityIyEEEE10hipError_tT2_T3_mT4_P12ihipStream_tbEUlT_E_NS1_11comp_targetILNS1_3genE2ELNS1_11target_archE906ELNS1_3gpuE6ELNS1_3repE0EEENS1_30default_config_static_selectorELNS0_4arch9wavefront6targetE1EEEvT1_,"axG",@progbits,_ZN7rocprim17ROCPRIM_400000_NS6detail17trampoline_kernelINS0_14default_configENS1_25transform_config_selectorIyLb1EEEZNS1_14transform_implILb1ES3_S5_PyS7_NS0_8identityIyEEEE10hipError_tT2_T3_mT4_P12ihipStream_tbEUlT_E_NS1_11comp_targetILNS1_3genE2ELNS1_11target_archE906ELNS1_3gpuE6ELNS1_3repE0EEENS1_30default_config_static_selectorELNS0_4arch9wavefront6targetE1EEEvT1_,comdat
	.protected	_ZN7rocprim17ROCPRIM_400000_NS6detail17trampoline_kernelINS0_14default_configENS1_25transform_config_selectorIyLb1EEEZNS1_14transform_implILb1ES3_S5_PyS7_NS0_8identityIyEEEE10hipError_tT2_T3_mT4_P12ihipStream_tbEUlT_E_NS1_11comp_targetILNS1_3genE2ELNS1_11target_archE906ELNS1_3gpuE6ELNS1_3repE0EEENS1_30default_config_static_selectorELNS0_4arch9wavefront6targetE1EEEvT1_ ; -- Begin function _ZN7rocprim17ROCPRIM_400000_NS6detail17trampoline_kernelINS0_14default_configENS1_25transform_config_selectorIyLb1EEEZNS1_14transform_implILb1ES3_S5_PyS7_NS0_8identityIyEEEE10hipError_tT2_T3_mT4_P12ihipStream_tbEUlT_E_NS1_11comp_targetILNS1_3genE2ELNS1_11target_archE906ELNS1_3gpuE6ELNS1_3repE0EEENS1_30default_config_static_selectorELNS0_4arch9wavefront6targetE1EEEvT1_
	.globl	_ZN7rocprim17ROCPRIM_400000_NS6detail17trampoline_kernelINS0_14default_configENS1_25transform_config_selectorIyLb1EEEZNS1_14transform_implILb1ES3_S5_PyS7_NS0_8identityIyEEEE10hipError_tT2_T3_mT4_P12ihipStream_tbEUlT_E_NS1_11comp_targetILNS1_3genE2ELNS1_11target_archE906ELNS1_3gpuE6ELNS1_3repE0EEENS1_30default_config_static_selectorELNS0_4arch9wavefront6targetE1EEEvT1_
	.p2align	8
	.type	_ZN7rocprim17ROCPRIM_400000_NS6detail17trampoline_kernelINS0_14default_configENS1_25transform_config_selectorIyLb1EEEZNS1_14transform_implILb1ES3_S5_PyS7_NS0_8identityIyEEEE10hipError_tT2_T3_mT4_P12ihipStream_tbEUlT_E_NS1_11comp_targetILNS1_3genE2ELNS1_11target_archE906ELNS1_3gpuE6ELNS1_3repE0EEENS1_30default_config_static_selectorELNS0_4arch9wavefront6targetE1EEEvT1_,@function
_ZN7rocprim17ROCPRIM_400000_NS6detail17trampoline_kernelINS0_14default_configENS1_25transform_config_selectorIyLb1EEEZNS1_14transform_implILb1ES3_S5_PyS7_NS0_8identityIyEEEE10hipError_tT2_T3_mT4_P12ihipStream_tbEUlT_E_NS1_11comp_targetILNS1_3genE2ELNS1_11target_archE906ELNS1_3gpuE6ELNS1_3repE0EEENS1_30default_config_static_selectorELNS0_4arch9wavefront6targetE1EEEvT1_: ; @_ZN7rocprim17ROCPRIM_400000_NS6detail17trampoline_kernelINS0_14default_configENS1_25transform_config_selectorIyLb1EEEZNS1_14transform_implILb1ES3_S5_PyS7_NS0_8identityIyEEEE10hipError_tT2_T3_mT4_P12ihipStream_tbEUlT_E_NS1_11comp_targetILNS1_3genE2ELNS1_11target_archE906ELNS1_3gpuE6ELNS1_3repE0EEENS1_30default_config_static_selectorELNS0_4arch9wavefront6targetE1EEEvT1_
; %bb.0:
	.section	.rodata,"a",@progbits
	.p2align	6, 0x0
	.amdhsa_kernel _ZN7rocprim17ROCPRIM_400000_NS6detail17trampoline_kernelINS0_14default_configENS1_25transform_config_selectorIyLb1EEEZNS1_14transform_implILb1ES3_S5_PyS7_NS0_8identityIyEEEE10hipError_tT2_T3_mT4_P12ihipStream_tbEUlT_E_NS1_11comp_targetILNS1_3genE2ELNS1_11target_archE906ELNS1_3gpuE6ELNS1_3repE0EEENS1_30default_config_static_selectorELNS0_4arch9wavefront6targetE1EEEvT1_
		.amdhsa_group_segment_fixed_size 0
		.amdhsa_private_segment_fixed_size 0
		.amdhsa_kernarg_size 40
		.amdhsa_user_sgpr_count 6
		.amdhsa_user_sgpr_private_segment_buffer 1
		.amdhsa_user_sgpr_dispatch_ptr 0
		.amdhsa_user_sgpr_queue_ptr 0
		.amdhsa_user_sgpr_kernarg_segment_ptr 1
		.amdhsa_user_sgpr_dispatch_id 0
		.amdhsa_user_sgpr_flat_scratch_init 0
		.amdhsa_user_sgpr_kernarg_preload_length 0
		.amdhsa_user_sgpr_kernarg_preload_offset 0
		.amdhsa_user_sgpr_private_segment_size 0
		.amdhsa_uses_dynamic_stack 0
		.amdhsa_system_sgpr_private_segment_wavefront_offset 0
		.amdhsa_system_sgpr_workgroup_id_x 1
		.amdhsa_system_sgpr_workgroup_id_y 0
		.amdhsa_system_sgpr_workgroup_id_z 0
		.amdhsa_system_sgpr_workgroup_info 0
		.amdhsa_system_vgpr_workitem_id 0
		.amdhsa_next_free_vgpr 1
		.amdhsa_next_free_sgpr 0
		.amdhsa_accum_offset 4
		.amdhsa_reserve_vcc 0
		.amdhsa_reserve_flat_scratch 0
		.amdhsa_float_round_mode_32 0
		.amdhsa_float_round_mode_16_64 0
		.amdhsa_float_denorm_mode_32 3
		.amdhsa_float_denorm_mode_16_64 3
		.amdhsa_dx10_clamp 1
		.amdhsa_ieee_mode 1
		.amdhsa_fp16_overflow 0
		.amdhsa_tg_split 0
		.amdhsa_exception_fp_ieee_invalid_op 0
		.amdhsa_exception_fp_denorm_src 0
		.amdhsa_exception_fp_ieee_div_zero 0
		.amdhsa_exception_fp_ieee_overflow 0
		.amdhsa_exception_fp_ieee_underflow 0
		.amdhsa_exception_fp_ieee_inexact 0
		.amdhsa_exception_int_div_zero 0
	.end_amdhsa_kernel
	.section	.text._ZN7rocprim17ROCPRIM_400000_NS6detail17trampoline_kernelINS0_14default_configENS1_25transform_config_selectorIyLb1EEEZNS1_14transform_implILb1ES3_S5_PyS7_NS0_8identityIyEEEE10hipError_tT2_T3_mT4_P12ihipStream_tbEUlT_E_NS1_11comp_targetILNS1_3genE2ELNS1_11target_archE906ELNS1_3gpuE6ELNS1_3repE0EEENS1_30default_config_static_selectorELNS0_4arch9wavefront6targetE1EEEvT1_,"axG",@progbits,_ZN7rocprim17ROCPRIM_400000_NS6detail17trampoline_kernelINS0_14default_configENS1_25transform_config_selectorIyLb1EEEZNS1_14transform_implILb1ES3_S5_PyS7_NS0_8identityIyEEEE10hipError_tT2_T3_mT4_P12ihipStream_tbEUlT_E_NS1_11comp_targetILNS1_3genE2ELNS1_11target_archE906ELNS1_3gpuE6ELNS1_3repE0EEENS1_30default_config_static_selectorELNS0_4arch9wavefront6targetE1EEEvT1_,comdat
.Lfunc_end499:
	.size	_ZN7rocprim17ROCPRIM_400000_NS6detail17trampoline_kernelINS0_14default_configENS1_25transform_config_selectorIyLb1EEEZNS1_14transform_implILb1ES3_S5_PyS7_NS0_8identityIyEEEE10hipError_tT2_T3_mT4_P12ihipStream_tbEUlT_E_NS1_11comp_targetILNS1_3genE2ELNS1_11target_archE906ELNS1_3gpuE6ELNS1_3repE0EEENS1_30default_config_static_selectorELNS0_4arch9wavefront6targetE1EEEvT1_, .Lfunc_end499-_ZN7rocprim17ROCPRIM_400000_NS6detail17trampoline_kernelINS0_14default_configENS1_25transform_config_selectorIyLb1EEEZNS1_14transform_implILb1ES3_S5_PyS7_NS0_8identityIyEEEE10hipError_tT2_T3_mT4_P12ihipStream_tbEUlT_E_NS1_11comp_targetILNS1_3genE2ELNS1_11target_archE906ELNS1_3gpuE6ELNS1_3repE0EEENS1_30default_config_static_selectorELNS0_4arch9wavefront6targetE1EEEvT1_
                                        ; -- End function
	.section	.AMDGPU.csdata,"",@progbits
; Kernel info:
; codeLenInByte = 0
; NumSgprs: 4
; NumVgprs: 0
; NumAgprs: 0
; TotalNumVgprs: 0
; ScratchSize: 0
; MemoryBound: 0
; FloatMode: 240
; IeeeMode: 1
; LDSByteSize: 0 bytes/workgroup (compile time only)
; SGPRBlocks: 0
; VGPRBlocks: 0
; NumSGPRsForWavesPerEU: 4
; NumVGPRsForWavesPerEU: 1
; AccumOffset: 4
; Occupancy: 8
; WaveLimiterHint : 0
; COMPUTE_PGM_RSRC2:SCRATCH_EN: 0
; COMPUTE_PGM_RSRC2:USER_SGPR: 6
; COMPUTE_PGM_RSRC2:TRAP_HANDLER: 0
; COMPUTE_PGM_RSRC2:TGID_X_EN: 1
; COMPUTE_PGM_RSRC2:TGID_Y_EN: 0
; COMPUTE_PGM_RSRC2:TGID_Z_EN: 0
; COMPUTE_PGM_RSRC2:TIDIG_COMP_CNT: 0
; COMPUTE_PGM_RSRC3_GFX90A:ACCUM_OFFSET: 0
; COMPUTE_PGM_RSRC3_GFX90A:TG_SPLIT: 0
	.section	.text._ZN7rocprim17ROCPRIM_400000_NS6detail17trampoline_kernelINS0_14default_configENS1_25transform_config_selectorIyLb1EEEZNS1_14transform_implILb1ES3_S5_PyS7_NS0_8identityIyEEEE10hipError_tT2_T3_mT4_P12ihipStream_tbEUlT_E_NS1_11comp_targetILNS1_3genE9ELNS1_11target_archE1100ELNS1_3gpuE3ELNS1_3repE0EEENS1_30default_config_static_selectorELNS0_4arch9wavefront6targetE1EEEvT1_,"axG",@progbits,_ZN7rocprim17ROCPRIM_400000_NS6detail17trampoline_kernelINS0_14default_configENS1_25transform_config_selectorIyLb1EEEZNS1_14transform_implILb1ES3_S5_PyS7_NS0_8identityIyEEEE10hipError_tT2_T3_mT4_P12ihipStream_tbEUlT_E_NS1_11comp_targetILNS1_3genE9ELNS1_11target_archE1100ELNS1_3gpuE3ELNS1_3repE0EEENS1_30default_config_static_selectorELNS0_4arch9wavefront6targetE1EEEvT1_,comdat
	.protected	_ZN7rocprim17ROCPRIM_400000_NS6detail17trampoline_kernelINS0_14default_configENS1_25transform_config_selectorIyLb1EEEZNS1_14transform_implILb1ES3_S5_PyS7_NS0_8identityIyEEEE10hipError_tT2_T3_mT4_P12ihipStream_tbEUlT_E_NS1_11comp_targetILNS1_3genE9ELNS1_11target_archE1100ELNS1_3gpuE3ELNS1_3repE0EEENS1_30default_config_static_selectorELNS0_4arch9wavefront6targetE1EEEvT1_ ; -- Begin function _ZN7rocprim17ROCPRIM_400000_NS6detail17trampoline_kernelINS0_14default_configENS1_25transform_config_selectorIyLb1EEEZNS1_14transform_implILb1ES3_S5_PyS7_NS0_8identityIyEEEE10hipError_tT2_T3_mT4_P12ihipStream_tbEUlT_E_NS1_11comp_targetILNS1_3genE9ELNS1_11target_archE1100ELNS1_3gpuE3ELNS1_3repE0EEENS1_30default_config_static_selectorELNS0_4arch9wavefront6targetE1EEEvT1_
	.globl	_ZN7rocprim17ROCPRIM_400000_NS6detail17trampoline_kernelINS0_14default_configENS1_25transform_config_selectorIyLb1EEEZNS1_14transform_implILb1ES3_S5_PyS7_NS0_8identityIyEEEE10hipError_tT2_T3_mT4_P12ihipStream_tbEUlT_E_NS1_11comp_targetILNS1_3genE9ELNS1_11target_archE1100ELNS1_3gpuE3ELNS1_3repE0EEENS1_30default_config_static_selectorELNS0_4arch9wavefront6targetE1EEEvT1_
	.p2align	8
	.type	_ZN7rocprim17ROCPRIM_400000_NS6detail17trampoline_kernelINS0_14default_configENS1_25transform_config_selectorIyLb1EEEZNS1_14transform_implILb1ES3_S5_PyS7_NS0_8identityIyEEEE10hipError_tT2_T3_mT4_P12ihipStream_tbEUlT_E_NS1_11comp_targetILNS1_3genE9ELNS1_11target_archE1100ELNS1_3gpuE3ELNS1_3repE0EEENS1_30default_config_static_selectorELNS0_4arch9wavefront6targetE1EEEvT1_,@function
_ZN7rocprim17ROCPRIM_400000_NS6detail17trampoline_kernelINS0_14default_configENS1_25transform_config_selectorIyLb1EEEZNS1_14transform_implILb1ES3_S5_PyS7_NS0_8identityIyEEEE10hipError_tT2_T3_mT4_P12ihipStream_tbEUlT_E_NS1_11comp_targetILNS1_3genE9ELNS1_11target_archE1100ELNS1_3gpuE3ELNS1_3repE0EEENS1_30default_config_static_selectorELNS0_4arch9wavefront6targetE1EEEvT1_: ; @_ZN7rocprim17ROCPRIM_400000_NS6detail17trampoline_kernelINS0_14default_configENS1_25transform_config_selectorIyLb1EEEZNS1_14transform_implILb1ES3_S5_PyS7_NS0_8identityIyEEEE10hipError_tT2_T3_mT4_P12ihipStream_tbEUlT_E_NS1_11comp_targetILNS1_3genE9ELNS1_11target_archE1100ELNS1_3gpuE3ELNS1_3repE0EEENS1_30default_config_static_selectorELNS0_4arch9wavefront6targetE1EEEvT1_
; %bb.0:
	.section	.rodata,"a",@progbits
	.p2align	6, 0x0
	.amdhsa_kernel _ZN7rocprim17ROCPRIM_400000_NS6detail17trampoline_kernelINS0_14default_configENS1_25transform_config_selectorIyLb1EEEZNS1_14transform_implILb1ES3_S5_PyS7_NS0_8identityIyEEEE10hipError_tT2_T3_mT4_P12ihipStream_tbEUlT_E_NS1_11comp_targetILNS1_3genE9ELNS1_11target_archE1100ELNS1_3gpuE3ELNS1_3repE0EEENS1_30default_config_static_selectorELNS0_4arch9wavefront6targetE1EEEvT1_
		.amdhsa_group_segment_fixed_size 0
		.amdhsa_private_segment_fixed_size 0
		.amdhsa_kernarg_size 40
		.amdhsa_user_sgpr_count 6
		.amdhsa_user_sgpr_private_segment_buffer 1
		.amdhsa_user_sgpr_dispatch_ptr 0
		.amdhsa_user_sgpr_queue_ptr 0
		.amdhsa_user_sgpr_kernarg_segment_ptr 1
		.amdhsa_user_sgpr_dispatch_id 0
		.amdhsa_user_sgpr_flat_scratch_init 0
		.amdhsa_user_sgpr_kernarg_preload_length 0
		.amdhsa_user_sgpr_kernarg_preload_offset 0
		.amdhsa_user_sgpr_private_segment_size 0
		.amdhsa_uses_dynamic_stack 0
		.amdhsa_system_sgpr_private_segment_wavefront_offset 0
		.amdhsa_system_sgpr_workgroup_id_x 1
		.amdhsa_system_sgpr_workgroup_id_y 0
		.amdhsa_system_sgpr_workgroup_id_z 0
		.amdhsa_system_sgpr_workgroup_info 0
		.amdhsa_system_vgpr_workitem_id 0
		.amdhsa_next_free_vgpr 1
		.amdhsa_next_free_sgpr 0
		.amdhsa_accum_offset 4
		.amdhsa_reserve_vcc 0
		.amdhsa_reserve_flat_scratch 0
		.amdhsa_float_round_mode_32 0
		.amdhsa_float_round_mode_16_64 0
		.amdhsa_float_denorm_mode_32 3
		.amdhsa_float_denorm_mode_16_64 3
		.amdhsa_dx10_clamp 1
		.amdhsa_ieee_mode 1
		.amdhsa_fp16_overflow 0
		.amdhsa_tg_split 0
		.amdhsa_exception_fp_ieee_invalid_op 0
		.amdhsa_exception_fp_denorm_src 0
		.amdhsa_exception_fp_ieee_div_zero 0
		.amdhsa_exception_fp_ieee_overflow 0
		.amdhsa_exception_fp_ieee_underflow 0
		.amdhsa_exception_fp_ieee_inexact 0
		.amdhsa_exception_int_div_zero 0
	.end_amdhsa_kernel
	.section	.text._ZN7rocprim17ROCPRIM_400000_NS6detail17trampoline_kernelINS0_14default_configENS1_25transform_config_selectorIyLb1EEEZNS1_14transform_implILb1ES3_S5_PyS7_NS0_8identityIyEEEE10hipError_tT2_T3_mT4_P12ihipStream_tbEUlT_E_NS1_11comp_targetILNS1_3genE9ELNS1_11target_archE1100ELNS1_3gpuE3ELNS1_3repE0EEENS1_30default_config_static_selectorELNS0_4arch9wavefront6targetE1EEEvT1_,"axG",@progbits,_ZN7rocprim17ROCPRIM_400000_NS6detail17trampoline_kernelINS0_14default_configENS1_25transform_config_selectorIyLb1EEEZNS1_14transform_implILb1ES3_S5_PyS7_NS0_8identityIyEEEE10hipError_tT2_T3_mT4_P12ihipStream_tbEUlT_E_NS1_11comp_targetILNS1_3genE9ELNS1_11target_archE1100ELNS1_3gpuE3ELNS1_3repE0EEENS1_30default_config_static_selectorELNS0_4arch9wavefront6targetE1EEEvT1_,comdat
.Lfunc_end500:
	.size	_ZN7rocprim17ROCPRIM_400000_NS6detail17trampoline_kernelINS0_14default_configENS1_25transform_config_selectorIyLb1EEEZNS1_14transform_implILb1ES3_S5_PyS7_NS0_8identityIyEEEE10hipError_tT2_T3_mT4_P12ihipStream_tbEUlT_E_NS1_11comp_targetILNS1_3genE9ELNS1_11target_archE1100ELNS1_3gpuE3ELNS1_3repE0EEENS1_30default_config_static_selectorELNS0_4arch9wavefront6targetE1EEEvT1_, .Lfunc_end500-_ZN7rocprim17ROCPRIM_400000_NS6detail17trampoline_kernelINS0_14default_configENS1_25transform_config_selectorIyLb1EEEZNS1_14transform_implILb1ES3_S5_PyS7_NS0_8identityIyEEEE10hipError_tT2_T3_mT4_P12ihipStream_tbEUlT_E_NS1_11comp_targetILNS1_3genE9ELNS1_11target_archE1100ELNS1_3gpuE3ELNS1_3repE0EEENS1_30default_config_static_selectorELNS0_4arch9wavefront6targetE1EEEvT1_
                                        ; -- End function
	.section	.AMDGPU.csdata,"",@progbits
; Kernel info:
; codeLenInByte = 0
; NumSgprs: 4
; NumVgprs: 0
; NumAgprs: 0
; TotalNumVgprs: 0
; ScratchSize: 0
; MemoryBound: 0
; FloatMode: 240
; IeeeMode: 1
; LDSByteSize: 0 bytes/workgroup (compile time only)
; SGPRBlocks: 0
; VGPRBlocks: 0
; NumSGPRsForWavesPerEU: 4
; NumVGPRsForWavesPerEU: 1
; AccumOffset: 4
; Occupancy: 8
; WaveLimiterHint : 0
; COMPUTE_PGM_RSRC2:SCRATCH_EN: 0
; COMPUTE_PGM_RSRC2:USER_SGPR: 6
; COMPUTE_PGM_RSRC2:TRAP_HANDLER: 0
; COMPUTE_PGM_RSRC2:TGID_X_EN: 1
; COMPUTE_PGM_RSRC2:TGID_Y_EN: 0
; COMPUTE_PGM_RSRC2:TGID_Z_EN: 0
; COMPUTE_PGM_RSRC2:TIDIG_COMP_CNT: 0
; COMPUTE_PGM_RSRC3_GFX90A:ACCUM_OFFSET: 0
; COMPUTE_PGM_RSRC3_GFX90A:TG_SPLIT: 0
	.section	.text._ZN7rocprim17ROCPRIM_400000_NS6detail17trampoline_kernelINS0_14default_configENS1_25transform_config_selectorIyLb1EEEZNS1_14transform_implILb1ES3_S5_PyS7_NS0_8identityIyEEEE10hipError_tT2_T3_mT4_P12ihipStream_tbEUlT_E_NS1_11comp_targetILNS1_3genE8ELNS1_11target_archE1030ELNS1_3gpuE2ELNS1_3repE0EEENS1_30default_config_static_selectorELNS0_4arch9wavefront6targetE1EEEvT1_,"axG",@progbits,_ZN7rocprim17ROCPRIM_400000_NS6detail17trampoline_kernelINS0_14default_configENS1_25transform_config_selectorIyLb1EEEZNS1_14transform_implILb1ES3_S5_PyS7_NS0_8identityIyEEEE10hipError_tT2_T3_mT4_P12ihipStream_tbEUlT_E_NS1_11comp_targetILNS1_3genE8ELNS1_11target_archE1030ELNS1_3gpuE2ELNS1_3repE0EEENS1_30default_config_static_selectorELNS0_4arch9wavefront6targetE1EEEvT1_,comdat
	.protected	_ZN7rocprim17ROCPRIM_400000_NS6detail17trampoline_kernelINS0_14default_configENS1_25transform_config_selectorIyLb1EEEZNS1_14transform_implILb1ES3_S5_PyS7_NS0_8identityIyEEEE10hipError_tT2_T3_mT4_P12ihipStream_tbEUlT_E_NS1_11comp_targetILNS1_3genE8ELNS1_11target_archE1030ELNS1_3gpuE2ELNS1_3repE0EEENS1_30default_config_static_selectorELNS0_4arch9wavefront6targetE1EEEvT1_ ; -- Begin function _ZN7rocprim17ROCPRIM_400000_NS6detail17trampoline_kernelINS0_14default_configENS1_25transform_config_selectorIyLb1EEEZNS1_14transform_implILb1ES3_S5_PyS7_NS0_8identityIyEEEE10hipError_tT2_T3_mT4_P12ihipStream_tbEUlT_E_NS1_11comp_targetILNS1_3genE8ELNS1_11target_archE1030ELNS1_3gpuE2ELNS1_3repE0EEENS1_30default_config_static_selectorELNS0_4arch9wavefront6targetE1EEEvT1_
	.globl	_ZN7rocprim17ROCPRIM_400000_NS6detail17trampoline_kernelINS0_14default_configENS1_25transform_config_selectorIyLb1EEEZNS1_14transform_implILb1ES3_S5_PyS7_NS0_8identityIyEEEE10hipError_tT2_T3_mT4_P12ihipStream_tbEUlT_E_NS1_11comp_targetILNS1_3genE8ELNS1_11target_archE1030ELNS1_3gpuE2ELNS1_3repE0EEENS1_30default_config_static_selectorELNS0_4arch9wavefront6targetE1EEEvT1_
	.p2align	8
	.type	_ZN7rocprim17ROCPRIM_400000_NS6detail17trampoline_kernelINS0_14default_configENS1_25transform_config_selectorIyLb1EEEZNS1_14transform_implILb1ES3_S5_PyS7_NS0_8identityIyEEEE10hipError_tT2_T3_mT4_P12ihipStream_tbEUlT_E_NS1_11comp_targetILNS1_3genE8ELNS1_11target_archE1030ELNS1_3gpuE2ELNS1_3repE0EEENS1_30default_config_static_selectorELNS0_4arch9wavefront6targetE1EEEvT1_,@function
_ZN7rocprim17ROCPRIM_400000_NS6detail17trampoline_kernelINS0_14default_configENS1_25transform_config_selectorIyLb1EEEZNS1_14transform_implILb1ES3_S5_PyS7_NS0_8identityIyEEEE10hipError_tT2_T3_mT4_P12ihipStream_tbEUlT_E_NS1_11comp_targetILNS1_3genE8ELNS1_11target_archE1030ELNS1_3gpuE2ELNS1_3repE0EEENS1_30default_config_static_selectorELNS0_4arch9wavefront6targetE1EEEvT1_: ; @_ZN7rocprim17ROCPRIM_400000_NS6detail17trampoline_kernelINS0_14default_configENS1_25transform_config_selectorIyLb1EEEZNS1_14transform_implILb1ES3_S5_PyS7_NS0_8identityIyEEEE10hipError_tT2_T3_mT4_P12ihipStream_tbEUlT_E_NS1_11comp_targetILNS1_3genE8ELNS1_11target_archE1030ELNS1_3gpuE2ELNS1_3repE0EEENS1_30default_config_static_selectorELNS0_4arch9wavefront6targetE1EEEvT1_
; %bb.0:
	.section	.rodata,"a",@progbits
	.p2align	6, 0x0
	.amdhsa_kernel _ZN7rocprim17ROCPRIM_400000_NS6detail17trampoline_kernelINS0_14default_configENS1_25transform_config_selectorIyLb1EEEZNS1_14transform_implILb1ES3_S5_PyS7_NS0_8identityIyEEEE10hipError_tT2_T3_mT4_P12ihipStream_tbEUlT_E_NS1_11comp_targetILNS1_3genE8ELNS1_11target_archE1030ELNS1_3gpuE2ELNS1_3repE0EEENS1_30default_config_static_selectorELNS0_4arch9wavefront6targetE1EEEvT1_
		.amdhsa_group_segment_fixed_size 0
		.amdhsa_private_segment_fixed_size 0
		.amdhsa_kernarg_size 40
		.amdhsa_user_sgpr_count 6
		.amdhsa_user_sgpr_private_segment_buffer 1
		.amdhsa_user_sgpr_dispatch_ptr 0
		.amdhsa_user_sgpr_queue_ptr 0
		.amdhsa_user_sgpr_kernarg_segment_ptr 1
		.amdhsa_user_sgpr_dispatch_id 0
		.amdhsa_user_sgpr_flat_scratch_init 0
		.amdhsa_user_sgpr_kernarg_preload_length 0
		.amdhsa_user_sgpr_kernarg_preload_offset 0
		.amdhsa_user_sgpr_private_segment_size 0
		.amdhsa_uses_dynamic_stack 0
		.amdhsa_system_sgpr_private_segment_wavefront_offset 0
		.amdhsa_system_sgpr_workgroup_id_x 1
		.amdhsa_system_sgpr_workgroup_id_y 0
		.amdhsa_system_sgpr_workgroup_id_z 0
		.amdhsa_system_sgpr_workgroup_info 0
		.amdhsa_system_vgpr_workitem_id 0
		.amdhsa_next_free_vgpr 1
		.amdhsa_next_free_sgpr 0
		.amdhsa_accum_offset 4
		.amdhsa_reserve_vcc 0
		.amdhsa_reserve_flat_scratch 0
		.amdhsa_float_round_mode_32 0
		.amdhsa_float_round_mode_16_64 0
		.amdhsa_float_denorm_mode_32 3
		.amdhsa_float_denorm_mode_16_64 3
		.amdhsa_dx10_clamp 1
		.amdhsa_ieee_mode 1
		.amdhsa_fp16_overflow 0
		.amdhsa_tg_split 0
		.amdhsa_exception_fp_ieee_invalid_op 0
		.amdhsa_exception_fp_denorm_src 0
		.amdhsa_exception_fp_ieee_div_zero 0
		.amdhsa_exception_fp_ieee_overflow 0
		.amdhsa_exception_fp_ieee_underflow 0
		.amdhsa_exception_fp_ieee_inexact 0
		.amdhsa_exception_int_div_zero 0
	.end_amdhsa_kernel
	.section	.text._ZN7rocprim17ROCPRIM_400000_NS6detail17trampoline_kernelINS0_14default_configENS1_25transform_config_selectorIyLb1EEEZNS1_14transform_implILb1ES3_S5_PyS7_NS0_8identityIyEEEE10hipError_tT2_T3_mT4_P12ihipStream_tbEUlT_E_NS1_11comp_targetILNS1_3genE8ELNS1_11target_archE1030ELNS1_3gpuE2ELNS1_3repE0EEENS1_30default_config_static_selectorELNS0_4arch9wavefront6targetE1EEEvT1_,"axG",@progbits,_ZN7rocprim17ROCPRIM_400000_NS6detail17trampoline_kernelINS0_14default_configENS1_25transform_config_selectorIyLb1EEEZNS1_14transform_implILb1ES3_S5_PyS7_NS0_8identityIyEEEE10hipError_tT2_T3_mT4_P12ihipStream_tbEUlT_E_NS1_11comp_targetILNS1_3genE8ELNS1_11target_archE1030ELNS1_3gpuE2ELNS1_3repE0EEENS1_30default_config_static_selectorELNS0_4arch9wavefront6targetE1EEEvT1_,comdat
.Lfunc_end501:
	.size	_ZN7rocprim17ROCPRIM_400000_NS6detail17trampoline_kernelINS0_14default_configENS1_25transform_config_selectorIyLb1EEEZNS1_14transform_implILb1ES3_S5_PyS7_NS0_8identityIyEEEE10hipError_tT2_T3_mT4_P12ihipStream_tbEUlT_E_NS1_11comp_targetILNS1_3genE8ELNS1_11target_archE1030ELNS1_3gpuE2ELNS1_3repE0EEENS1_30default_config_static_selectorELNS0_4arch9wavefront6targetE1EEEvT1_, .Lfunc_end501-_ZN7rocprim17ROCPRIM_400000_NS6detail17trampoline_kernelINS0_14default_configENS1_25transform_config_selectorIyLb1EEEZNS1_14transform_implILb1ES3_S5_PyS7_NS0_8identityIyEEEE10hipError_tT2_T3_mT4_P12ihipStream_tbEUlT_E_NS1_11comp_targetILNS1_3genE8ELNS1_11target_archE1030ELNS1_3gpuE2ELNS1_3repE0EEENS1_30default_config_static_selectorELNS0_4arch9wavefront6targetE1EEEvT1_
                                        ; -- End function
	.section	.AMDGPU.csdata,"",@progbits
; Kernel info:
; codeLenInByte = 0
; NumSgprs: 4
; NumVgprs: 0
; NumAgprs: 0
; TotalNumVgprs: 0
; ScratchSize: 0
; MemoryBound: 0
; FloatMode: 240
; IeeeMode: 1
; LDSByteSize: 0 bytes/workgroup (compile time only)
; SGPRBlocks: 0
; VGPRBlocks: 0
; NumSGPRsForWavesPerEU: 4
; NumVGPRsForWavesPerEU: 1
; AccumOffset: 4
; Occupancy: 8
; WaveLimiterHint : 0
; COMPUTE_PGM_RSRC2:SCRATCH_EN: 0
; COMPUTE_PGM_RSRC2:USER_SGPR: 6
; COMPUTE_PGM_RSRC2:TRAP_HANDLER: 0
; COMPUTE_PGM_RSRC2:TGID_X_EN: 1
; COMPUTE_PGM_RSRC2:TGID_Y_EN: 0
; COMPUTE_PGM_RSRC2:TGID_Z_EN: 0
; COMPUTE_PGM_RSRC2:TIDIG_COMP_CNT: 0
; COMPUTE_PGM_RSRC3_GFX90A:ACCUM_OFFSET: 0
; COMPUTE_PGM_RSRC3_GFX90A:TG_SPLIT: 0
	.section	.text._ZN7rocprim17ROCPRIM_400000_NS6detail17trampoline_kernelINS0_14default_configENS1_38merge_sort_block_merge_config_selectorIjyEEZZNS1_27merge_sort_block_merge_implIS3_PjPyjNS1_19radix_merge_compareILb0ELb1EjNS0_19identity_decomposerEEEEE10hipError_tT0_T1_T2_jT3_P12ihipStream_tbPNSt15iterator_traitsISD_E10value_typeEPNSJ_ISE_E10value_typeEPSF_NS1_7vsmem_tEENKUlT_SD_SE_SF_E_clIS7_S7_S8_S8_EESC_SS_SD_SE_SF_EUlSS_E_NS1_11comp_targetILNS1_3genE0ELNS1_11target_archE4294967295ELNS1_3gpuE0ELNS1_3repE0EEENS1_48merge_mergepath_partition_config_static_selectorELNS0_4arch9wavefront6targetE1EEEvSE_,"axG",@progbits,_ZN7rocprim17ROCPRIM_400000_NS6detail17trampoline_kernelINS0_14default_configENS1_38merge_sort_block_merge_config_selectorIjyEEZZNS1_27merge_sort_block_merge_implIS3_PjPyjNS1_19radix_merge_compareILb0ELb1EjNS0_19identity_decomposerEEEEE10hipError_tT0_T1_T2_jT3_P12ihipStream_tbPNSt15iterator_traitsISD_E10value_typeEPNSJ_ISE_E10value_typeEPSF_NS1_7vsmem_tEENKUlT_SD_SE_SF_E_clIS7_S7_S8_S8_EESC_SS_SD_SE_SF_EUlSS_E_NS1_11comp_targetILNS1_3genE0ELNS1_11target_archE4294967295ELNS1_3gpuE0ELNS1_3repE0EEENS1_48merge_mergepath_partition_config_static_selectorELNS0_4arch9wavefront6targetE1EEEvSE_,comdat
	.protected	_ZN7rocprim17ROCPRIM_400000_NS6detail17trampoline_kernelINS0_14default_configENS1_38merge_sort_block_merge_config_selectorIjyEEZZNS1_27merge_sort_block_merge_implIS3_PjPyjNS1_19radix_merge_compareILb0ELb1EjNS0_19identity_decomposerEEEEE10hipError_tT0_T1_T2_jT3_P12ihipStream_tbPNSt15iterator_traitsISD_E10value_typeEPNSJ_ISE_E10value_typeEPSF_NS1_7vsmem_tEENKUlT_SD_SE_SF_E_clIS7_S7_S8_S8_EESC_SS_SD_SE_SF_EUlSS_E_NS1_11comp_targetILNS1_3genE0ELNS1_11target_archE4294967295ELNS1_3gpuE0ELNS1_3repE0EEENS1_48merge_mergepath_partition_config_static_selectorELNS0_4arch9wavefront6targetE1EEEvSE_ ; -- Begin function _ZN7rocprim17ROCPRIM_400000_NS6detail17trampoline_kernelINS0_14default_configENS1_38merge_sort_block_merge_config_selectorIjyEEZZNS1_27merge_sort_block_merge_implIS3_PjPyjNS1_19radix_merge_compareILb0ELb1EjNS0_19identity_decomposerEEEEE10hipError_tT0_T1_T2_jT3_P12ihipStream_tbPNSt15iterator_traitsISD_E10value_typeEPNSJ_ISE_E10value_typeEPSF_NS1_7vsmem_tEENKUlT_SD_SE_SF_E_clIS7_S7_S8_S8_EESC_SS_SD_SE_SF_EUlSS_E_NS1_11comp_targetILNS1_3genE0ELNS1_11target_archE4294967295ELNS1_3gpuE0ELNS1_3repE0EEENS1_48merge_mergepath_partition_config_static_selectorELNS0_4arch9wavefront6targetE1EEEvSE_
	.globl	_ZN7rocprim17ROCPRIM_400000_NS6detail17trampoline_kernelINS0_14default_configENS1_38merge_sort_block_merge_config_selectorIjyEEZZNS1_27merge_sort_block_merge_implIS3_PjPyjNS1_19radix_merge_compareILb0ELb1EjNS0_19identity_decomposerEEEEE10hipError_tT0_T1_T2_jT3_P12ihipStream_tbPNSt15iterator_traitsISD_E10value_typeEPNSJ_ISE_E10value_typeEPSF_NS1_7vsmem_tEENKUlT_SD_SE_SF_E_clIS7_S7_S8_S8_EESC_SS_SD_SE_SF_EUlSS_E_NS1_11comp_targetILNS1_3genE0ELNS1_11target_archE4294967295ELNS1_3gpuE0ELNS1_3repE0EEENS1_48merge_mergepath_partition_config_static_selectorELNS0_4arch9wavefront6targetE1EEEvSE_
	.p2align	8
	.type	_ZN7rocprim17ROCPRIM_400000_NS6detail17trampoline_kernelINS0_14default_configENS1_38merge_sort_block_merge_config_selectorIjyEEZZNS1_27merge_sort_block_merge_implIS3_PjPyjNS1_19radix_merge_compareILb0ELb1EjNS0_19identity_decomposerEEEEE10hipError_tT0_T1_T2_jT3_P12ihipStream_tbPNSt15iterator_traitsISD_E10value_typeEPNSJ_ISE_E10value_typeEPSF_NS1_7vsmem_tEENKUlT_SD_SE_SF_E_clIS7_S7_S8_S8_EESC_SS_SD_SE_SF_EUlSS_E_NS1_11comp_targetILNS1_3genE0ELNS1_11target_archE4294967295ELNS1_3gpuE0ELNS1_3repE0EEENS1_48merge_mergepath_partition_config_static_selectorELNS0_4arch9wavefront6targetE1EEEvSE_,@function
_ZN7rocprim17ROCPRIM_400000_NS6detail17trampoline_kernelINS0_14default_configENS1_38merge_sort_block_merge_config_selectorIjyEEZZNS1_27merge_sort_block_merge_implIS3_PjPyjNS1_19radix_merge_compareILb0ELb1EjNS0_19identity_decomposerEEEEE10hipError_tT0_T1_T2_jT3_P12ihipStream_tbPNSt15iterator_traitsISD_E10value_typeEPNSJ_ISE_E10value_typeEPSF_NS1_7vsmem_tEENKUlT_SD_SE_SF_E_clIS7_S7_S8_S8_EESC_SS_SD_SE_SF_EUlSS_E_NS1_11comp_targetILNS1_3genE0ELNS1_11target_archE4294967295ELNS1_3gpuE0ELNS1_3repE0EEENS1_48merge_mergepath_partition_config_static_selectorELNS0_4arch9wavefront6targetE1EEEvSE_: ; @_ZN7rocprim17ROCPRIM_400000_NS6detail17trampoline_kernelINS0_14default_configENS1_38merge_sort_block_merge_config_selectorIjyEEZZNS1_27merge_sort_block_merge_implIS3_PjPyjNS1_19radix_merge_compareILb0ELb1EjNS0_19identity_decomposerEEEEE10hipError_tT0_T1_T2_jT3_P12ihipStream_tbPNSt15iterator_traitsISD_E10value_typeEPNSJ_ISE_E10value_typeEPSF_NS1_7vsmem_tEENKUlT_SD_SE_SF_E_clIS7_S7_S8_S8_EESC_SS_SD_SE_SF_EUlSS_E_NS1_11comp_targetILNS1_3genE0ELNS1_11target_archE4294967295ELNS1_3gpuE0ELNS1_3repE0EEENS1_48merge_mergepath_partition_config_static_selectorELNS0_4arch9wavefront6targetE1EEEvSE_
; %bb.0:
	.section	.rodata,"a",@progbits
	.p2align	6, 0x0
	.amdhsa_kernel _ZN7rocprim17ROCPRIM_400000_NS6detail17trampoline_kernelINS0_14default_configENS1_38merge_sort_block_merge_config_selectorIjyEEZZNS1_27merge_sort_block_merge_implIS3_PjPyjNS1_19radix_merge_compareILb0ELb1EjNS0_19identity_decomposerEEEEE10hipError_tT0_T1_T2_jT3_P12ihipStream_tbPNSt15iterator_traitsISD_E10value_typeEPNSJ_ISE_E10value_typeEPSF_NS1_7vsmem_tEENKUlT_SD_SE_SF_E_clIS7_S7_S8_S8_EESC_SS_SD_SE_SF_EUlSS_E_NS1_11comp_targetILNS1_3genE0ELNS1_11target_archE4294967295ELNS1_3gpuE0ELNS1_3repE0EEENS1_48merge_mergepath_partition_config_static_selectorELNS0_4arch9wavefront6targetE1EEEvSE_
		.amdhsa_group_segment_fixed_size 0
		.amdhsa_private_segment_fixed_size 0
		.amdhsa_kernarg_size 40
		.amdhsa_user_sgpr_count 6
		.amdhsa_user_sgpr_private_segment_buffer 1
		.amdhsa_user_sgpr_dispatch_ptr 0
		.amdhsa_user_sgpr_queue_ptr 0
		.amdhsa_user_sgpr_kernarg_segment_ptr 1
		.amdhsa_user_sgpr_dispatch_id 0
		.amdhsa_user_sgpr_flat_scratch_init 0
		.amdhsa_user_sgpr_kernarg_preload_length 0
		.amdhsa_user_sgpr_kernarg_preload_offset 0
		.amdhsa_user_sgpr_private_segment_size 0
		.amdhsa_uses_dynamic_stack 0
		.amdhsa_system_sgpr_private_segment_wavefront_offset 0
		.amdhsa_system_sgpr_workgroup_id_x 1
		.amdhsa_system_sgpr_workgroup_id_y 0
		.amdhsa_system_sgpr_workgroup_id_z 0
		.amdhsa_system_sgpr_workgroup_info 0
		.amdhsa_system_vgpr_workitem_id 0
		.amdhsa_next_free_vgpr 1
		.amdhsa_next_free_sgpr 0
		.amdhsa_accum_offset 4
		.amdhsa_reserve_vcc 0
		.amdhsa_reserve_flat_scratch 0
		.amdhsa_float_round_mode_32 0
		.amdhsa_float_round_mode_16_64 0
		.amdhsa_float_denorm_mode_32 3
		.amdhsa_float_denorm_mode_16_64 3
		.amdhsa_dx10_clamp 1
		.amdhsa_ieee_mode 1
		.amdhsa_fp16_overflow 0
		.amdhsa_tg_split 0
		.amdhsa_exception_fp_ieee_invalid_op 0
		.amdhsa_exception_fp_denorm_src 0
		.amdhsa_exception_fp_ieee_div_zero 0
		.amdhsa_exception_fp_ieee_overflow 0
		.amdhsa_exception_fp_ieee_underflow 0
		.amdhsa_exception_fp_ieee_inexact 0
		.amdhsa_exception_int_div_zero 0
	.end_amdhsa_kernel
	.section	.text._ZN7rocprim17ROCPRIM_400000_NS6detail17trampoline_kernelINS0_14default_configENS1_38merge_sort_block_merge_config_selectorIjyEEZZNS1_27merge_sort_block_merge_implIS3_PjPyjNS1_19radix_merge_compareILb0ELb1EjNS0_19identity_decomposerEEEEE10hipError_tT0_T1_T2_jT3_P12ihipStream_tbPNSt15iterator_traitsISD_E10value_typeEPNSJ_ISE_E10value_typeEPSF_NS1_7vsmem_tEENKUlT_SD_SE_SF_E_clIS7_S7_S8_S8_EESC_SS_SD_SE_SF_EUlSS_E_NS1_11comp_targetILNS1_3genE0ELNS1_11target_archE4294967295ELNS1_3gpuE0ELNS1_3repE0EEENS1_48merge_mergepath_partition_config_static_selectorELNS0_4arch9wavefront6targetE1EEEvSE_,"axG",@progbits,_ZN7rocprim17ROCPRIM_400000_NS6detail17trampoline_kernelINS0_14default_configENS1_38merge_sort_block_merge_config_selectorIjyEEZZNS1_27merge_sort_block_merge_implIS3_PjPyjNS1_19radix_merge_compareILb0ELb1EjNS0_19identity_decomposerEEEEE10hipError_tT0_T1_T2_jT3_P12ihipStream_tbPNSt15iterator_traitsISD_E10value_typeEPNSJ_ISE_E10value_typeEPSF_NS1_7vsmem_tEENKUlT_SD_SE_SF_E_clIS7_S7_S8_S8_EESC_SS_SD_SE_SF_EUlSS_E_NS1_11comp_targetILNS1_3genE0ELNS1_11target_archE4294967295ELNS1_3gpuE0ELNS1_3repE0EEENS1_48merge_mergepath_partition_config_static_selectorELNS0_4arch9wavefront6targetE1EEEvSE_,comdat
.Lfunc_end502:
	.size	_ZN7rocprim17ROCPRIM_400000_NS6detail17trampoline_kernelINS0_14default_configENS1_38merge_sort_block_merge_config_selectorIjyEEZZNS1_27merge_sort_block_merge_implIS3_PjPyjNS1_19radix_merge_compareILb0ELb1EjNS0_19identity_decomposerEEEEE10hipError_tT0_T1_T2_jT3_P12ihipStream_tbPNSt15iterator_traitsISD_E10value_typeEPNSJ_ISE_E10value_typeEPSF_NS1_7vsmem_tEENKUlT_SD_SE_SF_E_clIS7_S7_S8_S8_EESC_SS_SD_SE_SF_EUlSS_E_NS1_11comp_targetILNS1_3genE0ELNS1_11target_archE4294967295ELNS1_3gpuE0ELNS1_3repE0EEENS1_48merge_mergepath_partition_config_static_selectorELNS0_4arch9wavefront6targetE1EEEvSE_, .Lfunc_end502-_ZN7rocprim17ROCPRIM_400000_NS6detail17trampoline_kernelINS0_14default_configENS1_38merge_sort_block_merge_config_selectorIjyEEZZNS1_27merge_sort_block_merge_implIS3_PjPyjNS1_19radix_merge_compareILb0ELb1EjNS0_19identity_decomposerEEEEE10hipError_tT0_T1_T2_jT3_P12ihipStream_tbPNSt15iterator_traitsISD_E10value_typeEPNSJ_ISE_E10value_typeEPSF_NS1_7vsmem_tEENKUlT_SD_SE_SF_E_clIS7_S7_S8_S8_EESC_SS_SD_SE_SF_EUlSS_E_NS1_11comp_targetILNS1_3genE0ELNS1_11target_archE4294967295ELNS1_3gpuE0ELNS1_3repE0EEENS1_48merge_mergepath_partition_config_static_selectorELNS0_4arch9wavefront6targetE1EEEvSE_
                                        ; -- End function
	.section	.AMDGPU.csdata,"",@progbits
; Kernel info:
; codeLenInByte = 0
; NumSgprs: 4
; NumVgprs: 0
; NumAgprs: 0
; TotalNumVgprs: 0
; ScratchSize: 0
; MemoryBound: 0
; FloatMode: 240
; IeeeMode: 1
; LDSByteSize: 0 bytes/workgroup (compile time only)
; SGPRBlocks: 0
; VGPRBlocks: 0
; NumSGPRsForWavesPerEU: 4
; NumVGPRsForWavesPerEU: 1
; AccumOffset: 4
; Occupancy: 8
; WaveLimiterHint : 0
; COMPUTE_PGM_RSRC2:SCRATCH_EN: 0
; COMPUTE_PGM_RSRC2:USER_SGPR: 6
; COMPUTE_PGM_RSRC2:TRAP_HANDLER: 0
; COMPUTE_PGM_RSRC2:TGID_X_EN: 1
; COMPUTE_PGM_RSRC2:TGID_Y_EN: 0
; COMPUTE_PGM_RSRC2:TGID_Z_EN: 0
; COMPUTE_PGM_RSRC2:TIDIG_COMP_CNT: 0
; COMPUTE_PGM_RSRC3_GFX90A:ACCUM_OFFSET: 0
; COMPUTE_PGM_RSRC3_GFX90A:TG_SPLIT: 0
	.section	.text._ZN7rocprim17ROCPRIM_400000_NS6detail17trampoline_kernelINS0_14default_configENS1_38merge_sort_block_merge_config_selectorIjyEEZZNS1_27merge_sort_block_merge_implIS3_PjPyjNS1_19radix_merge_compareILb0ELb1EjNS0_19identity_decomposerEEEEE10hipError_tT0_T1_T2_jT3_P12ihipStream_tbPNSt15iterator_traitsISD_E10value_typeEPNSJ_ISE_E10value_typeEPSF_NS1_7vsmem_tEENKUlT_SD_SE_SF_E_clIS7_S7_S8_S8_EESC_SS_SD_SE_SF_EUlSS_E_NS1_11comp_targetILNS1_3genE10ELNS1_11target_archE1201ELNS1_3gpuE5ELNS1_3repE0EEENS1_48merge_mergepath_partition_config_static_selectorELNS0_4arch9wavefront6targetE1EEEvSE_,"axG",@progbits,_ZN7rocprim17ROCPRIM_400000_NS6detail17trampoline_kernelINS0_14default_configENS1_38merge_sort_block_merge_config_selectorIjyEEZZNS1_27merge_sort_block_merge_implIS3_PjPyjNS1_19radix_merge_compareILb0ELb1EjNS0_19identity_decomposerEEEEE10hipError_tT0_T1_T2_jT3_P12ihipStream_tbPNSt15iterator_traitsISD_E10value_typeEPNSJ_ISE_E10value_typeEPSF_NS1_7vsmem_tEENKUlT_SD_SE_SF_E_clIS7_S7_S8_S8_EESC_SS_SD_SE_SF_EUlSS_E_NS1_11comp_targetILNS1_3genE10ELNS1_11target_archE1201ELNS1_3gpuE5ELNS1_3repE0EEENS1_48merge_mergepath_partition_config_static_selectorELNS0_4arch9wavefront6targetE1EEEvSE_,comdat
	.protected	_ZN7rocprim17ROCPRIM_400000_NS6detail17trampoline_kernelINS0_14default_configENS1_38merge_sort_block_merge_config_selectorIjyEEZZNS1_27merge_sort_block_merge_implIS3_PjPyjNS1_19radix_merge_compareILb0ELb1EjNS0_19identity_decomposerEEEEE10hipError_tT0_T1_T2_jT3_P12ihipStream_tbPNSt15iterator_traitsISD_E10value_typeEPNSJ_ISE_E10value_typeEPSF_NS1_7vsmem_tEENKUlT_SD_SE_SF_E_clIS7_S7_S8_S8_EESC_SS_SD_SE_SF_EUlSS_E_NS1_11comp_targetILNS1_3genE10ELNS1_11target_archE1201ELNS1_3gpuE5ELNS1_3repE0EEENS1_48merge_mergepath_partition_config_static_selectorELNS0_4arch9wavefront6targetE1EEEvSE_ ; -- Begin function _ZN7rocprim17ROCPRIM_400000_NS6detail17trampoline_kernelINS0_14default_configENS1_38merge_sort_block_merge_config_selectorIjyEEZZNS1_27merge_sort_block_merge_implIS3_PjPyjNS1_19radix_merge_compareILb0ELb1EjNS0_19identity_decomposerEEEEE10hipError_tT0_T1_T2_jT3_P12ihipStream_tbPNSt15iterator_traitsISD_E10value_typeEPNSJ_ISE_E10value_typeEPSF_NS1_7vsmem_tEENKUlT_SD_SE_SF_E_clIS7_S7_S8_S8_EESC_SS_SD_SE_SF_EUlSS_E_NS1_11comp_targetILNS1_3genE10ELNS1_11target_archE1201ELNS1_3gpuE5ELNS1_3repE0EEENS1_48merge_mergepath_partition_config_static_selectorELNS0_4arch9wavefront6targetE1EEEvSE_
	.globl	_ZN7rocprim17ROCPRIM_400000_NS6detail17trampoline_kernelINS0_14default_configENS1_38merge_sort_block_merge_config_selectorIjyEEZZNS1_27merge_sort_block_merge_implIS3_PjPyjNS1_19radix_merge_compareILb0ELb1EjNS0_19identity_decomposerEEEEE10hipError_tT0_T1_T2_jT3_P12ihipStream_tbPNSt15iterator_traitsISD_E10value_typeEPNSJ_ISE_E10value_typeEPSF_NS1_7vsmem_tEENKUlT_SD_SE_SF_E_clIS7_S7_S8_S8_EESC_SS_SD_SE_SF_EUlSS_E_NS1_11comp_targetILNS1_3genE10ELNS1_11target_archE1201ELNS1_3gpuE5ELNS1_3repE0EEENS1_48merge_mergepath_partition_config_static_selectorELNS0_4arch9wavefront6targetE1EEEvSE_
	.p2align	8
	.type	_ZN7rocprim17ROCPRIM_400000_NS6detail17trampoline_kernelINS0_14default_configENS1_38merge_sort_block_merge_config_selectorIjyEEZZNS1_27merge_sort_block_merge_implIS3_PjPyjNS1_19radix_merge_compareILb0ELb1EjNS0_19identity_decomposerEEEEE10hipError_tT0_T1_T2_jT3_P12ihipStream_tbPNSt15iterator_traitsISD_E10value_typeEPNSJ_ISE_E10value_typeEPSF_NS1_7vsmem_tEENKUlT_SD_SE_SF_E_clIS7_S7_S8_S8_EESC_SS_SD_SE_SF_EUlSS_E_NS1_11comp_targetILNS1_3genE10ELNS1_11target_archE1201ELNS1_3gpuE5ELNS1_3repE0EEENS1_48merge_mergepath_partition_config_static_selectorELNS0_4arch9wavefront6targetE1EEEvSE_,@function
_ZN7rocprim17ROCPRIM_400000_NS6detail17trampoline_kernelINS0_14default_configENS1_38merge_sort_block_merge_config_selectorIjyEEZZNS1_27merge_sort_block_merge_implIS3_PjPyjNS1_19radix_merge_compareILb0ELb1EjNS0_19identity_decomposerEEEEE10hipError_tT0_T1_T2_jT3_P12ihipStream_tbPNSt15iterator_traitsISD_E10value_typeEPNSJ_ISE_E10value_typeEPSF_NS1_7vsmem_tEENKUlT_SD_SE_SF_E_clIS7_S7_S8_S8_EESC_SS_SD_SE_SF_EUlSS_E_NS1_11comp_targetILNS1_3genE10ELNS1_11target_archE1201ELNS1_3gpuE5ELNS1_3repE0EEENS1_48merge_mergepath_partition_config_static_selectorELNS0_4arch9wavefront6targetE1EEEvSE_: ; @_ZN7rocprim17ROCPRIM_400000_NS6detail17trampoline_kernelINS0_14default_configENS1_38merge_sort_block_merge_config_selectorIjyEEZZNS1_27merge_sort_block_merge_implIS3_PjPyjNS1_19radix_merge_compareILb0ELb1EjNS0_19identity_decomposerEEEEE10hipError_tT0_T1_T2_jT3_P12ihipStream_tbPNSt15iterator_traitsISD_E10value_typeEPNSJ_ISE_E10value_typeEPSF_NS1_7vsmem_tEENKUlT_SD_SE_SF_E_clIS7_S7_S8_S8_EESC_SS_SD_SE_SF_EUlSS_E_NS1_11comp_targetILNS1_3genE10ELNS1_11target_archE1201ELNS1_3gpuE5ELNS1_3repE0EEENS1_48merge_mergepath_partition_config_static_selectorELNS0_4arch9wavefront6targetE1EEEvSE_
; %bb.0:
	.section	.rodata,"a",@progbits
	.p2align	6, 0x0
	.amdhsa_kernel _ZN7rocprim17ROCPRIM_400000_NS6detail17trampoline_kernelINS0_14default_configENS1_38merge_sort_block_merge_config_selectorIjyEEZZNS1_27merge_sort_block_merge_implIS3_PjPyjNS1_19radix_merge_compareILb0ELb1EjNS0_19identity_decomposerEEEEE10hipError_tT0_T1_T2_jT3_P12ihipStream_tbPNSt15iterator_traitsISD_E10value_typeEPNSJ_ISE_E10value_typeEPSF_NS1_7vsmem_tEENKUlT_SD_SE_SF_E_clIS7_S7_S8_S8_EESC_SS_SD_SE_SF_EUlSS_E_NS1_11comp_targetILNS1_3genE10ELNS1_11target_archE1201ELNS1_3gpuE5ELNS1_3repE0EEENS1_48merge_mergepath_partition_config_static_selectorELNS0_4arch9wavefront6targetE1EEEvSE_
		.amdhsa_group_segment_fixed_size 0
		.amdhsa_private_segment_fixed_size 0
		.amdhsa_kernarg_size 40
		.amdhsa_user_sgpr_count 6
		.amdhsa_user_sgpr_private_segment_buffer 1
		.amdhsa_user_sgpr_dispatch_ptr 0
		.amdhsa_user_sgpr_queue_ptr 0
		.amdhsa_user_sgpr_kernarg_segment_ptr 1
		.amdhsa_user_sgpr_dispatch_id 0
		.amdhsa_user_sgpr_flat_scratch_init 0
		.amdhsa_user_sgpr_kernarg_preload_length 0
		.amdhsa_user_sgpr_kernarg_preload_offset 0
		.amdhsa_user_sgpr_private_segment_size 0
		.amdhsa_uses_dynamic_stack 0
		.amdhsa_system_sgpr_private_segment_wavefront_offset 0
		.amdhsa_system_sgpr_workgroup_id_x 1
		.amdhsa_system_sgpr_workgroup_id_y 0
		.amdhsa_system_sgpr_workgroup_id_z 0
		.amdhsa_system_sgpr_workgroup_info 0
		.amdhsa_system_vgpr_workitem_id 0
		.amdhsa_next_free_vgpr 1
		.amdhsa_next_free_sgpr 0
		.amdhsa_accum_offset 4
		.amdhsa_reserve_vcc 0
		.amdhsa_reserve_flat_scratch 0
		.amdhsa_float_round_mode_32 0
		.amdhsa_float_round_mode_16_64 0
		.amdhsa_float_denorm_mode_32 3
		.amdhsa_float_denorm_mode_16_64 3
		.amdhsa_dx10_clamp 1
		.amdhsa_ieee_mode 1
		.amdhsa_fp16_overflow 0
		.amdhsa_tg_split 0
		.amdhsa_exception_fp_ieee_invalid_op 0
		.amdhsa_exception_fp_denorm_src 0
		.amdhsa_exception_fp_ieee_div_zero 0
		.amdhsa_exception_fp_ieee_overflow 0
		.amdhsa_exception_fp_ieee_underflow 0
		.amdhsa_exception_fp_ieee_inexact 0
		.amdhsa_exception_int_div_zero 0
	.end_amdhsa_kernel
	.section	.text._ZN7rocprim17ROCPRIM_400000_NS6detail17trampoline_kernelINS0_14default_configENS1_38merge_sort_block_merge_config_selectorIjyEEZZNS1_27merge_sort_block_merge_implIS3_PjPyjNS1_19radix_merge_compareILb0ELb1EjNS0_19identity_decomposerEEEEE10hipError_tT0_T1_T2_jT3_P12ihipStream_tbPNSt15iterator_traitsISD_E10value_typeEPNSJ_ISE_E10value_typeEPSF_NS1_7vsmem_tEENKUlT_SD_SE_SF_E_clIS7_S7_S8_S8_EESC_SS_SD_SE_SF_EUlSS_E_NS1_11comp_targetILNS1_3genE10ELNS1_11target_archE1201ELNS1_3gpuE5ELNS1_3repE0EEENS1_48merge_mergepath_partition_config_static_selectorELNS0_4arch9wavefront6targetE1EEEvSE_,"axG",@progbits,_ZN7rocprim17ROCPRIM_400000_NS6detail17trampoline_kernelINS0_14default_configENS1_38merge_sort_block_merge_config_selectorIjyEEZZNS1_27merge_sort_block_merge_implIS3_PjPyjNS1_19radix_merge_compareILb0ELb1EjNS0_19identity_decomposerEEEEE10hipError_tT0_T1_T2_jT3_P12ihipStream_tbPNSt15iterator_traitsISD_E10value_typeEPNSJ_ISE_E10value_typeEPSF_NS1_7vsmem_tEENKUlT_SD_SE_SF_E_clIS7_S7_S8_S8_EESC_SS_SD_SE_SF_EUlSS_E_NS1_11comp_targetILNS1_3genE10ELNS1_11target_archE1201ELNS1_3gpuE5ELNS1_3repE0EEENS1_48merge_mergepath_partition_config_static_selectorELNS0_4arch9wavefront6targetE1EEEvSE_,comdat
.Lfunc_end503:
	.size	_ZN7rocprim17ROCPRIM_400000_NS6detail17trampoline_kernelINS0_14default_configENS1_38merge_sort_block_merge_config_selectorIjyEEZZNS1_27merge_sort_block_merge_implIS3_PjPyjNS1_19radix_merge_compareILb0ELb1EjNS0_19identity_decomposerEEEEE10hipError_tT0_T1_T2_jT3_P12ihipStream_tbPNSt15iterator_traitsISD_E10value_typeEPNSJ_ISE_E10value_typeEPSF_NS1_7vsmem_tEENKUlT_SD_SE_SF_E_clIS7_S7_S8_S8_EESC_SS_SD_SE_SF_EUlSS_E_NS1_11comp_targetILNS1_3genE10ELNS1_11target_archE1201ELNS1_3gpuE5ELNS1_3repE0EEENS1_48merge_mergepath_partition_config_static_selectorELNS0_4arch9wavefront6targetE1EEEvSE_, .Lfunc_end503-_ZN7rocprim17ROCPRIM_400000_NS6detail17trampoline_kernelINS0_14default_configENS1_38merge_sort_block_merge_config_selectorIjyEEZZNS1_27merge_sort_block_merge_implIS3_PjPyjNS1_19radix_merge_compareILb0ELb1EjNS0_19identity_decomposerEEEEE10hipError_tT0_T1_T2_jT3_P12ihipStream_tbPNSt15iterator_traitsISD_E10value_typeEPNSJ_ISE_E10value_typeEPSF_NS1_7vsmem_tEENKUlT_SD_SE_SF_E_clIS7_S7_S8_S8_EESC_SS_SD_SE_SF_EUlSS_E_NS1_11comp_targetILNS1_3genE10ELNS1_11target_archE1201ELNS1_3gpuE5ELNS1_3repE0EEENS1_48merge_mergepath_partition_config_static_selectorELNS0_4arch9wavefront6targetE1EEEvSE_
                                        ; -- End function
	.section	.AMDGPU.csdata,"",@progbits
; Kernel info:
; codeLenInByte = 0
; NumSgprs: 4
; NumVgprs: 0
; NumAgprs: 0
; TotalNumVgprs: 0
; ScratchSize: 0
; MemoryBound: 0
; FloatMode: 240
; IeeeMode: 1
; LDSByteSize: 0 bytes/workgroup (compile time only)
; SGPRBlocks: 0
; VGPRBlocks: 0
; NumSGPRsForWavesPerEU: 4
; NumVGPRsForWavesPerEU: 1
; AccumOffset: 4
; Occupancy: 8
; WaveLimiterHint : 0
; COMPUTE_PGM_RSRC2:SCRATCH_EN: 0
; COMPUTE_PGM_RSRC2:USER_SGPR: 6
; COMPUTE_PGM_RSRC2:TRAP_HANDLER: 0
; COMPUTE_PGM_RSRC2:TGID_X_EN: 1
; COMPUTE_PGM_RSRC2:TGID_Y_EN: 0
; COMPUTE_PGM_RSRC2:TGID_Z_EN: 0
; COMPUTE_PGM_RSRC2:TIDIG_COMP_CNT: 0
; COMPUTE_PGM_RSRC3_GFX90A:ACCUM_OFFSET: 0
; COMPUTE_PGM_RSRC3_GFX90A:TG_SPLIT: 0
	.section	.text._ZN7rocprim17ROCPRIM_400000_NS6detail17trampoline_kernelINS0_14default_configENS1_38merge_sort_block_merge_config_selectorIjyEEZZNS1_27merge_sort_block_merge_implIS3_PjPyjNS1_19radix_merge_compareILb0ELb1EjNS0_19identity_decomposerEEEEE10hipError_tT0_T1_T2_jT3_P12ihipStream_tbPNSt15iterator_traitsISD_E10value_typeEPNSJ_ISE_E10value_typeEPSF_NS1_7vsmem_tEENKUlT_SD_SE_SF_E_clIS7_S7_S8_S8_EESC_SS_SD_SE_SF_EUlSS_E_NS1_11comp_targetILNS1_3genE5ELNS1_11target_archE942ELNS1_3gpuE9ELNS1_3repE0EEENS1_48merge_mergepath_partition_config_static_selectorELNS0_4arch9wavefront6targetE1EEEvSE_,"axG",@progbits,_ZN7rocprim17ROCPRIM_400000_NS6detail17trampoline_kernelINS0_14default_configENS1_38merge_sort_block_merge_config_selectorIjyEEZZNS1_27merge_sort_block_merge_implIS3_PjPyjNS1_19radix_merge_compareILb0ELb1EjNS0_19identity_decomposerEEEEE10hipError_tT0_T1_T2_jT3_P12ihipStream_tbPNSt15iterator_traitsISD_E10value_typeEPNSJ_ISE_E10value_typeEPSF_NS1_7vsmem_tEENKUlT_SD_SE_SF_E_clIS7_S7_S8_S8_EESC_SS_SD_SE_SF_EUlSS_E_NS1_11comp_targetILNS1_3genE5ELNS1_11target_archE942ELNS1_3gpuE9ELNS1_3repE0EEENS1_48merge_mergepath_partition_config_static_selectorELNS0_4arch9wavefront6targetE1EEEvSE_,comdat
	.protected	_ZN7rocprim17ROCPRIM_400000_NS6detail17trampoline_kernelINS0_14default_configENS1_38merge_sort_block_merge_config_selectorIjyEEZZNS1_27merge_sort_block_merge_implIS3_PjPyjNS1_19radix_merge_compareILb0ELb1EjNS0_19identity_decomposerEEEEE10hipError_tT0_T1_T2_jT3_P12ihipStream_tbPNSt15iterator_traitsISD_E10value_typeEPNSJ_ISE_E10value_typeEPSF_NS1_7vsmem_tEENKUlT_SD_SE_SF_E_clIS7_S7_S8_S8_EESC_SS_SD_SE_SF_EUlSS_E_NS1_11comp_targetILNS1_3genE5ELNS1_11target_archE942ELNS1_3gpuE9ELNS1_3repE0EEENS1_48merge_mergepath_partition_config_static_selectorELNS0_4arch9wavefront6targetE1EEEvSE_ ; -- Begin function _ZN7rocprim17ROCPRIM_400000_NS6detail17trampoline_kernelINS0_14default_configENS1_38merge_sort_block_merge_config_selectorIjyEEZZNS1_27merge_sort_block_merge_implIS3_PjPyjNS1_19radix_merge_compareILb0ELb1EjNS0_19identity_decomposerEEEEE10hipError_tT0_T1_T2_jT3_P12ihipStream_tbPNSt15iterator_traitsISD_E10value_typeEPNSJ_ISE_E10value_typeEPSF_NS1_7vsmem_tEENKUlT_SD_SE_SF_E_clIS7_S7_S8_S8_EESC_SS_SD_SE_SF_EUlSS_E_NS1_11comp_targetILNS1_3genE5ELNS1_11target_archE942ELNS1_3gpuE9ELNS1_3repE0EEENS1_48merge_mergepath_partition_config_static_selectorELNS0_4arch9wavefront6targetE1EEEvSE_
	.globl	_ZN7rocprim17ROCPRIM_400000_NS6detail17trampoline_kernelINS0_14default_configENS1_38merge_sort_block_merge_config_selectorIjyEEZZNS1_27merge_sort_block_merge_implIS3_PjPyjNS1_19radix_merge_compareILb0ELb1EjNS0_19identity_decomposerEEEEE10hipError_tT0_T1_T2_jT3_P12ihipStream_tbPNSt15iterator_traitsISD_E10value_typeEPNSJ_ISE_E10value_typeEPSF_NS1_7vsmem_tEENKUlT_SD_SE_SF_E_clIS7_S7_S8_S8_EESC_SS_SD_SE_SF_EUlSS_E_NS1_11comp_targetILNS1_3genE5ELNS1_11target_archE942ELNS1_3gpuE9ELNS1_3repE0EEENS1_48merge_mergepath_partition_config_static_selectorELNS0_4arch9wavefront6targetE1EEEvSE_
	.p2align	8
	.type	_ZN7rocprim17ROCPRIM_400000_NS6detail17trampoline_kernelINS0_14default_configENS1_38merge_sort_block_merge_config_selectorIjyEEZZNS1_27merge_sort_block_merge_implIS3_PjPyjNS1_19radix_merge_compareILb0ELb1EjNS0_19identity_decomposerEEEEE10hipError_tT0_T1_T2_jT3_P12ihipStream_tbPNSt15iterator_traitsISD_E10value_typeEPNSJ_ISE_E10value_typeEPSF_NS1_7vsmem_tEENKUlT_SD_SE_SF_E_clIS7_S7_S8_S8_EESC_SS_SD_SE_SF_EUlSS_E_NS1_11comp_targetILNS1_3genE5ELNS1_11target_archE942ELNS1_3gpuE9ELNS1_3repE0EEENS1_48merge_mergepath_partition_config_static_selectorELNS0_4arch9wavefront6targetE1EEEvSE_,@function
_ZN7rocprim17ROCPRIM_400000_NS6detail17trampoline_kernelINS0_14default_configENS1_38merge_sort_block_merge_config_selectorIjyEEZZNS1_27merge_sort_block_merge_implIS3_PjPyjNS1_19radix_merge_compareILb0ELb1EjNS0_19identity_decomposerEEEEE10hipError_tT0_T1_T2_jT3_P12ihipStream_tbPNSt15iterator_traitsISD_E10value_typeEPNSJ_ISE_E10value_typeEPSF_NS1_7vsmem_tEENKUlT_SD_SE_SF_E_clIS7_S7_S8_S8_EESC_SS_SD_SE_SF_EUlSS_E_NS1_11comp_targetILNS1_3genE5ELNS1_11target_archE942ELNS1_3gpuE9ELNS1_3repE0EEENS1_48merge_mergepath_partition_config_static_selectorELNS0_4arch9wavefront6targetE1EEEvSE_: ; @_ZN7rocprim17ROCPRIM_400000_NS6detail17trampoline_kernelINS0_14default_configENS1_38merge_sort_block_merge_config_selectorIjyEEZZNS1_27merge_sort_block_merge_implIS3_PjPyjNS1_19radix_merge_compareILb0ELb1EjNS0_19identity_decomposerEEEEE10hipError_tT0_T1_T2_jT3_P12ihipStream_tbPNSt15iterator_traitsISD_E10value_typeEPNSJ_ISE_E10value_typeEPSF_NS1_7vsmem_tEENKUlT_SD_SE_SF_E_clIS7_S7_S8_S8_EESC_SS_SD_SE_SF_EUlSS_E_NS1_11comp_targetILNS1_3genE5ELNS1_11target_archE942ELNS1_3gpuE9ELNS1_3repE0EEENS1_48merge_mergepath_partition_config_static_selectorELNS0_4arch9wavefront6targetE1EEEvSE_
; %bb.0:
	.section	.rodata,"a",@progbits
	.p2align	6, 0x0
	.amdhsa_kernel _ZN7rocprim17ROCPRIM_400000_NS6detail17trampoline_kernelINS0_14default_configENS1_38merge_sort_block_merge_config_selectorIjyEEZZNS1_27merge_sort_block_merge_implIS3_PjPyjNS1_19radix_merge_compareILb0ELb1EjNS0_19identity_decomposerEEEEE10hipError_tT0_T1_T2_jT3_P12ihipStream_tbPNSt15iterator_traitsISD_E10value_typeEPNSJ_ISE_E10value_typeEPSF_NS1_7vsmem_tEENKUlT_SD_SE_SF_E_clIS7_S7_S8_S8_EESC_SS_SD_SE_SF_EUlSS_E_NS1_11comp_targetILNS1_3genE5ELNS1_11target_archE942ELNS1_3gpuE9ELNS1_3repE0EEENS1_48merge_mergepath_partition_config_static_selectorELNS0_4arch9wavefront6targetE1EEEvSE_
		.amdhsa_group_segment_fixed_size 0
		.amdhsa_private_segment_fixed_size 0
		.amdhsa_kernarg_size 40
		.amdhsa_user_sgpr_count 6
		.amdhsa_user_sgpr_private_segment_buffer 1
		.amdhsa_user_sgpr_dispatch_ptr 0
		.amdhsa_user_sgpr_queue_ptr 0
		.amdhsa_user_sgpr_kernarg_segment_ptr 1
		.amdhsa_user_sgpr_dispatch_id 0
		.amdhsa_user_sgpr_flat_scratch_init 0
		.amdhsa_user_sgpr_kernarg_preload_length 0
		.amdhsa_user_sgpr_kernarg_preload_offset 0
		.amdhsa_user_sgpr_private_segment_size 0
		.amdhsa_uses_dynamic_stack 0
		.amdhsa_system_sgpr_private_segment_wavefront_offset 0
		.amdhsa_system_sgpr_workgroup_id_x 1
		.amdhsa_system_sgpr_workgroup_id_y 0
		.amdhsa_system_sgpr_workgroup_id_z 0
		.amdhsa_system_sgpr_workgroup_info 0
		.amdhsa_system_vgpr_workitem_id 0
		.amdhsa_next_free_vgpr 1
		.amdhsa_next_free_sgpr 0
		.amdhsa_accum_offset 4
		.amdhsa_reserve_vcc 0
		.amdhsa_reserve_flat_scratch 0
		.amdhsa_float_round_mode_32 0
		.amdhsa_float_round_mode_16_64 0
		.amdhsa_float_denorm_mode_32 3
		.amdhsa_float_denorm_mode_16_64 3
		.amdhsa_dx10_clamp 1
		.amdhsa_ieee_mode 1
		.amdhsa_fp16_overflow 0
		.amdhsa_tg_split 0
		.amdhsa_exception_fp_ieee_invalid_op 0
		.amdhsa_exception_fp_denorm_src 0
		.amdhsa_exception_fp_ieee_div_zero 0
		.amdhsa_exception_fp_ieee_overflow 0
		.amdhsa_exception_fp_ieee_underflow 0
		.amdhsa_exception_fp_ieee_inexact 0
		.amdhsa_exception_int_div_zero 0
	.end_amdhsa_kernel
	.section	.text._ZN7rocprim17ROCPRIM_400000_NS6detail17trampoline_kernelINS0_14default_configENS1_38merge_sort_block_merge_config_selectorIjyEEZZNS1_27merge_sort_block_merge_implIS3_PjPyjNS1_19radix_merge_compareILb0ELb1EjNS0_19identity_decomposerEEEEE10hipError_tT0_T1_T2_jT3_P12ihipStream_tbPNSt15iterator_traitsISD_E10value_typeEPNSJ_ISE_E10value_typeEPSF_NS1_7vsmem_tEENKUlT_SD_SE_SF_E_clIS7_S7_S8_S8_EESC_SS_SD_SE_SF_EUlSS_E_NS1_11comp_targetILNS1_3genE5ELNS1_11target_archE942ELNS1_3gpuE9ELNS1_3repE0EEENS1_48merge_mergepath_partition_config_static_selectorELNS0_4arch9wavefront6targetE1EEEvSE_,"axG",@progbits,_ZN7rocprim17ROCPRIM_400000_NS6detail17trampoline_kernelINS0_14default_configENS1_38merge_sort_block_merge_config_selectorIjyEEZZNS1_27merge_sort_block_merge_implIS3_PjPyjNS1_19radix_merge_compareILb0ELb1EjNS0_19identity_decomposerEEEEE10hipError_tT0_T1_T2_jT3_P12ihipStream_tbPNSt15iterator_traitsISD_E10value_typeEPNSJ_ISE_E10value_typeEPSF_NS1_7vsmem_tEENKUlT_SD_SE_SF_E_clIS7_S7_S8_S8_EESC_SS_SD_SE_SF_EUlSS_E_NS1_11comp_targetILNS1_3genE5ELNS1_11target_archE942ELNS1_3gpuE9ELNS1_3repE0EEENS1_48merge_mergepath_partition_config_static_selectorELNS0_4arch9wavefront6targetE1EEEvSE_,comdat
.Lfunc_end504:
	.size	_ZN7rocprim17ROCPRIM_400000_NS6detail17trampoline_kernelINS0_14default_configENS1_38merge_sort_block_merge_config_selectorIjyEEZZNS1_27merge_sort_block_merge_implIS3_PjPyjNS1_19radix_merge_compareILb0ELb1EjNS0_19identity_decomposerEEEEE10hipError_tT0_T1_T2_jT3_P12ihipStream_tbPNSt15iterator_traitsISD_E10value_typeEPNSJ_ISE_E10value_typeEPSF_NS1_7vsmem_tEENKUlT_SD_SE_SF_E_clIS7_S7_S8_S8_EESC_SS_SD_SE_SF_EUlSS_E_NS1_11comp_targetILNS1_3genE5ELNS1_11target_archE942ELNS1_3gpuE9ELNS1_3repE0EEENS1_48merge_mergepath_partition_config_static_selectorELNS0_4arch9wavefront6targetE1EEEvSE_, .Lfunc_end504-_ZN7rocprim17ROCPRIM_400000_NS6detail17trampoline_kernelINS0_14default_configENS1_38merge_sort_block_merge_config_selectorIjyEEZZNS1_27merge_sort_block_merge_implIS3_PjPyjNS1_19radix_merge_compareILb0ELb1EjNS0_19identity_decomposerEEEEE10hipError_tT0_T1_T2_jT3_P12ihipStream_tbPNSt15iterator_traitsISD_E10value_typeEPNSJ_ISE_E10value_typeEPSF_NS1_7vsmem_tEENKUlT_SD_SE_SF_E_clIS7_S7_S8_S8_EESC_SS_SD_SE_SF_EUlSS_E_NS1_11comp_targetILNS1_3genE5ELNS1_11target_archE942ELNS1_3gpuE9ELNS1_3repE0EEENS1_48merge_mergepath_partition_config_static_selectorELNS0_4arch9wavefront6targetE1EEEvSE_
                                        ; -- End function
	.section	.AMDGPU.csdata,"",@progbits
; Kernel info:
; codeLenInByte = 0
; NumSgprs: 4
; NumVgprs: 0
; NumAgprs: 0
; TotalNumVgprs: 0
; ScratchSize: 0
; MemoryBound: 0
; FloatMode: 240
; IeeeMode: 1
; LDSByteSize: 0 bytes/workgroup (compile time only)
; SGPRBlocks: 0
; VGPRBlocks: 0
; NumSGPRsForWavesPerEU: 4
; NumVGPRsForWavesPerEU: 1
; AccumOffset: 4
; Occupancy: 8
; WaveLimiterHint : 0
; COMPUTE_PGM_RSRC2:SCRATCH_EN: 0
; COMPUTE_PGM_RSRC2:USER_SGPR: 6
; COMPUTE_PGM_RSRC2:TRAP_HANDLER: 0
; COMPUTE_PGM_RSRC2:TGID_X_EN: 1
; COMPUTE_PGM_RSRC2:TGID_Y_EN: 0
; COMPUTE_PGM_RSRC2:TGID_Z_EN: 0
; COMPUTE_PGM_RSRC2:TIDIG_COMP_CNT: 0
; COMPUTE_PGM_RSRC3_GFX90A:ACCUM_OFFSET: 0
; COMPUTE_PGM_RSRC3_GFX90A:TG_SPLIT: 0
	.section	.text._ZN7rocprim17ROCPRIM_400000_NS6detail17trampoline_kernelINS0_14default_configENS1_38merge_sort_block_merge_config_selectorIjyEEZZNS1_27merge_sort_block_merge_implIS3_PjPyjNS1_19radix_merge_compareILb0ELb1EjNS0_19identity_decomposerEEEEE10hipError_tT0_T1_T2_jT3_P12ihipStream_tbPNSt15iterator_traitsISD_E10value_typeEPNSJ_ISE_E10value_typeEPSF_NS1_7vsmem_tEENKUlT_SD_SE_SF_E_clIS7_S7_S8_S8_EESC_SS_SD_SE_SF_EUlSS_E_NS1_11comp_targetILNS1_3genE4ELNS1_11target_archE910ELNS1_3gpuE8ELNS1_3repE0EEENS1_48merge_mergepath_partition_config_static_selectorELNS0_4arch9wavefront6targetE1EEEvSE_,"axG",@progbits,_ZN7rocprim17ROCPRIM_400000_NS6detail17trampoline_kernelINS0_14default_configENS1_38merge_sort_block_merge_config_selectorIjyEEZZNS1_27merge_sort_block_merge_implIS3_PjPyjNS1_19radix_merge_compareILb0ELb1EjNS0_19identity_decomposerEEEEE10hipError_tT0_T1_T2_jT3_P12ihipStream_tbPNSt15iterator_traitsISD_E10value_typeEPNSJ_ISE_E10value_typeEPSF_NS1_7vsmem_tEENKUlT_SD_SE_SF_E_clIS7_S7_S8_S8_EESC_SS_SD_SE_SF_EUlSS_E_NS1_11comp_targetILNS1_3genE4ELNS1_11target_archE910ELNS1_3gpuE8ELNS1_3repE0EEENS1_48merge_mergepath_partition_config_static_selectorELNS0_4arch9wavefront6targetE1EEEvSE_,comdat
	.protected	_ZN7rocprim17ROCPRIM_400000_NS6detail17trampoline_kernelINS0_14default_configENS1_38merge_sort_block_merge_config_selectorIjyEEZZNS1_27merge_sort_block_merge_implIS3_PjPyjNS1_19radix_merge_compareILb0ELb1EjNS0_19identity_decomposerEEEEE10hipError_tT0_T1_T2_jT3_P12ihipStream_tbPNSt15iterator_traitsISD_E10value_typeEPNSJ_ISE_E10value_typeEPSF_NS1_7vsmem_tEENKUlT_SD_SE_SF_E_clIS7_S7_S8_S8_EESC_SS_SD_SE_SF_EUlSS_E_NS1_11comp_targetILNS1_3genE4ELNS1_11target_archE910ELNS1_3gpuE8ELNS1_3repE0EEENS1_48merge_mergepath_partition_config_static_selectorELNS0_4arch9wavefront6targetE1EEEvSE_ ; -- Begin function _ZN7rocprim17ROCPRIM_400000_NS6detail17trampoline_kernelINS0_14default_configENS1_38merge_sort_block_merge_config_selectorIjyEEZZNS1_27merge_sort_block_merge_implIS3_PjPyjNS1_19radix_merge_compareILb0ELb1EjNS0_19identity_decomposerEEEEE10hipError_tT0_T1_T2_jT3_P12ihipStream_tbPNSt15iterator_traitsISD_E10value_typeEPNSJ_ISE_E10value_typeEPSF_NS1_7vsmem_tEENKUlT_SD_SE_SF_E_clIS7_S7_S8_S8_EESC_SS_SD_SE_SF_EUlSS_E_NS1_11comp_targetILNS1_3genE4ELNS1_11target_archE910ELNS1_3gpuE8ELNS1_3repE0EEENS1_48merge_mergepath_partition_config_static_selectorELNS0_4arch9wavefront6targetE1EEEvSE_
	.globl	_ZN7rocprim17ROCPRIM_400000_NS6detail17trampoline_kernelINS0_14default_configENS1_38merge_sort_block_merge_config_selectorIjyEEZZNS1_27merge_sort_block_merge_implIS3_PjPyjNS1_19radix_merge_compareILb0ELb1EjNS0_19identity_decomposerEEEEE10hipError_tT0_T1_T2_jT3_P12ihipStream_tbPNSt15iterator_traitsISD_E10value_typeEPNSJ_ISE_E10value_typeEPSF_NS1_7vsmem_tEENKUlT_SD_SE_SF_E_clIS7_S7_S8_S8_EESC_SS_SD_SE_SF_EUlSS_E_NS1_11comp_targetILNS1_3genE4ELNS1_11target_archE910ELNS1_3gpuE8ELNS1_3repE0EEENS1_48merge_mergepath_partition_config_static_selectorELNS0_4arch9wavefront6targetE1EEEvSE_
	.p2align	8
	.type	_ZN7rocprim17ROCPRIM_400000_NS6detail17trampoline_kernelINS0_14default_configENS1_38merge_sort_block_merge_config_selectorIjyEEZZNS1_27merge_sort_block_merge_implIS3_PjPyjNS1_19radix_merge_compareILb0ELb1EjNS0_19identity_decomposerEEEEE10hipError_tT0_T1_T2_jT3_P12ihipStream_tbPNSt15iterator_traitsISD_E10value_typeEPNSJ_ISE_E10value_typeEPSF_NS1_7vsmem_tEENKUlT_SD_SE_SF_E_clIS7_S7_S8_S8_EESC_SS_SD_SE_SF_EUlSS_E_NS1_11comp_targetILNS1_3genE4ELNS1_11target_archE910ELNS1_3gpuE8ELNS1_3repE0EEENS1_48merge_mergepath_partition_config_static_selectorELNS0_4arch9wavefront6targetE1EEEvSE_,@function
_ZN7rocprim17ROCPRIM_400000_NS6detail17trampoline_kernelINS0_14default_configENS1_38merge_sort_block_merge_config_selectorIjyEEZZNS1_27merge_sort_block_merge_implIS3_PjPyjNS1_19radix_merge_compareILb0ELb1EjNS0_19identity_decomposerEEEEE10hipError_tT0_T1_T2_jT3_P12ihipStream_tbPNSt15iterator_traitsISD_E10value_typeEPNSJ_ISE_E10value_typeEPSF_NS1_7vsmem_tEENKUlT_SD_SE_SF_E_clIS7_S7_S8_S8_EESC_SS_SD_SE_SF_EUlSS_E_NS1_11comp_targetILNS1_3genE4ELNS1_11target_archE910ELNS1_3gpuE8ELNS1_3repE0EEENS1_48merge_mergepath_partition_config_static_selectorELNS0_4arch9wavefront6targetE1EEEvSE_: ; @_ZN7rocprim17ROCPRIM_400000_NS6detail17trampoline_kernelINS0_14default_configENS1_38merge_sort_block_merge_config_selectorIjyEEZZNS1_27merge_sort_block_merge_implIS3_PjPyjNS1_19radix_merge_compareILb0ELb1EjNS0_19identity_decomposerEEEEE10hipError_tT0_T1_T2_jT3_P12ihipStream_tbPNSt15iterator_traitsISD_E10value_typeEPNSJ_ISE_E10value_typeEPSF_NS1_7vsmem_tEENKUlT_SD_SE_SF_E_clIS7_S7_S8_S8_EESC_SS_SD_SE_SF_EUlSS_E_NS1_11comp_targetILNS1_3genE4ELNS1_11target_archE910ELNS1_3gpuE8ELNS1_3repE0EEENS1_48merge_mergepath_partition_config_static_selectorELNS0_4arch9wavefront6targetE1EEEvSE_
; %bb.0:
	s_load_dword s0, s[4:5], 0x0
	v_lshl_or_b32 v0, s6, 7, v0
	s_waitcnt lgkmcnt(0)
	v_cmp_gt_u32_e32 vcc, s0, v0
	s_and_saveexec_b64 s[0:1], vcc
	s_cbranch_execz .LBB505_6
; %bb.1:
	s_load_dwordx2 s[2:3], s[4:5], 0x4
	s_load_dwordx2 s[0:1], s[4:5], 0x20
	s_waitcnt lgkmcnt(0)
	s_lshr_b32 s6, s2, 9
	s_and_b32 s6, s6, 0x7ffffe
	s_add_i32 s7, s6, -1
	s_sub_i32 s6, 0, s6
	v_and_b32_e32 v1, s6, v0
	v_lshlrev_b32_e32 v1, 10, v1
	v_min_u32_e32 v2, s3, v1
	v_add_u32_e32 v1, s2, v1
	v_min_u32_e32 v4, s3, v1
	v_add_u32_e32 v1, s2, v4
	v_and_b32_e32 v3, s7, v0
	v_min_u32_e32 v1, s3, v1
	v_sub_u32_e32 v5, v1, v2
	v_lshlrev_b32_e32 v3, 10, v3
	v_min_u32_e32 v6, v5, v3
	v_sub_u32_e32 v3, v4, v2
	v_sub_u32_e32 v1, v1, v4
	v_sub_u32_e64 v1, v6, v1 clamp
	v_min_u32_e32 v7, v6, v3
	v_cmp_lt_u32_e32 vcc, v1, v7
	s_and_saveexec_b64 s[2:3], vcc
	s_cbranch_execz .LBB505_5
; %bb.2:
	s_load_dwordx2 s[8:9], s[4:5], 0x10
	s_load_dword s6, s[4:5], 0x18
	v_mov_b32_e32 v5, 0
	v_mov_b32_e32 v3, v5
	v_lshlrev_b64 v[8:9], 2, v[2:3]
	s_waitcnt lgkmcnt(0)
	v_mov_b32_e32 v12, s9
	v_add_co_u32_e32 v3, vcc, s8, v8
	v_addc_co_u32_e32 v8, vcc, v12, v9, vcc
	v_lshlrev_b64 v[10:11], 2, v[4:5]
	v_add_co_u32_e32 v9, vcc, s8, v10
	v_addc_co_u32_e32 v10, vcc, v12, v11, vcc
	s_mov_b64 s[4:5], 0
.LBB505_3:                              ; =>This Inner Loop Header: Depth=1
	v_add_u32_e32 v4, v7, v1
	v_lshrrev_b32_e32 v4, 1, v4
	v_lshlrev_b64 v[14:15], 2, v[4:5]
	v_mov_b32_e32 v13, v5
	v_xad_u32 v12, v4, -1, v6
	v_add_co_u32_e32 v14, vcc, v3, v14
	v_addc_co_u32_e32 v15, vcc, v8, v15, vcc
	v_lshlrev_b64 v[12:13], 2, v[12:13]
	v_add_co_u32_e32 v12, vcc, v9, v12
	v_addc_co_u32_e32 v13, vcc, v10, v13, vcc
	global_load_dword v11, v[14:15], off
	global_load_dword v16, v[12:13], off
	v_add_u32_e32 v12, 1, v4
	s_waitcnt vmcnt(1)
	v_and_b32_e32 v11, s6, v11
	s_waitcnt vmcnt(0)
	v_and_b32_e32 v13, s6, v16
	v_cmp_gt_u32_e32 vcc, v11, v13
	v_cndmask_b32_e32 v7, v7, v4, vcc
	v_cndmask_b32_e32 v1, v12, v1, vcc
	v_cmp_ge_u32_e32 vcc, v1, v7
	s_or_b64 s[4:5], vcc, s[4:5]
	s_andn2_b64 exec, exec, s[4:5]
	s_cbranch_execnz .LBB505_3
; %bb.4:
	s_or_b64 exec, exec, s[4:5]
.LBB505_5:
	s_or_b64 exec, exec, s[2:3]
	v_add_u32_e32 v2, v1, v2
	v_mov_b32_e32 v1, 0
	v_lshlrev_b64 v[0:1], 2, v[0:1]
	v_mov_b32_e32 v3, s1
	v_add_co_u32_e32 v0, vcc, s0, v0
	v_addc_co_u32_e32 v1, vcc, v3, v1, vcc
	global_store_dword v[0:1], v2, off
.LBB505_6:
	s_endpgm
	.section	.rodata,"a",@progbits
	.p2align	6, 0x0
	.amdhsa_kernel _ZN7rocprim17ROCPRIM_400000_NS6detail17trampoline_kernelINS0_14default_configENS1_38merge_sort_block_merge_config_selectorIjyEEZZNS1_27merge_sort_block_merge_implIS3_PjPyjNS1_19radix_merge_compareILb0ELb1EjNS0_19identity_decomposerEEEEE10hipError_tT0_T1_T2_jT3_P12ihipStream_tbPNSt15iterator_traitsISD_E10value_typeEPNSJ_ISE_E10value_typeEPSF_NS1_7vsmem_tEENKUlT_SD_SE_SF_E_clIS7_S7_S8_S8_EESC_SS_SD_SE_SF_EUlSS_E_NS1_11comp_targetILNS1_3genE4ELNS1_11target_archE910ELNS1_3gpuE8ELNS1_3repE0EEENS1_48merge_mergepath_partition_config_static_selectorELNS0_4arch9wavefront6targetE1EEEvSE_
		.amdhsa_group_segment_fixed_size 0
		.amdhsa_private_segment_fixed_size 0
		.amdhsa_kernarg_size 40
		.amdhsa_user_sgpr_count 6
		.amdhsa_user_sgpr_private_segment_buffer 1
		.amdhsa_user_sgpr_dispatch_ptr 0
		.amdhsa_user_sgpr_queue_ptr 0
		.amdhsa_user_sgpr_kernarg_segment_ptr 1
		.amdhsa_user_sgpr_dispatch_id 0
		.amdhsa_user_sgpr_flat_scratch_init 0
		.amdhsa_user_sgpr_kernarg_preload_length 0
		.amdhsa_user_sgpr_kernarg_preload_offset 0
		.amdhsa_user_sgpr_private_segment_size 0
		.amdhsa_uses_dynamic_stack 0
		.amdhsa_system_sgpr_private_segment_wavefront_offset 0
		.amdhsa_system_sgpr_workgroup_id_x 1
		.amdhsa_system_sgpr_workgroup_id_y 0
		.amdhsa_system_sgpr_workgroup_id_z 0
		.amdhsa_system_sgpr_workgroup_info 0
		.amdhsa_system_vgpr_workitem_id 0
		.amdhsa_next_free_vgpr 17
		.amdhsa_next_free_sgpr 10
		.amdhsa_accum_offset 20
		.amdhsa_reserve_vcc 1
		.amdhsa_reserve_flat_scratch 0
		.amdhsa_float_round_mode_32 0
		.amdhsa_float_round_mode_16_64 0
		.amdhsa_float_denorm_mode_32 3
		.amdhsa_float_denorm_mode_16_64 3
		.amdhsa_dx10_clamp 1
		.amdhsa_ieee_mode 1
		.amdhsa_fp16_overflow 0
		.amdhsa_tg_split 0
		.amdhsa_exception_fp_ieee_invalid_op 0
		.amdhsa_exception_fp_denorm_src 0
		.amdhsa_exception_fp_ieee_div_zero 0
		.amdhsa_exception_fp_ieee_overflow 0
		.amdhsa_exception_fp_ieee_underflow 0
		.amdhsa_exception_fp_ieee_inexact 0
		.amdhsa_exception_int_div_zero 0
	.end_amdhsa_kernel
	.section	.text._ZN7rocprim17ROCPRIM_400000_NS6detail17trampoline_kernelINS0_14default_configENS1_38merge_sort_block_merge_config_selectorIjyEEZZNS1_27merge_sort_block_merge_implIS3_PjPyjNS1_19radix_merge_compareILb0ELb1EjNS0_19identity_decomposerEEEEE10hipError_tT0_T1_T2_jT3_P12ihipStream_tbPNSt15iterator_traitsISD_E10value_typeEPNSJ_ISE_E10value_typeEPSF_NS1_7vsmem_tEENKUlT_SD_SE_SF_E_clIS7_S7_S8_S8_EESC_SS_SD_SE_SF_EUlSS_E_NS1_11comp_targetILNS1_3genE4ELNS1_11target_archE910ELNS1_3gpuE8ELNS1_3repE0EEENS1_48merge_mergepath_partition_config_static_selectorELNS0_4arch9wavefront6targetE1EEEvSE_,"axG",@progbits,_ZN7rocprim17ROCPRIM_400000_NS6detail17trampoline_kernelINS0_14default_configENS1_38merge_sort_block_merge_config_selectorIjyEEZZNS1_27merge_sort_block_merge_implIS3_PjPyjNS1_19radix_merge_compareILb0ELb1EjNS0_19identity_decomposerEEEEE10hipError_tT0_T1_T2_jT3_P12ihipStream_tbPNSt15iterator_traitsISD_E10value_typeEPNSJ_ISE_E10value_typeEPSF_NS1_7vsmem_tEENKUlT_SD_SE_SF_E_clIS7_S7_S8_S8_EESC_SS_SD_SE_SF_EUlSS_E_NS1_11comp_targetILNS1_3genE4ELNS1_11target_archE910ELNS1_3gpuE8ELNS1_3repE0EEENS1_48merge_mergepath_partition_config_static_selectorELNS0_4arch9wavefront6targetE1EEEvSE_,comdat
.Lfunc_end505:
	.size	_ZN7rocprim17ROCPRIM_400000_NS6detail17trampoline_kernelINS0_14default_configENS1_38merge_sort_block_merge_config_selectorIjyEEZZNS1_27merge_sort_block_merge_implIS3_PjPyjNS1_19radix_merge_compareILb0ELb1EjNS0_19identity_decomposerEEEEE10hipError_tT0_T1_T2_jT3_P12ihipStream_tbPNSt15iterator_traitsISD_E10value_typeEPNSJ_ISE_E10value_typeEPSF_NS1_7vsmem_tEENKUlT_SD_SE_SF_E_clIS7_S7_S8_S8_EESC_SS_SD_SE_SF_EUlSS_E_NS1_11comp_targetILNS1_3genE4ELNS1_11target_archE910ELNS1_3gpuE8ELNS1_3repE0EEENS1_48merge_mergepath_partition_config_static_selectorELNS0_4arch9wavefront6targetE1EEEvSE_, .Lfunc_end505-_ZN7rocprim17ROCPRIM_400000_NS6detail17trampoline_kernelINS0_14default_configENS1_38merge_sort_block_merge_config_selectorIjyEEZZNS1_27merge_sort_block_merge_implIS3_PjPyjNS1_19radix_merge_compareILb0ELb1EjNS0_19identity_decomposerEEEEE10hipError_tT0_T1_T2_jT3_P12ihipStream_tbPNSt15iterator_traitsISD_E10value_typeEPNSJ_ISE_E10value_typeEPSF_NS1_7vsmem_tEENKUlT_SD_SE_SF_E_clIS7_S7_S8_S8_EESC_SS_SD_SE_SF_EUlSS_E_NS1_11comp_targetILNS1_3genE4ELNS1_11target_archE910ELNS1_3gpuE8ELNS1_3repE0EEENS1_48merge_mergepath_partition_config_static_selectorELNS0_4arch9wavefront6targetE1EEEvSE_
                                        ; -- End function
	.section	.AMDGPU.csdata,"",@progbits
; Kernel info:
; codeLenInByte = 380
; NumSgprs: 14
; NumVgprs: 17
; NumAgprs: 0
; TotalNumVgprs: 17
; ScratchSize: 0
; MemoryBound: 0
; FloatMode: 240
; IeeeMode: 1
; LDSByteSize: 0 bytes/workgroup (compile time only)
; SGPRBlocks: 1
; VGPRBlocks: 2
; NumSGPRsForWavesPerEU: 14
; NumVGPRsForWavesPerEU: 17
; AccumOffset: 20
; Occupancy: 8
; WaveLimiterHint : 0
; COMPUTE_PGM_RSRC2:SCRATCH_EN: 0
; COMPUTE_PGM_RSRC2:USER_SGPR: 6
; COMPUTE_PGM_RSRC2:TRAP_HANDLER: 0
; COMPUTE_PGM_RSRC2:TGID_X_EN: 1
; COMPUTE_PGM_RSRC2:TGID_Y_EN: 0
; COMPUTE_PGM_RSRC2:TGID_Z_EN: 0
; COMPUTE_PGM_RSRC2:TIDIG_COMP_CNT: 0
; COMPUTE_PGM_RSRC3_GFX90A:ACCUM_OFFSET: 4
; COMPUTE_PGM_RSRC3_GFX90A:TG_SPLIT: 0
	.section	.text._ZN7rocprim17ROCPRIM_400000_NS6detail17trampoline_kernelINS0_14default_configENS1_38merge_sort_block_merge_config_selectorIjyEEZZNS1_27merge_sort_block_merge_implIS3_PjPyjNS1_19radix_merge_compareILb0ELb1EjNS0_19identity_decomposerEEEEE10hipError_tT0_T1_T2_jT3_P12ihipStream_tbPNSt15iterator_traitsISD_E10value_typeEPNSJ_ISE_E10value_typeEPSF_NS1_7vsmem_tEENKUlT_SD_SE_SF_E_clIS7_S7_S8_S8_EESC_SS_SD_SE_SF_EUlSS_E_NS1_11comp_targetILNS1_3genE3ELNS1_11target_archE908ELNS1_3gpuE7ELNS1_3repE0EEENS1_48merge_mergepath_partition_config_static_selectorELNS0_4arch9wavefront6targetE1EEEvSE_,"axG",@progbits,_ZN7rocprim17ROCPRIM_400000_NS6detail17trampoline_kernelINS0_14default_configENS1_38merge_sort_block_merge_config_selectorIjyEEZZNS1_27merge_sort_block_merge_implIS3_PjPyjNS1_19radix_merge_compareILb0ELb1EjNS0_19identity_decomposerEEEEE10hipError_tT0_T1_T2_jT3_P12ihipStream_tbPNSt15iterator_traitsISD_E10value_typeEPNSJ_ISE_E10value_typeEPSF_NS1_7vsmem_tEENKUlT_SD_SE_SF_E_clIS7_S7_S8_S8_EESC_SS_SD_SE_SF_EUlSS_E_NS1_11comp_targetILNS1_3genE3ELNS1_11target_archE908ELNS1_3gpuE7ELNS1_3repE0EEENS1_48merge_mergepath_partition_config_static_selectorELNS0_4arch9wavefront6targetE1EEEvSE_,comdat
	.protected	_ZN7rocprim17ROCPRIM_400000_NS6detail17trampoline_kernelINS0_14default_configENS1_38merge_sort_block_merge_config_selectorIjyEEZZNS1_27merge_sort_block_merge_implIS3_PjPyjNS1_19radix_merge_compareILb0ELb1EjNS0_19identity_decomposerEEEEE10hipError_tT0_T1_T2_jT3_P12ihipStream_tbPNSt15iterator_traitsISD_E10value_typeEPNSJ_ISE_E10value_typeEPSF_NS1_7vsmem_tEENKUlT_SD_SE_SF_E_clIS7_S7_S8_S8_EESC_SS_SD_SE_SF_EUlSS_E_NS1_11comp_targetILNS1_3genE3ELNS1_11target_archE908ELNS1_3gpuE7ELNS1_3repE0EEENS1_48merge_mergepath_partition_config_static_selectorELNS0_4arch9wavefront6targetE1EEEvSE_ ; -- Begin function _ZN7rocprim17ROCPRIM_400000_NS6detail17trampoline_kernelINS0_14default_configENS1_38merge_sort_block_merge_config_selectorIjyEEZZNS1_27merge_sort_block_merge_implIS3_PjPyjNS1_19radix_merge_compareILb0ELb1EjNS0_19identity_decomposerEEEEE10hipError_tT0_T1_T2_jT3_P12ihipStream_tbPNSt15iterator_traitsISD_E10value_typeEPNSJ_ISE_E10value_typeEPSF_NS1_7vsmem_tEENKUlT_SD_SE_SF_E_clIS7_S7_S8_S8_EESC_SS_SD_SE_SF_EUlSS_E_NS1_11comp_targetILNS1_3genE3ELNS1_11target_archE908ELNS1_3gpuE7ELNS1_3repE0EEENS1_48merge_mergepath_partition_config_static_selectorELNS0_4arch9wavefront6targetE1EEEvSE_
	.globl	_ZN7rocprim17ROCPRIM_400000_NS6detail17trampoline_kernelINS0_14default_configENS1_38merge_sort_block_merge_config_selectorIjyEEZZNS1_27merge_sort_block_merge_implIS3_PjPyjNS1_19radix_merge_compareILb0ELb1EjNS0_19identity_decomposerEEEEE10hipError_tT0_T1_T2_jT3_P12ihipStream_tbPNSt15iterator_traitsISD_E10value_typeEPNSJ_ISE_E10value_typeEPSF_NS1_7vsmem_tEENKUlT_SD_SE_SF_E_clIS7_S7_S8_S8_EESC_SS_SD_SE_SF_EUlSS_E_NS1_11comp_targetILNS1_3genE3ELNS1_11target_archE908ELNS1_3gpuE7ELNS1_3repE0EEENS1_48merge_mergepath_partition_config_static_selectorELNS0_4arch9wavefront6targetE1EEEvSE_
	.p2align	8
	.type	_ZN7rocprim17ROCPRIM_400000_NS6detail17trampoline_kernelINS0_14default_configENS1_38merge_sort_block_merge_config_selectorIjyEEZZNS1_27merge_sort_block_merge_implIS3_PjPyjNS1_19radix_merge_compareILb0ELb1EjNS0_19identity_decomposerEEEEE10hipError_tT0_T1_T2_jT3_P12ihipStream_tbPNSt15iterator_traitsISD_E10value_typeEPNSJ_ISE_E10value_typeEPSF_NS1_7vsmem_tEENKUlT_SD_SE_SF_E_clIS7_S7_S8_S8_EESC_SS_SD_SE_SF_EUlSS_E_NS1_11comp_targetILNS1_3genE3ELNS1_11target_archE908ELNS1_3gpuE7ELNS1_3repE0EEENS1_48merge_mergepath_partition_config_static_selectorELNS0_4arch9wavefront6targetE1EEEvSE_,@function
_ZN7rocprim17ROCPRIM_400000_NS6detail17trampoline_kernelINS0_14default_configENS1_38merge_sort_block_merge_config_selectorIjyEEZZNS1_27merge_sort_block_merge_implIS3_PjPyjNS1_19radix_merge_compareILb0ELb1EjNS0_19identity_decomposerEEEEE10hipError_tT0_T1_T2_jT3_P12ihipStream_tbPNSt15iterator_traitsISD_E10value_typeEPNSJ_ISE_E10value_typeEPSF_NS1_7vsmem_tEENKUlT_SD_SE_SF_E_clIS7_S7_S8_S8_EESC_SS_SD_SE_SF_EUlSS_E_NS1_11comp_targetILNS1_3genE3ELNS1_11target_archE908ELNS1_3gpuE7ELNS1_3repE0EEENS1_48merge_mergepath_partition_config_static_selectorELNS0_4arch9wavefront6targetE1EEEvSE_: ; @_ZN7rocprim17ROCPRIM_400000_NS6detail17trampoline_kernelINS0_14default_configENS1_38merge_sort_block_merge_config_selectorIjyEEZZNS1_27merge_sort_block_merge_implIS3_PjPyjNS1_19radix_merge_compareILb0ELb1EjNS0_19identity_decomposerEEEEE10hipError_tT0_T1_T2_jT3_P12ihipStream_tbPNSt15iterator_traitsISD_E10value_typeEPNSJ_ISE_E10value_typeEPSF_NS1_7vsmem_tEENKUlT_SD_SE_SF_E_clIS7_S7_S8_S8_EESC_SS_SD_SE_SF_EUlSS_E_NS1_11comp_targetILNS1_3genE3ELNS1_11target_archE908ELNS1_3gpuE7ELNS1_3repE0EEENS1_48merge_mergepath_partition_config_static_selectorELNS0_4arch9wavefront6targetE1EEEvSE_
; %bb.0:
	.section	.rodata,"a",@progbits
	.p2align	6, 0x0
	.amdhsa_kernel _ZN7rocprim17ROCPRIM_400000_NS6detail17trampoline_kernelINS0_14default_configENS1_38merge_sort_block_merge_config_selectorIjyEEZZNS1_27merge_sort_block_merge_implIS3_PjPyjNS1_19radix_merge_compareILb0ELb1EjNS0_19identity_decomposerEEEEE10hipError_tT0_T1_T2_jT3_P12ihipStream_tbPNSt15iterator_traitsISD_E10value_typeEPNSJ_ISE_E10value_typeEPSF_NS1_7vsmem_tEENKUlT_SD_SE_SF_E_clIS7_S7_S8_S8_EESC_SS_SD_SE_SF_EUlSS_E_NS1_11comp_targetILNS1_3genE3ELNS1_11target_archE908ELNS1_3gpuE7ELNS1_3repE0EEENS1_48merge_mergepath_partition_config_static_selectorELNS0_4arch9wavefront6targetE1EEEvSE_
		.amdhsa_group_segment_fixed_size 0
		.amdhsa_private_segment_fixed_size 0
		.amdhsa_kernarg_size 40
		.amdhsa_user_sgpr_count 6
		.amdhsa_user_sgpr_private_segment_buffer 1
		.amdhsa_user_sgpr_dispatch_ptr 0
		.amdhsa_user_sgpr_queue_ptr 0
		.amdhsa_user_sgpr_kernarg_segment_ptr 1
		.amdhsa_user_sgpr_dispatch_id 0
		.amdhsa_user_sgpr_flat_scratch_init 0
		.amdhsa_user_sgpr_kernarg_preload_length 0
		.amdhsa_user_sgpr_kernarg_preload_offset 0
		.amdhsa_user_sgpr_private_segment_size 0
		.amdhsa_uses_dynamic_stack 0
		.amdhsa_system_sgpr_private_segment_wavefront_offset 0
		.amdhsa_system_sgpr_workgroup_id_x 1
		.amdhsa_system_sgpr_workgroup_id_y 0
		.amdhsa_system_sgpr_workgroup_id_z 0
		.amdhsa_system_sgpr_workgroup_info 0
		.amdhsa_system_vgpr_workitem_id 0
		.amdhsa_next_free_vgpr 1
		.amdhsa_next_free_sgpr 0
		.amdhsa_accum_offset 4
		.amdhsa_reserve_vcc 0
		.amdhsa_reserve_flat_scratch 0
		.amdhsa_float_round_mode_32 0
		.amdhsa_float_round_mode_16_64 0
		.amdhsa_float_denorm_mode_32 3
		.amdhsa_float_denorm_mode_16_64 3
		.amdhsa_dx10_clamp 1
		.amdhsa_ieee_mode 1
		.amdhsa_fp16_overflow 0
		.amdhsa_tg_split 0
		.amdhsa_exception_fp_ieee_invalid_op 0
		.amdhsa_exception_fp_denorm_src 0
		.amdhsa_exception_fp_ieee_div_zero 0
		.amdhsa_exception_fp_ieee_overflow 0
		.amdhsa_exception_fp_ieee_underflow 0
		.amdhsa_exception_fp_ieee_inexact 0
		.amdhsa_exception_int_div_zero 0
	.end_amdhsa_kernel
	.section	.text._ZN7rocprim17ROCPRIM_400000_NS6detail17trampoline_kernelINS0_14default_configENS1_38merge_sort_block_merge_config_selectorIjyEEZZNS1_27merge_sort_block_merge_implIS3_PjPyjNS1_19radix_merge_compareILb0ELb1EjNS0_19identity_decomposerEEEEE10hipError_tT0_T1_T2_jT3_P12ihipStream_tbPNSt15iterator_traitsISD_E10value_typeEPNSJ_ISE_E10value_typeEPSF_NS1_7vsmem_tEENKUlT_SD_SE_SF_E_clIS7_S7_S8_S8_EESC_SS_SD_SE_SF_EUlSS_E_NS1_11comp_targetILNS1_3genE3ELNS1_11target_archE908ELNS1_3gpuE7ELNS1_3repE0EEENS1_48merge_mergepath_partition_config_static_selectorELNS0_4arch9wavefront6targetE1EEEvSE_,"axG",@progbits,_ZN7rocprim17ROCPRIM_400000_NS6detail17trampoline_kernelINS0_14default_configENS1_38merge_sort_block_merge_config_selectorIjyEEZZNS1_27merge_sort_block_merge_implIS3_PjPyjNS1_19radix_merge_compareILb0ELb1EjNS0_19identity_decomposerEEEEE10hipError_tT0_T1_T2_jT3_P12ihipStream_tbPNSt15iterator_traitsISD_E10value_typeEPNSJ_ISE_E10value_typeEPSF_NS1_7vsmem_tEENKUlT_SD_SE_SF_E_clIS7_S7_S8_S8_EESC_SS_SD_SE_SF_EUlSS_E_NS1_11comp_targetILNS1_3genE3ELNS1_11target_archE908ELNS1_3gpuE7ELNS1_3repE0EEENS1_48merge_mergepath_partition_config_static_selectorELNS0_4arch9wavefront6targetE1EEEvSE_,comdat
.Lfunc_end506:
	.size	_ZN7rocprim17ROCPRIM_400000_NS6detail17trampoline_kernelINS0_14default_configENS1_38merge_sort_block_merge_config_selectorIjyEEZZNS1_27merge_sort_block_merge_implIS3_PjPyjNS1_19radix_merge_compareILb0ELb1EjNS0_19identity_decomposerEEEEE10hipError_tT0_T1_T2_jT3_P12ihipStream_tbPNSt15iterator_traitsISD_E10value_typeEPNSJ_ISE_E10value_typeEPSF_NS1_7vsmem_tEENKUlT_SD_SE_SF_E_clIS7_S7_S8_S8_EESC_SS_SD_SE_SF_EUlSS_E_NS1_11comp_targetILNS1_3genE3ELNS1_11target_archE908ELNS1_3gpuE7ELNS1_3repE0EEENS1_48merge_mergepath_partition_config_static_selectorELNS0_4arch9wavefront6targetE1EEEvSE_, .Lfunc_end506-_ZN7rocprim17ROCPRIM_400000_NS6detail17trampoline_kernelINS0_14default_configENS1_38merge_sort_block_merge_config_selectorIjyEEZZNS1_27merge_sort_block_merge_implIS3_PjPyjNS1_19radix_merge_compareILb0ELb1EjNS0_19identity_decomposerEEEEE10hipError_tT0_T1_T2_jT3_P12ihipStream_tbPNSt15iterator_traitsISD_E10value_typeEPNSJ_ISE_E10value_typeEPSF_NS1_7vsmem_tEENKUlT_SD_SE_SF_E_clIS7_S7_S8_S8_EESC_SS_SD_SE_SF_EUlSS_E_NS1_11comp_targetILNS1_3genE3ELNS1_11target_archE908ELNS1_3gpuE7ELNS1_3repE0EEENS1_48merge_mergepath_partition_config_static_selectorELNS0_4arch9wavefront6targetE1EEEvSE_
                                        ; -- End function
	.section	.AMDGPU.csdata,"",@progbits
; Kernel info:
; codeLenInByte = 0
; NumSgprs: 4
; NumVgprs: 0
; NumAgprs: 0
; TotalNumVgprs: 0
; ScratchSize: 0
; MemoryBound: 0
; FloatMode: 240
; IeeeMode: 1
; LDSByteSize: 0 bytes/workgroup (compile time only)
; SGPRBlocks: 0
; VGPRBlocks: 0
; NumSGPRsForWavesPerEU: 4
; NumVGPRsForWavesPerEU: 1
; AccumOffset: 4
; Occupancy: 8
; WaveLimiterHint : 0
; COMPUTE_PGM_RSRC2:SCRATCH_EN: 0
; COMPUTE_PGM_RSRC2:USER_SGPR: 6
; COMPUTE_PGM_RSRC2:TRAP_HANDLER: 0
; COMPUTE_PGM_RSRC2:TGID_X_EN: 1
; COMPUTE_PGM_RSRC2:TGID_Y_EN: 0
; COMPUTE_PGM_RSRC2:TGID_Z_EN: 0
; COMPUTE_PGM_RSRC2:TIDIG_COMP_CNT: 0
; COMPUTE_PGM_RSRC3_GFX90A:ACCUM_OFFSET: 0
; COMPUTE_PGM_RSRC3_GFX90A:TG_SPLIT: 0
	.section	.text._ZN7rocprim17ROCPRIM_400000_NS6detail17trampoline_kernelINS0_14default_configENS1_38merge_sort_block_merge_config_selectorIjyEEZZNS1_27merge_sort_block_merge_implIS3_PjPyjNS1_19radix_merge_compareILb0ELb1EjNS0_19identity_decomposerEEEEE10hipError_tT0_T1_T2_jT3_P12ihipStream_tbPNSt15iterator_traitsISD_E10value_typeEPNSJ_ISE_E10value_typeEPSF_NS1_7vsmem_tEENKUlT_SD_SE_SF_E_clIS7_S7_S8_S8_EESC_SS_SD_SE_SF_EUlSS_E_NS1_11comp_targetILNS1_3genE2ELNS1_11target_archE906ELNS1_3gpuE6ELNS1_3repE0EEENS1_48merge_mergepath_partition_config_static_selectorELNS0_4arch9wavefront6targetE1EEEvSE_,"axG",@progbits,_ZN7rocprim17ROCPRIM_400000_NS6detail17trampoline_kernelINS0_14default_configENS1_38merge_sort_block_merge_config_selectorIjyEEZZNS1_27merge_sort_block_merge_implIS3_PjPyjNS1_19radix_merge_compareILb0ELb1EjNS0_19identity_decomposerEEEEE10hipError_tT0_T1_T2_jT3_P12ihipStream_tbPNSt15iterator_traitsISD_E10value_typeEPNSJ_ISE_E10value_typeEPSF_NS1_7vsmem_tEENKUlT_SD_SE_SF_E_clIS7_S7_S8_S8_EESC_SS_SD_SE_SF_EUlSS_E_NS1_11comp_targetILNS1_3genE2ELNS1_11target_archE906ELNS1_3gpuE6ELNS1_3repE0EEENS1_48merge_mergepath_partition_config_static_selectorELNS0_4arch9wavefront6targetE1EEEvSE_,comdat
	.protected	_ZN7rocprim17ROCPRIM_400000_NS6detail17trampoline_kernelINS0_14default_configENS1_38merge_sort_block_merge_config_selectorIjyEEZZNS1_27merge_sort_block_merge_implIS3_PjPyjNS1_19radix_merge_compareILb0ELb1EjNS0_19identity_decomposerEEEEE10hipError_tT0_T1_T2_jT3_P12ihipStream_tbPNSt15iterator_traitsISD_E10value_typeEPNSJ_ISE_E10value_typeEPSF_NS1_7vsmem_tEENKUlT_SD_SE_SF_E_clIS7_S7_S8_S8_EESC_SS_SD_SE_SF_EUlSS_E_NS1_11comp_targetILNS1_3genE2ELNS1_11target_archE906ELNS1_3gpuE6ELNS1_3repE0EEENS1_48merge_mergepath_partition_config_static_selectorELNS0_4arch9wavefront6targetE1EEEvSE_ ; -- Begin function _ZN7rocprim17ROCPRIM_400000_NS6detail17trampoline_kernelINS0_14default_configENS1_38merge_sort_block_merge_config_selectorIjyEEZZNS1_27merge_sort_block_merge_implIS3_PjPyjNS1_19radix_merge_compareILb0ELb1EjNS0_19identity_decomposerEEEEE10hipError_tT0_T1_T2_jT3_P12ihipStream_tbPNSt15iterator_traitsISD_E10value_typeEPNSJ_ISE_E10value_typeEPSF_NS1_7vsmem_tEENKUlT_SD_SE_SF_E_clIS7_S7_S8_S8_EESC_SS_SD_SE_SF_EUlSS_E_NS1_11comp_targetILNS1_3genE2ELNS1_11target_archE906ELNS1_3gpuE6ELNS1_3repE0EEENS1_48merge_mergepath_partition_config_static_selectorELNS0_4arch9wavefront6targetE1EEEvSE_
	.globl	_ZN7rocprim17ROCPRIM_400000_NS6detail17trampoline_kernelINS0_14default_configENS1_38merge_sort_block_merge_config_selectorIjyEEZZNS1_27merge_sort_block_merge_implIS3_PjPyjNS1_19radix_merge_compareILb0ELb1EjNS0_19identity_decomposerEEEEE10hipError_tT0_T1_T2_jT3_P12ihipStream_tbPNSt15iterator_traitsISD_E10value_typeEPNSJ_ISE_E10value_typeEPSF_NS1_7vsmem_tEENKUlT_SD_SE_SF_E_clIS7_S7_S8_S8_EESC_SS_SD_SE_SF_EUlSS_E_NS1_11comp_targetILNS1_3genE2ELNS1_11target_archE906ELNS1_3gpuE6ELNS1_3repE0EEENS1_48merge_mergepath_partition_config_static_selectorELNS0_4arch9wavefront6targetE1EEEvSE_
	.p2align	8
	.type	_ZN7rocprim17ROCPRIM_400000_NS6detail17trampoline_kernelINS0_14default_configENS1_38merge_sort_block_merge_config_selectorIjyEEZZNS1_27merge_sort_block_merge_implIS3_PjPyjNS1_19radix_merge_compareILb0ELb1EjNS0_19identity_decomposerEEEEE10hipError_tT0_T1_T2_jT3_P12ihipStream_tbPNSt15iterator_traitsISD_E10value_typeEPNSJ_ISE_E10value_typeEPSF_NS1_7vsmem_tEENKUlT_SD_SE_SF_E_clIS7_S7_S8_S8_EESC_SS_SD_SE_SF_EUlSS_E_NS1_11comp_targetILNS1_3genE2ELNS1_11target_archE906ELNS1_3gpuE6ELNS1_3repE0EEENS1_48merge_mergepath_partition_config_static_selectorELNS0_4arch9wavefront6targetE1EEEvSE_,@function
_ZN7rocprim17ROCPRIM_400000_NS6detail17trampoline_kernelINS0_14default_configENS1_38merge_sort_block_merge_config_selectorIjyEEZZNS1_27merge_sort_block_merge_implIS3_PjPyjNS1_19radix_merge_compareILb0ELb1EjNS0_19identity_decomposerEEEEE10hipError_tT0_T1_T2_jT3_P12ihipStream_tbPNSt15iterator_traitsISD_E10value_typeEPNSJ_ISE_E10value_typeEPSF_NS1_7vsmem_tEENKUlT_SD_SE_SF_E_clIS7_S7_S8_S8_EESC_SS_SD_SE_SF_EUlSS_E_NS1_11comp_targetILNS1_3genE2ELNS1_11target_archE906ELNS1_3gpuE6ELNS1_3repE0EEENS1_48merge_mergepath_partition_config_static_selectorELNS0_4arch9wavefront6targetE1EEEvSE_: ; @_ZN7rocprim17ROCPRIM_400000_NS6detail17trampoline_kernelINS0_14default_configENS1_38merge_sort_block_merge_config_selectorIjyEEZZNS1_27merge_sort_block_merge_implIS3_PjPyjNS1_19radix_merge_compareILb0ELb1EjNS0_19identity_decomposerEEEEE10hipError_tT0_T1_T2_jT3_P12ihipStream_tbPNSt15iterator_traitsISD_E10value_typeEPNSJ_ISE_E10value_typeEPSF_NS1_7vsmem_tEENKUlT_SD_SE_SF_E_clIS7_S7_S8_S8_EESC_SS_SD_SE_SF_EUlSS_E_NS1_11comp_targetILNS1_3genE2ELNS1_11target_archE906ELNS1_3gpuE6ELNS1_3repE0EEENS1_48merge_mergepath_partition_config_static_selectorELNS0_4arch9wavefront6targetE1EEEvSE_
; %bb.0:
	.section	.rodata,"a",@progbits
	.p2align	6, 0x0
	.amdhsa_kernel _ZN7rocprim17ROCPRIM_400000_NS6detail17trampoline_kernelINS0_14default_configENS1_38merge_sort_block_merge_config_selectorIjyEEZZNS1_27merge_sort_block_merge_implIS3_PjPyjNS1_19radix_merge_compareILb0ELb1EjNS0_19identity_decomposerEEEEE10hipError_tT0_T1_T2_jT3_P12ihipStream_tbPNSt15iterator_traitsISD_E10value_typeEPNSJ_ISE_E10value_typeEPSF_NS1_7vsmem_tEENKUlT_SD_SE_SF_E_clIS7_S7_S8_S8_EESC_SS_SD_SE_SF_EUlSS_E_NS1_11comp_targetILNS1_3genE2ELNS1_11target_archE906ELNS1_3gpuE6ELNS1_3repE0EEENS1_48merge_mergepath_partition_config_static_selectorELNS0_4arch9wavefront6targetE1EEEvSE_
		.amdhsa_group_segment_fixed_size 0
		.amdhsa_private_segment_fixed_size 0
		.amdhsa_kernarg_size 40
		.amdhsa_user_sgpr_count 6
		.amdhsa_user_sgpr_private_segment_buffer 1
		.amdhsa_user_sgpr_dispatch_ptr 0
		.amdhsa_user_sgpr_queue_ptr 0
		.amdhsa_user_sgpr_kernarg_segment_ptr 1
		.amdhsa_user_sgpr_dispatch_id 0
		.amdhsa_user_sgpr_flat_scratch_init 0
		.amdhsa_user_sgpr_kernarg_preload_length 0
		.amdhsa_user_sgpr_kernarg_preload_offset 0
		.amdhsa_user_sgpr_private_segment_size 0
		.amdhsa_uses_dynamic_stack 0
		.amdhsa_system_sgpr_private_segment_wavefront_offset 0
		.amdhsa_system_sgpr_workgroup_id_x 1
		.amdhsa_system_sgpr_workgroup_id_y 0
		.amdhsa_system_sgpr_workgroup_id_z 0
		.amdhsa_system_sgpr_workgroup_info 0
		.amdhsa_system_vgpr_workitem_id 0
		.amdhsa_next_free_vgpr 1
		.amdhsa_next_free_sgpr 0
		.amdhsa_accum_offset 4
		.amdhsa_reserve_vcc 0
		.amdhsa_reserve_flat_scratch 0
		.amdhsa_float_round_mode_32 0
		.amdhsa_float_round_mode_16_64 0
		.amdhsa_float_denorm_mode_32 3
		.amdhsa_float_denorm_mode_16_64 3
		.amdhsa_dx10_clamp 1
		.amdhsa_ieee_mode 1
		.amdhsa_fp16_overflow 0
		.amdhsa_tg_split 0
		.amdhsa_exception_fp_ieee_invalid_op 0
		.amdhsa_exception_fp_denorm_src 0
		.amdhsa_exception_fp_ieee_div_zero 0
		.amdhsa_exception_fp_ieee_overflow 0
		.amdhsa_exception_fp_ieee_underflow 0
		.amdhsa_exception_fp_ieee_inexact 0
		.amdhsa_exception_int_div_zero 0
	.end_amdhsa_kernel
	.section	.text._ZN7rocprim17ROCPRIM_400000_NS6detail17trampoline_kernelINS0_14default_configENS1_38merge_sort_block_merge_config_selectorIjyEEZZNS1_27merge_sort_block_merge_implIS3_PjPyjNS1_19radix_merge_compareILb0ELb1EjNS0_19identity_decomposerEEEEE10hipError_tT0_T1_T2_jT3_P12ihipStream_tbPNSt15iterator_traitsISD_E10value_typeEPNSJ_ISE_E10value_typeEPSF_NS1_7vsmem_tEENKUlT_SD_SE_SF_E_clIS7_S7_S8_S8_EESC_SS_SD_SE_SF_EUlSS_E_NS1_11comp_targetILNS1_3genE2ELNS1_11target_archE906ELNS1_3gpuE6ELNS1_3repE0EEENS1_48merge_mergepath_partition_config_static_selectorELNS0_4arch9wavefront6targetE1EEEvSE_,"axG",@progbits,_ZN7rocprim17ROCPRIM_400000_NS6detail17trampoline_kernelINS0_14default_configENS1_38merge_sort_block_merge_config_selectorIjyEEZZNS1_27merge_sort_block_merge_implIS3_PjPyjNS1_19radix_merge_compareILb0ELb1EjNS0_19identity_decomposerEEEEE10hipError_tT0_T1_T2_jT3_P12ihipStream_tbPNSt15iterator_traitsISD_E10value_typeEPNSJ_ISE_E10value_typeEPSF_NS1_7vsmem_tEENKUlT_SD_SE_SF_E_clIS7_S7_S8_S8_EESC_SS_SD_SE_SF_EUlSS_E_NS1_11comp_targetILNS1_3genE2ELNS1_11target_archE906ELNS1_3gpuE6ELNS1_3repE0EEENS1_48merge_mergepath_partition_config_static_selectorELNS0_4arch9wavefront6targetE1EEEvSE_,comdat
.Lfunc_end507:
	.size	_ZN7rocprim17ROCPRIM_400000_NS6detail17trampoline_kernelINS0_14default_configENS1_38merge_sort_block_merge_config_selectorIjyEEZZNS1_27merge_sort_block_merge_implIS3_PjPyjNS1_19radix_merge_compareILb0ELb1EjNS0_19identity_decomposerEEEEE10hipError_tT0_T1_T2_jT3_P12ihipStream_tbPNSt15iterator_traitsISD_E10value_typeEPNSJ_ISE_E10value_typeEPSF_NS1_7vsmem_tEENKUlT_SD_SE_SF_E_clIS7_S7_S8_S8_EESC_SS_SD_SE_SF_EUlSS_E_NS1_11comp_targetILNS1_3genE2ELNS1_11target_archE906ELNS1_3gpuE6ELNS1_3repE0EEENS1_48merge_mergepath_partition_config_static_selectorELNS0_4arch9wavefront6targetE1EEEvSE_, .Lfunc_end507-_ZN7rocprim17ROCPRIM_400000_NS6detail17trampoline_kernelINS0_14default_configENS1_38merge_sort_block_merge_config_selectorIjyEEZZNS1_27merge_sort_block_merge_implIS3_PjPyjNS1_19radix_merge_compareILb0ELb1EjNS0_19identity_decomposerEEEEE10hipError_tT0_T1_T2_jT3_P12ihipStream_tbPNSt15iterator_traitsISD_E10value_typeEPNSJ_ISE_E10value_typeEPSF_NS1_7vsmem_tEENKUlT_SD_SE_SF_E_clIS7_S7_S8_S8_EESC_SS_SD_SE_SF_EUlSS_E_NS1_11comp_targetILNS1_3genE2ELNS1_11target_archE906ELNS1_3gpuE6ELNS1_3repE0EEENS1_48merge_mergepath_partition_config_static_selectorELNS0_4arch9wavefront6targetE1EEEvSE_
                                        ; -- End function
	.section	.AMDGPU.csdata,"",@progbits
; Kernel info:
; codeLenInByte = 0
; NumSgprs: 4
; NumVgprs: 0
; NumAgprs: 0
; TotalNumVgprs: 0
; ScratchSize: 0
; MemoryBound: 0
; FloatMode: 240
; IeeeMode: 1
; LDSByteSize: 0 bytes/workgroup (compile time only)
; SGPRBlocks: 0
; VGPRBlocks: 0
; NumSGPRsForWavesPerEU: 4
; NumVGPRsForWavesPerEU: 1
; AccumOffset: 4
; Occupancy: 8
; WaveLimiterHint : 0
; COMPUTE_PGM_RSRC2:SCRATCH_EN: 0
; COMPUTE_PGM_RSRC2:USER_SGPR: 6
; COMPUTE_PGM_RSRC2:TRAP_HANDLER: 0
; COMPUTE_PGM_RSRC2:TGID_X_EN: 1
; COMPUTE_PGM_RSRC2:TGID_Y_EN: 0
; COMPUTE_PGM_RSRC2:TGID_Z_EN: 0
; COMPUTE_PGM_RSRC2:TIDIG_COMP_CNT: 0
; COMPUTE_PGM_RSRC3_GFX90A:ACCUM_OFFSET: 0
; COMPUTE_PGM_RSRC3_GFX90A:TG_SPLIT: 0
	.section	.text._ZN7rocprim17ROCPRIM_400000_NS6detail17trampoline_kernelINS0_14default_configENS1_38merge_sort_block_merge_config_selectorIjyEEZZNS1_27merge_sort_block_merge_implIS3_PjPyjNS1_19radix_merge_compareILb0ELb1EjNS0_19identity_decomposerEEEEE10hipError_tT0_T1_T2_jT3_P12ihipStream_tbPNSt15iterator_traitsISD_E10value_typeEPNSJ_ISE_E10value_typeEPSF_NS1_7vsmem_tEENKUlT_SD_SE_SF_E_clIS7_S7_S8_S8_EESC_SS_SD_SE_SF_EUlSS_E_NS1_11comp_targetILNS1_3genE9ELNS1_11target_archE1100ELNS1_3gpuE3ELNS1_3repE0EEENS1_48merge_mergepath_partition_config_static_selectorELNS0_4arch9wavefront6targetE1EEEvSE_,"axG",@progbits,_ZN7rocprim17ROCPRIM_400000_NS6detail17trampoline_kernelINS0_14default_configENS1_38merge_sort_block_merge_config_selectorIjyEEZZNS1_27merge_sort_block_merge_implIS3_PjPyjNS1_19radix_merge_compareILb0ELb1EjNS0_19identity_decomposerEEEEE10hipError_tT0_T1_T2_jT3_P12ihipStream_tbPNSt15iterator_traitsISD_E10value_typeEPNSJ_ISE_E10value_typeEPSF_NS1_7vsmem_tEENKUlT_SD_SE_SF_E_clIS7_S7_S8_S8_EESC_SS_SD_SE_SF_EUlSS_E_NS1_11comp_targetILNS1_3genE9ELNS1_11target_archE1100ELNS1_3gpuE3ELNS1_3repE0EEENS1_48merge_mergepath_partition_config_static_selectorELNS0_4arch9wavefront6targetE1EEEvSE_,comdat
	.protected	_ZN7rocprim17ROCPRIM_400000_NS6detail17trampoline_kernelINS0_14default_configENS1_38merge_sort_block_merge_config_selectorIjyEEZZNS1_27merge_sort_block_merge_implIS3_PjPyjNS1_19radix_merge_compareILb0ELb1EjNS0_19identity_decomposerEEEEE10hipError_tT0_T1_T2_jT3_P12ihipStream_tbPNSt15iterator_traitsISD_E10value_typeEPNSJ_ISE_E10value_typeEPSF_NS1_7vsmem_tEENKUlT_SD_SE_SF_E_clIS7_S7_S8_S8_EESC_SS_SD_SE_SF_EUlSS_E_NS1_11comp_targetILNS1_3genE9ELNS1_11target_archE1100ELNS1_3gpuE3ELNS1_3repE0EEENS1_48merge_mergepath_partition_config_static_selectorELNS0_4arch9wavefront6targetE1EEEvSE_ ; -- Begin function _ZN7rocprim17ROCPRIM_400000_NS6detail17trampoline_kernelINS0_14default_configENS1_38merge_sort_block_merge_config_selectorIjyEEZZNS1_27merge_sort_block_merge_implIS3_PjPyjNS1_19radix_merge_compareILb0ELb1EjNS0_19identity_decomposerEEEEE10hipError_tT0_T1_T2_jT3_P12ihipStream_tbPNSt15iterator_traitsISD_E10value_typeEPNSJ_ISE_E10value_typeEPSF_NS1_7vsmem_tEENKUlT_SD_SE_SF_E_clIS7_S7_S8_S8_EESC_SS_SD_SE_SF_EUlSS_E_NS1_11comp_targetILNS1_3genE9ELNS1_11target_archE1100ELNS1_3gpuE3ELNS1_3repE0EEENS1_48merge_mergepath_partition_config_static_selectorELNS0_4arch9wavefront6targetE1EEEvSE_
	.globl	_ZN7rocprim17ROCPRIM_400000_NS6detail17trampoline_kernelINS0_14default_configENS1_38merge_sort_block_merge_config_selectorIjyEEZZNS1_27merge_sort_block_merge_implIS3_PjPyjNS1_19radix_merge_compareILb0ELb1EjNS0_19identity_decomposerEEEEE10hipError_tT0_T1_T2_jT3_P12ihipStream_tbPNSt15iterator_traitsISD_E10value_typeEPNSJ_ISE_E10value_typeEPSF_NS1_7vsmem_tEENKUlT_SD_SE_SF_E_clIS7_S7_S8_S8_EESC_SS_SD_SE_SF_EUlSS_E_NS1_11comp_targetILNS1_3genE9ELNS1_11target_archE1100ELNS1_3gpuE3ELNS1_3repE0EEENS1_48merge_mergepath_partition_config_static_selectorELNS0_4arch9wavefront6targetE1EEEvSE_
	.p2align	8
	.type	_ZN7rocprim17ROCPRIM_400000_NS6detail17trampoline_kernelINS0_14default_configENS1_38merge_sort_block_merge_config_selectorIjyEEZZNS1_27merge_sort_block_merge_implIS3_PjPyjNS1_19radix_merge_compareILb0ELb1EjNS0_19identity_decomposerEEEEE10hipError_tT0_T1_T2_jT3_P12ihipStream_tbPNSt15iterator_traitsISD_E10value_typeEPNSJ_ISE_E10value_typeEPSF_NS1_7vsmem_tEENKUlT_SD_SE_SF_E_clIS7_S7_S8_S8_EESC_SS_SD_SE_SF_EUlSS_E_NS1_11comp_targetILNS1_3genE9ELNS1_11target_archE1100ELNS1_3gpuE3ELNS1_3repE0EEENS1_48merge_mergepath_partition_config_static_selectorELNS0_4arch9wavefront6targetE1EEEvSE_,@function
_ZN7rocprim17ROCPRIM_400000_NS6detail17trampoline_kernelINS0_14default_configENS1_38merge_sort_block_merge_config_selectorIjyEEZZNS1_27merge_sort_block_merge_implIS3_PjPyjNS1_19radix_merge_compareILb0ELb1EjNS0_19identity_decomposerEEEEE10hipError_tT0_T1_T2_jT3_P12ihipStream_tbPNSt15iterator_traitsISD_E10value_typeEPNSJ_ISE_E10value_typeEPSF_NS1_7vsmem_tEENKUlT_SD_SE_SF_E_clIS7_S7_S8_S8_EESC_SS_SD_SE_SF_EUlSS_E_NS1_11comp_targetILNS1_3genE9ELNS1_11target_archE1100ELNS1_3gpuE3ELNS1_3repE0EEENS1_48merge_mergepath_partition_config_static_selectorELNS0_4arch9wavefront6targetE1EEEvSE_: ; @_ZN7rocprim17ROCPRIM_400000_NS6detail17trampoline_kernelINS0_14default_configENS1_38merge_sort_block_merge_config_selectorIjyEEZZNS1_27merge_sort_block_merge_implIS3_PjPyjNS1_19radix_merge_compareILb0ELb1EjNS0_19identity_decomposerEEEEE10hipError_tT0_T1_T2_jT3_P12ihipStream_tbPNSt15iterator_traitsISD_E10value_typeEPNSJ_ISE_E10value_typeEPSF_NS1_7vsmem_tEENKUlT_SD_SE_SF_E_clIS7_S7_S8_S8_EESC_SS_SD_SE_SF_EUlSS_E_NS1_11comp_targetILNS1_3genE9ELNS1_11target_archE1100ELNS1_3gpuE3ELNS1_3repE0EEENS1_48merge_mergepath_partition_config_static_selectorELNS0_4arch9wavefront6targetE1EEEvSE_
; %bb.0:
	.section	.rodata,"a",@progbits
	.p2align	6, 0x0
	.amdhsa_kernel _ZN7rocprim17ROCPRIM_400000_NS6detail17trampoline_kernelINS0_14default_configENS1_38merge_sort_block_merge_config_selectorIjyEEZZNS1_27merge_sort_block_merge_implIS3_PjPyjNS1_19radix_merge_compareILb0ELb1EjNS0_19identity_decomposerEEEEE10hipError_tT0_T1_T2_jT3_P12ihipStream_tbPNSt15iterator_traitsISD_E10value_typeEPNSJ_ISE_E10value_typeEPSF_NS1_7vsmem_tEENKUlT_SD_SE_SF_E_clIS7_S7_S8_S8_EESC_SS_SD_SE_SF_EUlSS_E_NS1_11comp_targetILNS1_3genE9ELNS1_11target_archE1100ELNS1_3gpuE3ELNS1_3repE0EEENS1_48merge_mergepath_partition_config_static_selectorELNS0_4arch9wavefront6targetE1EEEvSE_
		.amdhsa_group_segment_fixed_size 0
		.amdhsa_private_segment_fixed_size 0
		.amdhsa_kernarg_size 40
		.amdhsa_user_sgpr_count 6
		.amdhsa_user_sgpr_private_segment_buffer 1
		.amdhsa_user_sgpr_dispatch_ptr 0
		.amdhsa_user_sgpr_queue_ptr 0
		.amdhsa_user_sgpr_kernarg_segment_ptr 1
		.amdhsa_user_sgpr_dispatch_id 0
		.amdhsa_user_sgpr_flat_scratch_init 0
		.amdhsa_user_sgpr_kernarg_preload_length 0
		.amdhsa_user_sgpr_kernarg_preload_offset 0
		.amdhsa_user_sgpr_private_segment_size 0
		.amdhsa_uses_dynamic_stack 0
		.amdhsa_system_sgpr_private_segment_wavefront_offset 0
		.amdhsa_system_sgpr_workgroup_id_x 1
		.amdhsa_system_sgpr_workgroup_id_y 0
		.amdhsa_system_sgpr_workgroup_id_z 0
		.amdhsa_system_sgpr_workgroup_info 0
		.amdhsa_system_vgpr_workitem_id 0
		.amdhsa_next_free_vgpr 1
		.amdhsa_next_free_sgpr 0
		.amdhsa_accum_offset 4
		.amdhsa_reserve_vcc 0
		.amdhsa_reserve_flat_scratch 0
		.amdhsa_float_round_mode_32 0
		.amdhsa_float_round_mode_16_64 0
		.amdhsa_float_denorm_mode_32 3
		.amdhsa_float_denorm_mode_16_64 3
		.amdhsa_dx10_clamp 1
		.amdhsa_ieee_mode 1
		.amdhsa_fp16_overflow 0
		.amdhsa_tg_split 0
		.amdhsa_exception_fp_ieee_invalid_op 0
		.amdhsa_exception_fp_denorm_src 0
		.amdhsa_exception_fp_ieee_div_zero 0
		.amdhsa_exception_fp_ieee_overflow 0
		.amdhsa_exception_fp_ieee_underflow 0
		.amdhsa_exception_fp_ieee_inexact 0
		.amdhsa_exception_int_div_zero 0
	.end_amdhsa_kernel
	.section	.text._ZN7rocprim17ROCPRIM_400000_NS6detail17trampoline_kernelINS0_14default_configENS1_38merge_sort_block_merge_config_selectorIjyEEZZNS1_27merge_sort_block_merge_implIS3_PjPyjNS1_19radix_merge_compareILb0ELb1EjNS0_19identity_decomposerEEEEE10hipError_tT0_T1_T2_jT3_P12ihipStream_tbPNSt15iterator_traitsISD_E10value_typeEPNSJ_ISE_E10value_typeEPSF_NS1_7vsmem_tEENKUlT_SD_SE_SF_E_clIS7_S7_S8_S8_EESC_SS_SD_SE_SF_EUlSS_E_NS1_11comp_targetILNS1_3genE9ELNS1_11target_archE1100ELNS1_3gpuE3ELNS1_3repE0EEENS1_48merge_mergepath_partition_config_static_selectorELNS0_4arch9wavefront6targetE1EEEvSE_,"axG",@progbits,_ZN7rocprim17ROCPRIM_400000_NS6detail17trampoline_kernelINS0_14default_configENS1_38merge_sort_block_merge_config_selectorIjyEEZZNS1_27merge_sort_block_merge_implIS3_PjPyjNS1_19radix_merge_compareILb0ELb1EjNS0_19identity_decomposerEEEEE10hipError_tT0_T1_T2_jT3_P12ihipStream_tbPNSt15iterator_traitsISD_E10value_typeEPNSJ_ISE_E10value_typeEPSF_NS1_7vsmem_tEENKUlT_SD_SE_SF_E_clIS7_S7_S8_S8_EESC_SS_SD_SE_SF_EUlSS_E_NS1_11comp_targetILNS1_3genE9ELNS1_11target_archE1100ELNS1_3gpuE3ELNS1_3repE0EEENS1_48merge_mergepath_partition_config_static_selectorELNS0_4arch9wavefront6targetE1EEEvSE_,comdat
.Lfunc_end508:
	.size	_ZN7rocprim17ROCPRIM_400000_NS6detail17trampoline_kernelINS0_14default_configENS1_38merge_sort_block_merge_config_selectorIjyEEZZNS1_27merge_sort_block_merge_implIS3_PjPyjNS1_19radix_merge_compareILb0ELb1EjNS0_19identity_decomposerEEEEE10hipError_tT0_T1_T2_jT3_P12ihipStream_tbPNSt15iterator_traitsISD_E10value_typeEPNSJ_ISE_E10value_typeEPSF_NS1_7vsmem_tEENKUlT_SD_SE_SF_E_clIS7_S7_S8_S8_EESC_SS_SD_SE_SF_EUlSS_E_NS1_11comp_targetILNS1_3genE9ELNS1_11target_archE1100ELNS1_3gpuE3ELNS1_3repE0EEENS1_48merge_mergepath_partition_config_static_selectorELNS0_4arch9wavefront6targetE1EEEvSE_, .Lfunc_end508-_ZN7rocprim17ROCPRIM_400000_NS6detail17trampoline_kernelINS0_14default_configENS1_38merge_sort_block_merge_config_selectorIjyEEZZNS1_27merge_sort_block_merge_implIS3_PjPyjNS1_19radix_merge_compareILb0ELb1EjNS0_19identity_decomposerEEEEE10hipError_tT0_T1_T2_jT3_P12ihipStream_tbPNSt15iterator_traitsISD_E10value_typeEPNSJ_ISE_E10value_typeEPSF_NS1_7vsmem_tEENKUlT_SD_SE_SF_E_clIS7_S7_S8_S8_EESC_SS_SD_SE_SF_EUlSS_E_NS1_11comp_targetILNS1_3genE9ELNS1_11target_archE1100ELNS1_3gpuE3ELNS1_3repE0EEENS1_48merge_mergepath_partition_config_static_selectorELNS0_4arch9wavefront6targetE1EEEvSE_
                                        ; -- End function
	.section	.AMDGPU.csdata,"",@progbits
; Kernel info:
; codeLenInByte = 0
; NumSgprs: 4
; NumVgprs: 0
; NumAgprs: 0
; TotalNumVgprs: 0
; ScratchSize: 0
; MemoryBound: 0
; FloatMode: 240
; IeeeMode: 1
; LDSByteSize: 0 bytes/workgroup (compile time only)
; SGPRBlocks: 0
; VGPRBlocks: 0
; NumSGPRsForWavesPerEU: 4
; NumVGPRsForWavesPerEU: 1
; AccumOffset: 4
; Occupancy: 8
; WaveLimiterHint : 0
; COMPUTE_PGM_RSRC2:SCRATCH_EN: 0
; COMPUTE_PGM_RSRC2:USER_SGPR: 6
; COMPUTE_PGM_RSRC2:TRAP_HANDLER: 0
; COMPUTE_PGM_RSRC2:TGID_X_EN: 1
; COMPUTE_PGM_RSRC2:TGID_Y_EN: 0
; COMPUTE_PGM_RSRC2:TGID_Z_EN: 0
; COMPUTE_PGM_RSRC2:TIDIG_COMP_CNT: 0
; COMPUTE_PGM_RSRC3_GFX90A:ACCUM_OFFSET: 0
; COMPUTE_PGM_RSRC3_GFX90A:TG_SPLIT: 0
	.section	.text._ZN7rocprim17ROCPRIM_400000_NS6detail17trampoline_kernelINS0_14default_configENS1_38merge_sort_block_merge_config_selectorIjyEEZZNS1_27merge_sort_block_merge_implIS3_PjPyjNS1_19radix_merge_compareILb0ELb1EjNS0_19identity_decomposerEEEEE10hipError_tT0_T1_T2_jT3_P12ihipStream_tbPNSt15iterator_traitsISD_E10value_typeEPNSJ_ISE_E10value_typeEPSF_NS1_7vsmem_tEENKUlT_SD_SE_SF_E_clIS7_S7_S8_S8_EESC_SS_SD_SE_SF_EUlSS_E_NS1_11comp_targetILNS1_3genE8ELNS1_11target_archE1030ELNS1_3gpuE2ELNS1_3repE0EEENS1_48merge_mergepath_partition_config_static_selectorELNS0_4arch9wavefront6targetE1EEEvSE_,"axG",@progbits,_ZN7rocprim17ROCPRIM_400000_NS6detail17trampoline_kernelINS0_14default_configENS1_38merge_sort_block_merge_config_selectorIjyEEZZNS1_27merge_sort_block_merge_implIS3_PjPyjNS1_19radix_merge_compareILb0ELb1EjNS0_19identity_decomposerEEEEE10hipError_tT0_T1_T2_jT3_P12ihipStream_tbPNSt15iterator_traitsISD_E10value_typeEPNSJ_ISE_E10value_typeEPSF_NS1_7vsmem_tEENKUlT_SD_SE_SF_E_clIS7_S7_S8_S8_EESC_SS_SD_SE_SF_EUlSS_E_NS1_11comp_targetILNS1_3genE8ELNS1_11target_archE1030ELNS1_3gpuE2ELNS1_3repE0EEENS1_48merge_mergepath_partition_config_static_selectorELNS0_4arch9wavefront6targetE1EEEvSE_,comdat
	.protected	_ZN7rocprim17ROCPRIM_400000_NS6detail17trampoline_kernelINS0_14default_configENS1_38merge_sort_block_merge_config_selectorIjyEEZZNS1_27merge_sort_block_merge_implIS3_PjPyjNS1_19radix_merge_compareILb0ELb1EjNS0_19identity_decomposerEEEEE10hipError_tT0_T1_T2_jT3_P12ihipStream_tbPNSt15iterator_traitsISD_E10value_typeEPNSJ_ISE_E10value_typeEPSF_NS1_7vsmem_tEENKUlT_SD_SE_SF_E_clIS7_S7_S8_S8_EESC_SS_SD_SE_SF_EUlSS_E_NS1_11comp_targetILNS1_3genE8ELNS1_11target_archE1030ELNS1_3gpuE2ELNS1_3repE0EEENS1_48merge_mergepath_partition_config_static_selectorELNS0_4arch9wavefront6targetE1EEEvSE_ ; -- Begin function _ZN7rocprim17ROCPRIM_400000_NS6detail17trampoline_kernelINS0_14default_configENS1_38merge_sort_block_merge_config_selectorIjyEEZZNS1_27merge_sort_block_merge_implIS3_PjPyjNS1_19radix_merge_compareILb0ELb1EjNS0_19identity_decomposerEEEEE10hipError_tT0_T1_T2_jT3_P12ihipStream_tbPNSt15iterator_traitsISD_E10value_typeEPNSJ_ISE_E10value_typeEPSF_NS1_7vsmem_tEENKUlT_SD_SE_SF_E_clIS7_S7_S8_S8_EESC_SS_SD_SE_SF_EUlSS_E_NS1_11comp_targetILNS1_3genE8ELNS1_11target_archE1030ELNS1_3gpuE2ELNS1_3repE0EEENS1_48merge_mergepath_partition_config_static_selectorELNS0_4arch9wavefront6targetE1EEEvSE_
	.globl	_ZN7rocprim17ROCPRIM_400000_NS6detail17trampoline_kernelINS0_14default_configENS1_38merge_sort_block_merge_config_selectorIjyEEZZNS1_27merge_sort_block_merge_implIS3_PjPyjNS1_19radix_merge_compareILb0ELb1EjNS0_19identity_decomposerEEEEE10hipError_tT0_T1_T2_jT3_P12ihipStream_tbPNSt15iterator_traitsISD_E10value_typeEPNSJ_ISE_E10value_typeEPSF_NS1_7vsmem_tEENKUlT_SD_SE_SF_E_clIS7_S7_S8_S8_EESC_SS_SD_SE_SF_EUlSS_E_NS1_11comp_targetILNS1_3genE8ELNS1_11target_archE1030ELNS1_3gpuE2ELNS1_3repE0EEENS1_48merge_mergepath_partition_config_static_selectorELNS0_4arch9wavefront6targetE1EEEvSE_
	.p2align	8
	.type	_ZN7rocprim17ROCPRIM_400000_NS6detail17trampoline_kernelINS0_14default_configENS1_38merge_sort_block_merge_config_selectorIjyEEZZNS1_27merge_sort_block_merge_implIS3_PjPyjNS1_19radix_merge_compareILb0ELb1EjNS0_19identity_decomposerEEEEE10hipError_tT0_T1_T2_jT3_P12ihipStream_tbPNSt15iterator_traitsISD_E10value_typeEPNSJ_ISE_E10value_typeEPSF_NS1_7vsmem_tEENKUlT_SD_SE_SF_E_clIS7_S7_S8_S8_EESC_SS_SD_SE_SF_EUlSS_E_NS1_11comp_targetILNS1_3genE8ELNS1_11target_archE1030ELNS1_3gpuE2ELNS1_3repE0EEENS1_48merge_mergepath_partition_config_static_selectorELNS0_4arch9wavefront6targetE1EEEvSE_,@function
_ZN7rocprim17ROCPRIM_400000_NS6detail17trampoline_kernelINS0_14default_configENS1_38merge_sort_block_merge_config_selectorIjyEEZZNS1_27merge_sort_block_merge_implIS3_PjPyjNS1_19radix_merge_compareILb0ELb1EjNS0_19identity_decomposerEEEEE10hipError_tT0_T1_T2_jT3_P12ihipStream_tbPNSt15iterator_traitsISD_E10value_typeEPNSJ_ISE_E10value_typeEPSF_NS1_7vsmem_tEENKUlT_SD_SE_SF_E_clIS7_S7_S8_S8_EESC_SS_SD_SE_SF_EUlSS_E_NS1_11comp_targetILNS1_3genE8ELNS1_11target_archE1030ELNS1_3gpuE2ELNS1_3repE0EEENS1_48merge_mergepath_partition_config_static_selectorELNS0_4arch9wavefront6targetE1EEEvSE_: ; @_ZN7rocprim17ROCPRIM_400000_NS6detail17trampoline_kernelINS0_14default_configENS1_38merge_sort_block_merge_config_selectorIjyEEZZNS1_27merge_sort_block_merge_implIS3_PjPyjNS1_19radix_merge_compareILb0ELb1EjNS0_19identity_decomposerEEEEE10hipError_tT0_T1_T2_jT3_P12ihipStream_tbPNSt15iterator_traitsISD_E10value_typeEPNSJ_ISE_E10value_typeEPSF_NS1_7vsmem_tEENKUlT_SD_SE_SF_E_clIS7_S7_S8_S8_EESC_SS_SD_SE_SF_EUlSS_E_NS1_11comp_targetILNS1_3genE8ELNS1_11target_archE1030ELNS1_3gpuE2ELNS1_3repE0EEENS1_48merge_mergepath_partition_config_static_selectorELNS0_4arch9wavefront6targetE1EEEvSE_
; %bb.0:
	.section	.rodata,"a",@progbits
	.p2align	6, 0x0
	.amdhsa_kernel _ZN7rocprim17ROCPRIM_400000_NS6detail17trampoline_kernelINS0_14default_configENS1_38merge_sort_block_merge_config_selectorIjyEEZZNS1_27merge_sort_block_merge_implIS3_PjPyjNS1_19radix_merge_compareILb0ELb1EjNS0_19identity_decomposerEEEEE10hipError_tT0_T1_T2_jT3_P12ihipStream_tbPNSt15iterator_traitsISD_E10value_typeEPNSJ_ISE_E10value_typeEPSF_NS1_7vsmem_tEENKUlT_SD_SE_SF_E_clIS7_S7_S8_S8_EESC_SS_SD_SE_SF_EUlSS_E_NS1_11comp_targetILNS1_3genE8ELNS1_11target_archE1030ELNS1_3gpuE2ELNS1_3repE0EEENS1_48merge_mergepath_partition_config_static_selectorELNS0_4arch9wavefront6targetE1EEEvSE_
		.amdhsa_group_segment_fixed_size 0
		.amdhsa_private_segment_fixed_size 0
		.amdhsa_kernarg_size 40
		.amdhsa_user_sgpr_count 6
		.amdhsa_user_sgpr_private_segment_buffer 1
		.amdhsa_user_sgpr_dispatch_ptr 0
		.amdhsa_user_sgpr_queue_ptr 0
		.amdhsa_user_sgpr_kernarg_segment_ptr 1
		.amdhsa_user_sgpr_dispatch_id 0
		.amdhsa_user_sgpr_flat_scratch_init 0
		.amdhsa_user_sgpr_kernarg_preload_length 0
		.amdhsa_user_sgpr_kernarg_preload_offset 0
		.amdhsa_user_sgpr_private_segment_size 0
		.amdhsa_uses_dynamic_stack 0
		.amdhsa_system_sgpr_private_segment_wavefront_offset 0
		.amdhsa_system_sgpr_workgroup_id_x 1
		.amdhsa_system_sgpr_workgroup_id_y 0
		.amdhsa_system_sgpr_workgroup_id_z 0
		.amdhsa_system_sgpr_workgroup_info 0
		.amdhsa_system_vgpr_workitem_id 0
		.amdhsa_next_free_vgpr 1
		.amdhsa_next_free_sgpr 0
		.amdhsa_accum_offset 4
		.amdhsa_reserve_vcc 0
		.amdhsa_reserve_flat_scratch 0
		.amdhsa_float_round_mode_32 0
		.amdhsa_float_round_mode_16_64 0
		.amdhsa_float_denorm_mode_32 3
		.amdhsa_float_denorm_mode_16_64 3
		.amdhsa_dx10_clamp 1
		.amdhsa_ieee_mode 1
		.amdhsa_fp16_overflow 0
		.amdhsa_tg_split 0
		.amdhsa_exception_fp_ieee_invalid_op 0
		.amdhsa_exception_fp_denorm_src 0
		.amdhsa_exception_fp_ieee_div_zero 0
		.amdhsa_exception_fp_ieee_overflow 0
		.amdhsa_exception_fp_ieee_underflow 0
		.amdhsa_exception_fp_ieee_inexact 0
		.amdhsa_exception_int_div_zero 0
	.end_amdhsa_kernel
	.section	.text._ZN7rocprim17ROCPRIM_400000_NS6detail17trampoline_kernelINS0_14default_configENS1_38merge_sort_block_merge_config_selectorIjyEEZZNS1_27merge_sort_block_merge_implIS3_PjPyjNS1_19radix_merge_compareILb0ELb1EjNS0_19identity_decomposerEEEEE10hipError_tT0_T1_T2_jT3_P12ihipStream_tbPNSt15iterator_traitsISD_E10value_typeEPNSJ_ISE_E10value_typeEPSF_NS1_7vsmem_tEENKUlT_SD_SE_SF_E_clIS7_S7_S8_S8_EESC_SS_SD_SE_SF_EUlSS_E_NS1_11comp_targetILNS1_3genE8ELNS1_11target_archE1030ELNS1_3gpuE2ELNS1_3repE0EEENS1_48merge_mergepath_partition_config_static_selectorELNS0_4arch9wavefront6targetE1EEEvSE_,"axG",@progbits,_ZN7rocprim17ROCPRIM_400000_NS6detail17trampoline_kernelINS0_14default_configENS1_38merge_sort_block_merge_config_selectorIjyEEZZNS1_27merge_sort_block_merge_implIS3_PjPyjNS1_19radix_merge_compareILb0ELb1EjNS0_19identity_decomposerEEEEE10hipError_tT0_T1_T2_jT3_P12ihipStream_tbPNSt15iterator_traitsISD_E10value_typeEPNSJ_ISE_E10value_typeEPSF_NS1_7vsmem_tEENKUlT_SD_SE_SF_E_clIS7_S7_S8_S8_EESC_SS_SD_SE_SF_EUlSS_E_NS1_11comp_targetILNS1_3genE8ELNS1_11target_archE1030ELNS1_3gpuE2ELNS1_3repE0EEENS1_48merge_mergepath_partition_config_static_selectorELNS0_4arch9wavefront6targetE1EEEvSE_,comdat
.Lfunc_end509:
	.size	_ZN7rocprim17ROCPRIM_400000_NS6detail17trampoline_kernelINS0_14default_configENS1_38merge_sort_block_merge_config_selectorIjyEEZZNS1_27merge_sort_block_merge_implIS3_PjPyjNS1_19radix_merge_compareILb0ELb1EjNS0_19identity_decomposerEEEEE10hipError_tT0_T1_T2_jT3_P12ihipStream_tbPNSt15iterator_traitsISD_E10value_typeEPNSJ_ISE_E10value_typeEPSF_NS1_7vsmem_tEENKUlT_SD_SE_SF_E_clIS7_S7_S8_S8_EESC_SS_SD_SE_SF_EUlSS_E_NS1_11comp_targetILNS1_3genE8ELNS1_11target_archE1030ELNS1_3gpuE2ELNS1_3repE0EEENS1_48merge_mergepath_partition_config_static_selectorELNS0_4arch9wavefront6targetE1EEEvSE_, .Lfunc_end509-_ZN7rocprim17ROCPRIM_400000_NS6detail17trampoline_kernelINS0_14default_configENS1_38merge_sort_block_merge_config_selectorIjyEEZZNS1_27merge_sort_block_merge_implIS3_PjPyjNS1_19radix_merge_compareILb0ELb1EjNS0_19identity_decomposerEEEEE10hipError_tT0_T1_T2_jT3_P12ihipStream_tbPNSt15iterator_traitsISD_E10value_typeEPNSJ_ISE_E10value_typeEPSF_NS1_7vsmem_tEENKUlT_SD_SE_SF_E_clIS7_S7_S8_S8_EESC_SS_SD_SE_SF_EUlSS_E_NS1_11comp_targetILNS1_3genE8ELNS1_11target_archE1030ELNS1_3gpuE2ELNS1_3repE0EEENS1_48merge_mergepath_partition_config_static_selectorELNS0_4arch9wavefront6targetE1EEEvSE_
                                        ; -- End function
	.section	.AMDGPU.csdata,"",@progbits
; Kernel info:
; codeLenInByte = 0
; NumSgprs: 4
; NumVgprs: 0
; NumAgprs: 0
; TotalNumVgprs: 0
; ScratchSize: 0
; MemoryBound: 0
; FloatMode: 240
; IeeeMode: 1
; LDSByteSize: 0 bytes/workgroup (compile time only)
; SGPRBlocks: 0
; VGPRBlocks: 0
; NumSGPRsForWavesPerEU: 4
; NumVGPRsForWavesPerEU: 1
; AccumOffset: 4
; Occupancy: 8
; WaveLimiterHint : 0
; COMPUTE_PGM_RSRC2:SCRATCH_EN: 0
; COMPUTE_PGM_RSRC2:USER_SGPR: 6
; COMPUTE_PGM_RSRC2:TRAP_HANDLER: 0
; COMPUTE_PGM_RSRC2:TGID_X_EN: 1
; COMPUTE_PGM_RSRC2:TGID_Y_EN: 0
; COMPUTE_PGM_RSRC2:TGID_Z_EN: 0
; COMPUTE_PGM_RSRC2:TIDIG_COMP_CNT: 0
; COMPUTE_PGM_RSRC3_GFX90A:ACCUM_OFFSET: 0
; COMPUTE_PGM_RSRC3_GFX90A:TG_SPLIT: 0
	.section	.text._ZN7rocprim17ROCPRIM_400000_NS6detail17trampoline_kernelINS0_14default_configENS1_38merge_sort_block_merge_config_selectorIjyEEZZNS1_27merge_sort_block_merge_implIS3_PjPyjNS1_19radix_merge_compareILb0ELb1EjNS0_19identity_decomposerEEEEE10hipError_tT0_T1_T2_jT3_P12ihipStream_tbPNSt15iterator_traitsISD_E10value_typeEPNSJ_ISE_E10value_typeEPSF_NS1_7vsmem_tEENKUlT_SD_SE_SF_E_clIS7_S7_S8_S8_EESC_SS_SD_SE_SF_EUlSS_E0_NS1_11comp_targetILNS1_3genE0ELNS1_11target_archE4294967295ELNS1_3gpuE0ELNS1_3repE0EEENS1_38merge_mergepath_config_static_selectorELNS0_4arch9wavefront6targetE1EEEvSE_,"axG",@progbits,_ZN7rocprim17ROCPRIM_400000_NS6detail17trampoline_kernelINS0_14default_configENS1_38merge_sort_block_merge_config_selectorIjyEEZZNS1_27merge_sort_block_merge_implIS3_PjPyjNS1_19radix_merge_compareILb0ELb1EjNS0_19identity_decomposerEEEEE10hipError_tT0_T1_T2_jT3_P12ihipStream_tbPNSt15iterator_traitsISD_E10value_typeEPNSJ_ISE_E10value_typeEPSF_NS1_7vsmem_tEENKUlT_SD_SE_SF_E_clIS7_S7_S8_S8_EESC_SS_SD_SE_SF_EUlSS_E0_NS1_11comp_targetILNS1_3genE0ELNS1_11target_archE4294967295ELNS1_3gpuE0ELNS1_3repE0EEENS1_38merge_mergepath_config_static_selectorELNS0_4arch9wavefront6targetE1EEEvSE_,comdat
	.protected	_ZN7rocprim17ROCPRIM_400000_NS6detail17trampoline_kernelINS0_14default_configENS1_38merge_sort_block_merge_config_selectorIjyEEZZNS1_27merge_sort_block_merge_implIS3_PjPyjNS1_19radix_merge_compareILb0ELb1EjNS0_19identity_decomposerEEEEE10hipError_tT0_T1_T2_jT3_P12ihipStream_tbPNSt15iterator_traitsISD_E10value_typeEPNSJ_ISE_E10value_typeEPSF_NS1_7vsmem_tEENKUlT_SD_SE_SF_E_clIS7_S7_S8_S8_EESC_SS_SD_SE_SF_EUlSS_E0_NS1_11comp_targetILNS1_3genE0ELNS1_11target_archE4294967295ELNS1_3gpuE0ELNS1_3repE0EEENS1_38merge_mergepath_config_static_selectorELNS0_4arch9wavefront6targetE1EEEvSE_ ; -- Begin function _ZN7rocprim17ROCPRIM_400000_NS6detail17trampoline_kernelINS0_14default_configENS1_38merge_sort_block_merge_config_selectorIjyEEZZNS1_27merge_sort_block_merge_implIS3_PjPyjNS1_19radix_merge_compareILb0ELb1EjNS0_19identity_decomposerEEEEE10hipError_tT0_T1_T2_jT3_P12ihipStream_tbPNSt15iterator_traitsISD_E10value_typeEPNSJ_ISE_E10value_typeEPSF_NS1_7vsmem_tEENKUlT_SD_SE_SF_E_clIS7_S7_S8_S8_EESC_SS_SD_SE_SF_EUlSS_E0_NS1_11comp_targetILNS1_3genE0ELNS1_11target_archE4294967295ELNS1_3gpuE0ELNS1_3repE0EEENS1_38merge_mergepath_config_static_selectorELNS0_4arch9wavefront6targetE1EEEvSE_
	.globl	_ZN7rocprim17ROCPRIM_400000_NS6detail17trampoline_kernelINS0_14default_configENS1_38merge_sort_block_merge_config_selectorIjyEEZZNS1_27merge_sort_block_merge_implIS3_PjPyjNS1_19radix_merge_compareILb0ELb1EjNS0_19identity_decomposerEEEEE10hipError_tT0_T1_T2_jT3_P12ihipStream_tbPNSt15iterator_traitsISD_E10value_typeEPNSJ_ISE_E10value_typeEPSF_NS1_7vsmem_tEENKUlT_SD_SE_SF_E_clIS7_S7_S8_S8_EESC_SS_SD_SE_SF_EUlSS_E0_NS1_11comp_targetILNS1_3genE0ELNS1_11target_archE4294967295ELNS1_3gpuE0ELNS1_3repE0EEENS1_38merge_mergepath_config_static_selectorELNS0_4arch9wavefront6targetE1EEEvSE_
	.p2align	8
	.type	_ZN7rocprim17ROCPRIM_400000_NS6detail17trampoline_kernelINS0_14default_configENS1_38merge_sort_block_merge_config_selectorIjyEEZZNS1_27merge_sort_block_merge_implIS3_PjPyjNS1_19radix_merge_compareILb0ELb1EjNS0_19identity_decomposerEEEEE10hipError_tT0_T1_T2_jT3_P12ihipStream_tbPNSt15iterator_traitsISD_E10value_typeEPNSJ_ISE_E10value_typeEPSF_NS1_7vsmem_tEENKUlT_SD_SE_SF_E_clIS7_S7_S8_S8_EESC_SS_SD_SE_SF_EUlSS_E0_NS1_11comp_targetILNS1_3genE0ELNS1_11target_archE4294967295ELNS1_3gpuE0ELNS1_3repE0EEENS1_38merge_mergepath_config_static_selectorELNS0_4arch9wavefront6targetE1EEEvSE_,@function
_ZN7rocprim17ROCPRIM_400000_NS6detail17trampoline_kernelINS0_14default_configENS1_38merge_sort_block_merge_config_selectorIjyEEZZNS1_27merge_sort_block_merge_implIS3_PjPyjNS1_19radix_merge_compareILb0ELb1EjNS0_19identity_decomposerEEEEE10hipError_tT0_T1_T2_jT3_P12ihipStream_tbPNSt15iterator_traitsISD_E10value_typeEPNSJ_ISE_E10value_typeEPSF_NS1_7vsmem_tEENKUlT_SD_SE_SF_E_clIS7_S7_S8_S8_EESC_SS_SD_SE_SF_EUlSS_E0_NS1_11comp_targetILNS1_3genE0ELNS1_11target_archE4294967295ELNS1_3gpuE0ELNS1_3repE0EEENS1_38merge_mergepath_config_static_selectorELNS0_4arch9wavefront6targetE1EEEvSE_: ; @_ZN7rocprim17ROCPRIM_400000_NS6detail17trampoline_kernelINS0_14default_configENS1_38merge_sort_block_merge_config_selectorIjyEEZZNS1_27merge_sort_block_merge_implIS3_PjPyjNS1_19radix_merge_compareILb0ELb1EjNS0_19identity_decomposerEEEEE10hipError_tT0_T1_T2_jT3_P12ihipStream_tbPNSt15iterator_traitsISD_E10value_typeEPNSJ_ISE_E10value_typeEPSF_NS1_7vsmem_tEENKUlT_SD_SE_SF_E_clIS7_S7_S8_S8_EESC_SS_SD_SE_SF_EUlSS_E0_NS1_11comp_targetILNS1_3genE0ELNS1_11target_archE4294967295ELNS1_3gpuE0ELNS1_3repE0EEENS1_38merge_mergepath_config_static_selectorELNS0_4arch9wavefront6targetE1EEEvSE_
; %bb.0:
	.section	.rodata,"a",@progbits
	.p2align	6, 0x0
	.amdhsa_kernel _ZN7rocprim17ROCPRIM_400000_NS6detail17trampoline_kernelINS0_14default_configENS1_38merge_sort_block_merge_config_selectorIjyEEZZNS1_27merge_sort_block_merge_implIS3_PjPyjNS1_19radix_merge_compareILb0ELb1EjNS0_19identity_decomposerEEEEE10hipError_tT0_T1_T2_jT3_P12ihipStream_tbPNSt15iterator_traitsISD_E10value_typeEPNSJ_ISE_E10value_typeEPSF_NS1_7vsmem_tEENKUlT_SD_SE_SF_E_clIS7_S7_S8_S8_EESC_SS_SD_SE_SF_EUlSS_E0_NS1_11comp_targetILNS1_3genE0ELNS1_11target_archE4294967295ELNS1_3gpuE0ELNS1_3repE0EEENS1_38merge_mergepath_config_static_selectorELNS0_4arch9wavefront6targetE1EEEvSE_
		.amdhsa_group_segment_fixed_size 0
		.amdhsa_private_segment_fixed_size 0
		.amdhsa_kernarg_size 64
		.amdhsa_user_sgpr_count 6
		.amdhsa_user_sgpr_private_segment_buffer 1
		.amdhsa_user_sgpr_dispatch_ptr 0
		.amdhsa_user_sgpr_queue_ptr 0
		.amdhsa_user_sgpr_kernarg_segment_ptr 1
		.amdhsa_user_sgpr_dispatch_id 0
		.amdhsa_user_sgpr_flat_scratch_init 0
		.amdhsa_user_sgpr_kernarg_preload_length 0
		.amdhsa_user_sgpr_kernarg_preload_offset 0
		.amdhsa_user_sgpr_private_segment_size 0
		.amdhsa_uses_dynamic_stack 0
		.amdhsa_system_sgpr_private_segment_wavefront_offset 0
		.amdhsa_system_sgpr_workgroup_id_x 1
		.amdhsa_system_sgpr_workgroup_id_y 0
		.amdhsa_system_sgpr_workgroup_id_z 0
		.amdhsa_system_sgpr_workgroup_info 0
		.amdhsa_system_vgpr_workitem_id 0
		.amdhsa_next_free_vgpr 1
		.amdhsa_next_free_sgpr 0
		.amdhsa_accum_offset 4
		.amdhsa_reserve_vcc 0
		.amdhsa_reserve_flat_scratch 0
		.amdhsa_float_round_mode_32 0
		.amdhsa_float_round_mode_16_64 0
		.amdhsa_float_denorm_mode_32 3
		.amdhsa_float_denorm_mode_16_64 3
		.amdhsa_dx10_clamp 1
		.amdhsa_ieee_mode 1
		.amdhsa_fp16_overflow 0
		.amdhsa_tg_split 0
		.amdhsa_exception_fp_ieee_invalid_op 0
		.amdhsa_exception_fp_denorm_src 0
		.amdhsa_exception_fp_ieee_div_zero 0
		.amdhsa_exception_fp_ieee_overflow 0
		.amdhsa_exception_fp_ieee_underflow 0
		.amdhsa_exception_fp_ieee_inexact 0
		.amdhsa_exception_int_div_zero 0
	.end_amdhsa_kernel
	.section	.text._ZN7rocprim17ROCPRIM_400000_NS6detail17trampoline_kernelINS0_14default_configENS1_38merge_sort_block_merge_config_selectorIjyEEZZNS1_27merge_sort_block_merge_implIS3_PjPyjNS1_19radix_merge_compareILb0ELb1EjNS0_19identity_decomposerEEEEE10hipError_tT0_T1_T2_jT3_P12ihipStream_tbPNSt15iterator_traitsISD_E10value_typeEPNSJ_ISE_E10value_typeEPSF_NS1_7vsmem_tEENKUlT_SD_SE_SF_E_clIS7_S7_S8_S8_EESC_SS_SD_SE_SF_EUlSS_E0_NS1_11comp_targetILNS1_3genE0ELNS1_11target_archE4294967295ELNS1_3gpuE0ELNS1_3repE0EEENS1_38merge_mergepath_config_static_selectorELNS0_4arch9wavefront6targetE1EEEvSE_,"axG",@progbits,_ZN7rocprim17ROCPRIM_400000_NS6detail17trampoline_kernelINS0_14default_configENS1_38merge_sort_block_merge_config_selectorIjyEEZZNS1_27merge_sort_block_merge_implIS3_PjPyjNS1_19radix_merge_compareILb0ELb1EjNS0_19identity_decomposerEEEEE10hipError_tT0_T1_T2_jT3_P12ihipStream_tbPNSt15iterator_traitsISD_E10value_typeEPNSJ_ISE_E10value_typeEPSF_NS1_7vsmem_tEENKUlT_SD_SE_SF_E_clIS7_S7_S8_S8_EESC_SS_SD_SE_SF_EUlSS_E0_NS1_11comp_targetILNS1_3genE0ELNS1_11target_archE4294967295ELNS1_3gpuE0ELNS1_3repE0EEENS1_38merge_mergepath_config_static_selectorELNS0_4arch9wavefront6targetE1EEEvSE_,comdat
.Lfunc_end510:
	.size	_ZN7rocprim17ROCPRIM_400000_NS6detail17trampoline_kernelINS0_14default_configENS1_38merge_sort_block_merge_config_selectorIjyEEZZNS1_27merge_sort_block_merge_implIS3_PjPyjNS1_19radix_merge_compareILb0ELb1EjNS0_19identity_decomposerEEEEE10hipError_tT0_T1_T2_jT3_P12ihipStream_tbPNSt15iterator_traitsISD_E10value_typeEPNSJ_ISE_E10value_typeEPSF_NS1_7vsmem_tEENKUlT_SD_SE_SF_E_clIS7_S7_S8_S8_EESC_SS_SD_SE_SF_EUlSS_E0_NS1_11comp_targetILNS1_3genE0ELNS1_11target_archE4294967295ELNS1_3gpuE0ELNS1_3repE0EEENS1_38merge_mergepath_config_static_selectorELNS0_4arch9wavefront6targetE1EEEvSE_, .Lfunc_end510-_ZN7rocprim17ROCPRIM_400000_NS6detail17trampoline_kernelINS0_14default_configENS1_38merge_sort_block_merge_config_selectorIjyEEZZNS1_27merge_sort_block_merge_implIS3_PjPyjNS1_19radix_merge_compareILb0ELb1EjNS0_19identity_decomposerEEEEE10hipError_tT0_T1_T2_jT3_P12ihipStream_tbPNSt15iterator_traitsISD_E10value_typeEPNSJ_ISE_E10value_typeEPSF_NS1_7vsmem_tEENKUlT_SD_SE_SF_E_clIS7_S7_S8_S8_EESC_SS_SD_SE_SF_EUlSS_E0_NS1_11comp_targetILNS1_3genE0ELNS1_11target_archE4294967295ELNS1_3gpuE0ELNS1_3repE0EEENS1_38merge_mergepath_config_static_selectorELNS0_4arch9wavefront6targetE1EEEvSE_
                                        ; -- End function
	.section	.AMDGPU.csdata,"",@progbits
; Kernel info:
; codeLenInByte = 0
; NumSgprs: 4
; NumVgprs: 0
; NumAgprs: 0
; TotalNumVgprs: 0
; ScratchSize: 0
; MemoryBound: 0
; FloatMode: 240
; IeeeMode: 1
; LDSByteSize: 0 bytes/workgroup (compile time only)
; SGPRBlocks: 0
; VGPRBlocks: 0
; NumSGPRsForWavesPerEU: 4
; NumVGPRsForWavesPerEU: 1
; AccumOffset: 4
; Occupancy: 8
; WaveLimiterHint : 0
; COMPUTE_PGM_RSRC2:SCRATCH_EN: 0
; COMPUTE_PGM_RSRC2:USER_SGPR: 6
; COMPUTE_PGM_RSRC2:TRAP_HANDLER: 0
; COMPUTE_PGM_RSRC2:TGID_X_EN: 1
; COMPUTE_PGM_RSRC2:TGID_Y_EN: 0
; COMPUTE_PGM_RSRC2:TGID_Z_EN: 0
; COMPUTE_PGM_RSRC2:TIDIG_COMP_CNT: 0
; COMPUTE_PGM_RSRC3_GFX90A:ACCUM_OFFSET: 0
; COMPUTE_PGM_RSRC3_GFX90A:TG_SPLIT: 0
	.section	.text._ZN7rocprim17ROCPRIM_400000_NS6detail17trampoline_kernelINS0_14default_configENS1_38merge_sort_block_merge_config_selectorIjyEEZZNS1_27merge_sort_block_merge_implIS3_PjPyjNS1_19radix_merge_compareILb0ELb1EjNS0_19identity_decomposerEEEEE10hipError_tT0_T1_T2_jT3_P12ihipStream_tbPNSt15iterator_traitsISD_E10value_typeEPNSJ_ISE_E10value_typeEPSF_NS1_7vsmem_tEENKUlT_SD_SE_SF_E_clIS7_S7_S8_S8_EESC_SS_SD_SE_SF_EUlSS_E0_NS1_11comp_targetILNS1_3genE10ELNS1_11target_archE1201ELNS1_3gpuE5ELNS1_3repE0EEENS1_38merge_mergepath_config_static_selectorELNS0_4arch9wavefront6targetE1EEEvSE_,"axG",@progbits,_ZN7rocprim17ROCPRIM_400000_NS6detail17trampoline_kernelINS0_14default_configENS1_38merge_sort_block_merge_config_selectorIjyEEZZNS1_27merge_sort_block_merge_implIS3_PjPyjNS1_19radix_merge_compareILb0ELb1EjNS0_19identity_decomposerEEEEE10hipError_tT0_T1_T2_jT3_P12ihipStream_tbPNSt15iterator_traitsISD_E10value_typeEPNSJ_ISE_E10value_typeEPSF_NS1_7vsmem_tEENKUlT_SD_SE_SF_E_clIS7_S7_S8_S8_EESC_SS_SD_SE_SF_EUlSS_E0_NS1_11comp_targetILNS1_3genE10ELNS1_11target_archE1201ELNS1_3gpuE5ELNS1_3repE0EEENS1_38merge_mergepath_config_static_selectorELNS0_4arch9wavefront6targetE1EEEvSE_,comdat
	.protected	_ZN7rocprim17ROCPRIM_400000_NS6detail17trampoline_kernelINS0_14default_configENS1_38merge_sort_block_merge_config_selectorIjyEEZZNS1_27merge_sort_block_merge_implIS3_PjPyjNS1_19radix_merge_compareILb0ELb1EjNS0_19identity_decomposerEEEEE10hipError_tT0_T1_T2_jT3_P12ihipStream_tbPNSt15iterator_traitsISD_E10value_typeEPNSJ_ISE_E10value_typeEPSF_NS1_7vsmem_tEENKUlT_SD_SE_SF_E_clIS7_S7_S8_S8_EESC_SS_SD_SE_SF_EUlSS_E0_NS1_11comp_targetILNS1_3genE10ELNS1_11target_archE1201ELNS1_3gpuE5ELNS1_3repE0EEENS1_38merge_mergepath_config_static_selectorELNS0_4arch9wavefront6targetE1EEEvSE_ ; -- Begin function _ZN7rocprim17ROCPRIM_400000_NS6detail17trampoline_kernelINS0_14default_configENS1_38merge_sort_block_merge_config_selectorIjyEEZZNS1_27merge_sort_block_merge_implIS3_PjPyjNS1_19radix_merge_compareILb0ELb1EjNS0_19identity_decomposerEEEEE10hipError_tT0_T1_T2_jT3_P12ihipStream_tbPNSt15iterator_traitsISD_E10value_typeEPNSJ_ISE_E10value_typeEPSF_NS1_7vsmem_tEENKUlT_SD_SE_SF_E_clIS7_S7_S8_S8_EESC_SS_SD_SE_SF_EUlSS_E0_NS1_11comp_targetILNS1_3genE10ELNS1_11target_archE1201ELNS1_3gpuE5ELNS1_3repE0EEENS1_38merge_mergepath_config_static_selectorELNS0_4arch9wavefront6targetE1EEEvSE_
	.globl	_ZN7rocprim17ROCPRIM_400000_NS6detail17trampoline_kernelINS0_14default_configENS1_38merge_sort_block_merge_config_selectorIjyEEZZNS1_27merge_sort_block_merge_implIS3_PjPyjNS1_19radix_merge_compareILb0ELb1EjNS0_19identity_decomposerEEEEE10hipError_tT0_T1_T2_jT3_P12ihipStream_tbPNSt15iterator_traitsISD_E10value_typeEPNSJ_ISE_E10value_typeEPSF_NS1_7vsmem_tEENKUlT_SD_SE_SF_E_clIS7_S7_S8_S8_EESC_SS_SD_SE_SF_EUlSS_E0_NS1_11comp_targetILNS1_3genE10ELNS1_11target_archE1201ELNS1_3gpuE5ELNS1_3repE0EEENS1_38merge_mergepath_config_static_selectorELNS0_4arch9wavefront6targetE1EEEvSE_
	.p2align	8
	.type	_ZN7rocprim17ROCPRIM_400000_NS6detail17trampoline_kernelINS0_14default_configENS1_38merge_sort_block_merge_config_selectorIjyEEZZNS1_27merge_sort_block_merge_implIS3_PjPyjNS1_19radix_merge_compareILb0ELb1EjNS0_19identity_decomposerEEEEE10hipError_tT0_T1_T2_jT3_P12ihipStream_tbPNSt15iterator_traitsISD_E10value_typeEPNSJ_ISE_E10value_typeEPSF_NS1_7vsmem_tEENKUlT_SD_SE_SF_E_clIS7_S7_S8_S8_EESC_SS_SD_SE_SF_EUlSS_E0_NS1_11comp_targetILNS1_3genE10ELNS1_11target_archE1201ELNS1_3gpuE5ELNS1_3repE0EEENS1_38merge_mergepath_config_static_selectorELNS0_4arch9wavefront6targetE1EEEvSE_,@function
_ZN7rocprim17ROCPRIM_400000_NS6detail17trampoline_kernelINS0_14default_configENS1_38merge_sort_block_merge_config_selectorIjyEEZZNS1_27merge_sort_block_merge_implIS3_PjPyjNS1_19radix_merge_compareILb0ELb1EjNS0_19identity_decomposerEEEEE10hipError_tT0_T1_T2_jT3_P12ihipStream_tbPNSt15iterator_traitsISD_E10value_typeEPNSJ_ISE_E10value_typeEPSF_NS1_7vsmem_tEENKUlT_SD_SE_SF_E_clIS7_S7_S8_S8_EESC_SS_SD_SE_SF_EUlSS_E0_NS1_11comp_targetILNS1_3genE10ELNS1_11target_archE1201ELNS1_3gpuE5ELNS1_3repE0EEENS1_38merge_mergepath_config_static_selectorELNS0_4arch9wavefront6targetE1EEEvSE_: ; @_ZN7rocprim17ROCPRIM_400000_NS6detail17trampoline_kernelINS0_14default_configENS1_38merge_sort_block_merge_config_selectorIjyEEZZNS1_27merge_sort_block_merge_implIS3_PjPyjNS1_19radix_merge_compareILb0ELb1EjNS0_19identity_decomposerEEEEE10hipError_tT0_T1_T2_jT3_P12ihipStream_tbPNSt15iterator_traitsISD_E10value_typeEPNSJ_ISE_E10value_typeEPSF_NS1_7vsmem_tEENKUlT_SD_SE_SF_E_clIS7_S7_S8_S8_EESC_SS_SD_SE_SF_EUlSS_E0_NS1_11comp_targetILNS1_3genE10ELNS1_11target_archE1201ELNS1_3gpuE5ELNS1_3repE0EEENS1_38merge_mergepath_config_static_selectorELNS0_4arch9wavefront6targetE1EEEvSE_
; %bb.0:
	.section	.rodata,"a",@progbits
	.p2align	6, 0x0
	.amdhsa_kernel _ZN7rocprim17ROCPRIM_400000_NS6detail17trampoline_kernelINS0_14default_configENS1_38merge_sort_block_merge_config_selectorIjyEEZZNS1_27merge_sort_block_merge_implIS3_PjPyjNS1_19radix_merge_compareILb0ELb1EjNS0_19identity_decomposerEEEEE10hipError_tT0_T1_T2_jT3_P12ihipStream_tbPNSt15iterator_traitsISD_E10value_typeEPNSJ_ISE_E10value_typeEPSF_NS1_7vsmem_tEENKUlT_SD_SE_SF_E_clIS7_S7_S8_S8_EESC_SS_SD_SE_SF_EUlSS_E0_NS1_11comp_targetILNS1_3genE10ELNS1_11target_archE1201ELNS1_3gpuE5ELNS1_3repE0EEENS1_38merge_mergepath_config_static_selectorELNS0_4arch9wavefront6targetE1EEEvSE_
		.amdhsa_group_segment_fixed_size 0
		.amdhsa_private_segment_fixed_size 0
		.amdhsa_kernarg_size 64
		.amdhsa_user_sgpr_count 6
		.amdhsa_user_sgpr_private_segment_buffer 1
		.amdhsa_user_sgpr_dispatch_ptr 0
		.amdhsa_user_sgpr_queue_ptr 0
		.amdhsa_user_sgpr_kernarg_segment_ptr 1
		.amdhsa_user_sgpr_dispatch_id 0
		.amdhsa_user_sgpr_flat_scratch_init 0
		.amdhsa_user_sgpr_kernarg_preload_length 0
		.amdhsa_user_sgpr_kernarg_preload_offset 0
		.amdhsa_user_sgpr_private_segment_size 0
		.amdhsa_uses_dynamic_stack 0
		.amdhsa_system_sgpr_private_segment_wavefront_offset 0
		.amdhsa_system_sgpr_workgroup_id_x 1
		.amdhsa_system_sgpr_workgroup_id_y 0
		.amdhsa_system_sgpr_workgroup_id_z 0
		.amdhsa_system_sgpr_workgroup_info 0
		.amdhsa_system_vgpr_workitem_id 0
		.amdhsa_next_free_vgpr 1
		.amdhsa_next_free_sgpr 0
		.amdhsa_accum_offset 4
		.amdhsa_reserve_vcc 0
		.amdhsa_reserve_flat_scratch 0
		.amdhsa_float_round_mode_32 0
		.amdhsa_float_round_mode_16_64 0
		.amdhsa_float_denorm_mode_32 3
		.amdhsa_float_denorm_mode_16_64 3
		.amdhsa_dx10_clamp 1
		.amdhsa_ieee_mode 1
		.amdhsa_fp16_overflow 0
		.amdhsa_tg_split 0
		.amdhsa_exception_fp_ieee_invalid_op 0
		.amdhsa_exception_fp_denorm_src 0
		.amdhsa_exception_fp_ieee_div_zero 0
		.amdhsa_exception_fp_ieee_overflow 0
		.amdhsa_exception_fp_ieee_underflow 0
		.amdhsa_exception_fp_ieee_inexact 0
		.amdhsa_exception_int_div_zero 0
	.end_amdhsa_kernel
	.section	.text._ZN7rocprim17ROCPRIM_400000_NS6detail17trampoline_kernelINS0_14default_configENS1_38merge_sort_block_merge_config_selectorIjyEEZZNS1_27merge_sort_block_merge_implIS3_PjPyjNS1_19radix_merge_compareILb0ELb1EjNS0_19identity_decomposerEEEEE10hipError_tT0_T1_T2_jT3_P12ihipStream_tbPNSt15iterator_traitsISD_E10value_typeEPNSJ_ISE_E10value_typeEPSF_NS1_7vsmem_tEENKUlT_SD_SE_SF_E_clIS7_S7_S8_S8_EESC_SS_SD_SE_SF_EUlSS_E0_NS1_11comp_targetILNS1_3genE10ELNS1_11target_archE1201ELNS1_3gpuE5ELNS1_3repE0EEENS1_38merge_mergepath_config_static_selectorELNS0_4arch9wavefront6targetE1EEEvSE_,"axG",@progbits,_ZN7rocprim17ROCPRIM_400000_NS6detail17trampoline_kernelINS0_14default_configENS1_38merge_sort_block_merge_config_selectorIjyEEZZNS1_27merge_sort_block_merge_implIS3_PjPyjNS1_19radix_merge_compareILb0ELb1EjNS0_19identity_decomposerEEEEE10hipError_tT0_T1_T2_jT3_P12ihipStream_tbPNSt15iterator_traitsISD_E10value_typeEPNSJ_ISE_E10value_typeEPSF_NS1_7vsmem_tEENKUlT_SD_SE_SF_E_clIS7_S7_S8_S8_EESC_SS_SD_SE_SF_EUlSS_E0_NS1_11comp_targetILNS1_3genE10ELNS1_11target_archE1201ELNS1_3gpuE5ELNS1_3repE0EEENS1_38merge_mergepath_config_static_selectorELNS0_4arch9wavefront6targetE1EEEvSE_,comdat
.Lfunc_end511:
	.size	_ZN7rocprim17ROCPRIM_400000_NS6detail17trampoline_kernelINS0_14default_configENS1_38merge_sort_block_merge_config_selectorIjyEEZZNS1_27merge_sort_block_merge_implIS3_PjPyjNS1_19radix_merge_compareILb0ELb1EjNS0_19identity_decomposerEEEEE10hipError_tT0_T1_T2_jT3_P12ihipStream_tbPNSt15iterator_traitsISD_E10value_typeEPNSJ_ISE_E10value_typeEPSF_NS1_7vsmem_tEENKUlT_SD_SE_SF_E_clIS7_S7_S8_S8_EESC_SS_SD_SE_SF_EUlSS_E0_NS1_11comp_targetILNS1_3genE10ELNS1_11target_archE1201ELNS1_3gpuE5ELNS1_3repE0EEENS1_38merge_mergepath_config_static_selectorELNS0_4arch9wavefront6targetE1EEEvSE_, .Lfunc_end511-_ZN7rocprim17ROCPRIM_400000_NS6detail17trampoline_kernelINS0_14default_configENS1_38merge_sort_block_merge_config_selectorIjyEEZZNS1_27merge_sort_block_merge_implIS3_PjPyjNS1_19radix_merge_compareILb0ELb1EjNS0_19identity_decomposerEEEEE10hipError_tT0_T1_T2_jT3_P12ihipStream_tbPNSt15iterator_traitsISD_E10value_typeEPNSJ_ISE_E10value_typeEPSF_NS1_7vsmem_tEENKUlT_SD_SE_SF_E_clIS7_S7_S8_S8_EESC_SS_SD_SE_SF_EUlSS_E0_NS1_11comp_targetILNS1_3genE10ELNS1_11target_archE1201ELNS1_3gpuE5ELNS1_3repE0EEENS1_38merge_mergepath_config_static_selectorELNS0_4arch9wavefront6targetE1EEEvSE_
                                        ; -- End function
	.section	.AMDGPU.csdata,"",@progbits
; Kernel info:
; codeLenInByte = 0
; NumSgprs: 4
; NumVgprs: 0
; NumAgprs: 0
; TotalNumVgprs: 0
; ScratchSize: 0
; MemoryBound: 0
; FloatMode: 240
; IeeeMode: 1
; LDSByteSize: 0 bytes/workgroup (compile time only)
; SGPRBlocks: 0
; VGPRBlocks: 0
; NumSGPRsForWavesPerEU: 4
; NumVGPRsForWavesPerEU: 1
; AccumOffset: 4
; Occupancy: 8
; WaveLimiterHint : 0
; COMPUTE_PGM_RSRC2:SCRATCH_EN: 0
; COMPUTE_PGM_RSRC2:USER_SGPR: 6
; COMPUTE_PGM_RSRC2:TRAP_HANDLER: 0
; COMPUTE_PGM_RSRC2:TGID_X_EN: 1
; COMPUTE_PGM_RSRC2:TGID_Y_EN: 0
; COMPUTE_PGM_RSRC2:TGID_Z_EN: 0
; COMPUTE_PGM_RSRC2:TIDIG_COMP_CNT: 0
; COMPUTE_PGM_RSRC3_GFX90A:ACCUM_OFFSET: 0
; COMPUTE_PGM_RSRC3_GFX90A:TG_SPLIT: 0
	.section	.text._ZN7rocprim17ROCPRIM_400000_NS6detail17trampoline_kernelINS0_14default_configENS1_38merge_sort_block_merge_config_selectorIjyEEZZNS1_27merge_sort_block_merge_implIS3_PjPyjNS1_19radix_merge_compareILb0ELb1EjNS0_19identity_decomposerEEEEE10hipError_tT0_T1_T2_jT3_P12ihipStream_tbPNSt15iterator_traitsISD_E10value_typeEPNSJ_ISE_E10value_typeEPSF_NS1_7vsmem_tEENKUlT_SD_SE_SF_E_clIS7_S7_S8_S8_EESC_SS_SD_SE_SF_EUlSS_E0_NS1_11comp_targetILNS1_3genE5ELNS1_11target_archE942ELNS1_3gpuE9ELNS1_3repE0EEENS1_38merge_mergepath_config_static_selectorELNS0_4arch9wavefront6targetE1EEEvSE_,"axG",@progbits,_ZN7rocprim17ROCPRIM_400000_NS6detail17trampoline_kernelINS0_14default_configENS1_38merge_sort_block_merge_config_selectorIjyEEZZNS1_27merge_sort_block_merge_implIS3_PjPyjNS1_19radix_merge_compareILb0ELb1EjNS0_19identity_decomposerEEEEE10hipError_tT0_T1_T2_jT3_P12ihipStream_tbPNSt15iterator_traitsISD_E10value_typeEPNSJ_ISE_E10value_typeEPSF_NS1_7vsmem_tEENKUlT_SD_SE_SF_E_clIS7_S7_S8_S8_EESC_SS_SD_SE_SF_EUlSS_E0_NS1_11comp_targetILNS1_3genE5ELNS1_11target_archE942ELNS1_3gpuE9ELNS1_3repE0EEENS1_38merge_mergepath_config_static_selectorELNS0_4arch9wavefront6targetE1EEEvSE_,comdat
	.protected	_ZN7rocprim17ROCPRIM_400000_NS6detail17trampoline_kernelINS0_14default_configENS1_38merge_sort_block_merge_config_selectorIjyEEZZNS1_27merge_sort_block_merge_implIS3_PjPyjNS1_19radix_merge_compareILb0ELb1EjNS0_19identity_decomposerEEEEE10hipError_tT0_T1_T2_jT3_P12ihipStream_tbPNSt15iterator_traitsISD_E10value_typeEPNSJ_ISE_E10value_typeEPSF_NS1_7vsmem_tEENKUlT_SD_SE_SF_E_clIS7_S7_S8_S8_EESC_SS_SD_SE_SF_EUlSS_E0_NS1_11comp_targetILNS1_3genE5ELNS1_11target_archE942ELNS1_3gpuE9ELNS1_3repE0EEENS1_38merge_mergepath_config_static_selectorELNS0_4arch9wavefront6targetE1EEEvSE_ ; -- Begin function _ZN7rocprim17ROCPRIM_400000_NS6detail17trampoline_kernelINS0_14default_configENS1_38merge_sort_block_merge_config_selectorIjyEEZZNS1_27merge_sort_block_merge_implIS3_PjPyjNS1_19radix_merge_compareILb0ELb1EjNS0_19identity_decomposerEEEEE10hipError_tT0_T1_T2_jT3_P12ihipStream_tbPNSt15iterator_traitsISD_E10value_typeEPNSJ_ISE_E10value_typeEPSF_NS1_7vsmem_tEENKUlT_SD_SE_SF_E_clIS7_S7_S8_S8_EESC_SS_SD_SE_SF_EUlSS_E0_NS1_11comp_targetILNS1_3genE5ELNS1_11target_archE942ELNS1_3gpuE9ELNS1_3repE0EEENS1_38merge_mergepath_config_static_selectorELNS0_4arch9wavefront6targetE1EEEvSE_
	.globl	_ZN7rocprim17ROCPRIM_400000_NS6detail17trampoline_kernelINS0_14default_configENS1_38merge_sort_block_merge_config_selectorIjyEEZZNS1_27merge_sort_block_merge_implIS3_PjPyjNS1_19radix_merge_compareILb0ELb1EjNS0_19identity_decomposerEEEEE10hipError_tT0_T1_T2_jT3_P12ihipStream_tbPNSt15iterator_traitsISD_E10value_typeEPNSJ_ISE_E10value_typeEPSF_NS1_7vsmem_tEENKUlT_SD_SE_SF_E_clIS7_S7_S8_S8_EESC_SS_SD_SE_SF_EUlSS_E0_NS1_11comp_targetILNS1_3genE5ELNS1_11target_archE942ELNS1_3gpuE9ELNS1_3repE0EEENS1_38merge_mergepath_config_static_selectorELNS0_4arch9wavefront6targetE1EEEvSE_
	.p2align	8
	.type	_ZN7rocprim17ROCPRIM_400000_NS6detail17trampoline_kernelINS0_14default_configENS1_38merge_sort_block_merge_config_selectorIjyEEZZNS1_27merge_sort_block_merge_implIS3_PjPyjNS1_19radix_merge_compareILb0ELb1EjNS0_19identity_decomposerEEEEE10hipError_tT0_T1_T2_jT3_P12ihipStream_tbPNSt15iterator_traitsISD_E10value_typeEPNSJ_ISE_E10value_typeEPSF_NS1_7vsmem_tEENKUlT_SD_SE_SF_E_clIS7_S7_S8_S8_EESC_SS_SD_SE_SF_EUlSS_E0_NS1_11comp_targetILNS1_3genE5ELNS1_11target_archE942ELNS1_3gpuE9ELNS1_3repE0EEENS1_38merge_mergepath_config_static_selectorELNS0_4arch9wavefront6targetE1EEEvSE_,@function
_ZN7rocprim17ROCPRIM_400000_NS6detail17trampoline_kernelINS0_14default_configENS1_38merge_sort_block_merge_config_selectorIjyEEZZNS1_27merge_sort_block_merge_implIS3_PjPyjNS1_19radix_merge_compareILb0ELb1EjNS0_19identity_decomposerEEEEE10hipError_tT0_T1_T2_jT3_P12ihipStream_tbPNSt15iterator_traitsISD_E10value_typeEPNSJ_ISE_E10value_typeEPSF_NS1_7vsmem_tEENKUlT_SD_SE_SF_E_clIS7_S7_S8_S8_EESC_SS_SD_SE_SF_EUlSS_E0_NS1_11comp_targetILNS1_3genE5ELNS1_11target_archE942ELNS1_3gpuE9ELNS1_3repE0EEENS1_38merge_mergepath_config_static_selectorELNS0_4arch9wavefront6targetE1EEEvSE_: ; @_ZN7rocprim17ROCPRIM_400000_NS6detail17trampoline_kernelINS0_14default_configENS1_38merge_sort_block_merge_config_selectorIjyEEZZNS1_27merge_sort_block_merge_implIS3_PjPyjNS1_19radix_merge_compareILb0ELb1EjNS0_19identity_decomposerEEEEE10hipError_tT0_T1_T2_jT3_P12ihipStream_tbPNSt15iterator_traitsISD_E10value_typeEPNSJ_ISE_E10value_typeEPSF_NS1_7vsmem_tEENKUlT_SD_SE_SF_E_clIS7_S7_S8_S8_EESC_SS_SD_SE_SF_EUlSS_E0_NS1_11comp_targetILNS1_3genE5ELNS1_11target_archE942ELNS1_3gpuE9ELNS1_3repE0EEENS1_38merge_mergepath_config_static_selectorELNS0_4arch9wavefront6targetE1EEEvSE_
; %bb.0:
	.section	.rodata,"a",@progbits
	.p2align	6, 0x0
	.amdhsa_kernel _ZN7rocprim17ROCPRIM_400000_NS6detail17trampoline_kernelINS0_14default_configENS1_38merge_sort_block_merge_config_selectorIjyEEZZNS1_27merge_sort_block_merge_implIS3_PjPyjNS1_19radix_merge_compareILb0ELb1EjNS0_19identity_decomposerEEEEE10hipError_tT0_T1_T2_jT3_P12ihipStream_tbPNSt15iterator_traitsISD_E10value_typeEPNSJ_ISE_E10value_typeEPSF_NS1_7vsmem_tEENKUlT_SD_SE_SF_E_clIS7_S7_S8_S8_EESC_SS_SD_SE_SF_EUlSS_E0_NS1_11comp_targetILNS1_3genE5ELNS1_11target_archE942ELNS1_3gpuE9ELNS1_3repE0EEENS1_38merge_mergepath_config_static_selectorELNS0_4arch9wavefront6targetE1EEEvSE_
		.amdhsa_group_segment_fixed_size 0
		.amdhsa_private_segment_fixed_size 0
		.amdhsa_kernarg_size 64
		.amdhsa_user_sgpr_count 6
		.amdhsa_user_sgpr_private_segment_buffer 1
		.amdhsa_user_sgpr_dispatch_ptr 0
		.amdhsa_user_sgpr_queue_ptr 0
		.amdhsa_user_sgpr_kernarg_segment_ptr 1
		.amdhsa_user_sgpr_dispatch_id 0
		.amdhsa_user_sgpr_flat_scratch_init 0
		.amdhsa_user_sgpr_kernarg_preload_length 0
		.amdhsa_user_sgpr_kernarg_preload_offset 0
		.amdhsa_user_sgpr_private_segment_size 0
		.amdhsa_uses_dynamic_stack 0
		.amdhsa_system_sgpr_private_segment_wavefront_offset 0
		.amdhsa_system_sgpr_workgroup_id_x 1
		.amdhsa_system_sgpr_workgroup_id_y 0
		.amdhsa_system_sgpr_workgroup_id_z 0
		.amdhsa_system_sgpr_workgroup_info 0
		.amdhsa_system_vgpr_workitem_id 0
		.amdhsa_next_free_vgpr 1
		.amdhsa_next_free_sgpr 0
		.amdhsa_accum_offset 4
		.amdhsa_reserve_vcc 0
		.amdhsa_reserve_flat_scratch 0
		.amdhsa_float_round_mode_32 0
		.amdhsa_float_round_mode_16_64 0
		.amdhsa_float_denorm_mode_32 3
		.amdhsa_float_denorm_mode_16_64 3
		.amdhsa_dx10_clamp 1
		.amdhsa_ieee_mode 1
		.amdhsa_fp16_overflow 0
		.amdhsa_tg_split 0
		.amdhsa_exception_fp_ieee_invalid_op 0
		.amdhsa_exception_fp_denorm_src 0
		.amdhsa_exception_fp_ieee_div_zero 0
		.amdhsa_exception_fp_ieee_overflow 0
		.amdhsa_exception_fp_ieee_underflow 0
		.amdhsa_exception_fp_ieee_inexact 0
		.amdhsa_exception_int_div_zero 0
	.end_amdhsa_kernel
	.section	.text._ZN7rocprim17ROCPRIM_400000_NS6detail17trampoline_kernelINS0_14default_configENS1_38merge_sort_block_merge_config_selectorIjyEEZZNS1_27merge_sort_block_merge_implIS3_PjPyjNS1_19radix_merge_compareILb0ELb1EjNS0_19identity_decomposerEEEEE10hipError_tT0_T1_T2_jT3_P12ihipStream_tbPNSt15iterator_traitsISD_E10value_typeEPNSJ_ISE_E10value_typeEPSF_NS1_7vsmem_tEENKUlT_SD_SE_SF_E_clIS7_S7_S8_S8_EESC_SS_SD_SE_SF_EUlSS_E0_NS1_11comp_targetILNS1_3genE5ELNS1_11target_archE942ELNS1_3gpuE9ELNS1_3repE0EEENS1_38merge_mergepath_config_static_selectorELNS0_4arch9wavefront6targetE1EEEvSE_,"axG",@progbits,_ZN7rocprim17ROCPRIM_400000_NS6detail17trampoline_kernelINS0_14default_configENS1_38merge_sort_block_merge_config_selectorIjyEEZZNS1_27merge_sort_block_merge_implIS3_PjPyjNS1_19radix_merge_compareILb0ELb1EjNS0_19identity_decomposerEEEEE10hipError_tT0_T1_T2_jT3_P12ihipStream_tbPNSt15iterator_traitsISD_E10value_typeEPNSJ_ISE_E10value_typeEPSF_NS1_7vsmem_tEENKUlT_SD_SE_SF_E_clIS7_S7_S8_S8_EESC_SS_SD_SE_SF_EUlSS_E0_NS1_11comp_targetILNS1_3genE5ELNS1_11target_archE942ELNS1_3gpuE9ELNS1_3repE0EEENS1_38merge_mergepath_config_static_selectorELNS0_4arch9wavefront6targetE1EEEvSE_,comdat
.Lfunc_end512:
	.size	_ZN7rocprim17ROCPRIM_400000_NS6detail17trampoline_kernelINS0_14default_configENS1_38merge_sort_block_merge_config_selectorIjyEEZZNS1_27merge_sort_block_merge_implIS3_PjPyjNS1_19radix_merge_compareILb0ELb1EjNS0_19identity_decomposerEEEEE10hipError_tT0_T1_T2_jT3_P12ihipStream_tbPNSt15iterator_traitsISD_E10value_typeEPNSJ_ISE_E10value_typeEPSF_NS1_7vsmem_tEENKUlT_SD_SE_SF_E_clIS7_S7_S8_S8_EESC_SS_SD_SE_SF_EUlSS_E0_NS1_11comp_targetILNS1_3genE5ELNS1_11target_archE942ELNS1_3gpuE9ELNS1_3repE0EEENS1_38merge_mergepath_config_static_selectorELNS0_4arch9wavefront6targetE1EEEvSE_, .Lfunc_end512-_ZN7rocprim17ROCPRIM_400000_NS6detail17trampoline_kernelINS0_14default_configENS1_38merge_sort_block_merge_config_selectorIjyEEZZNS1_27merge_sort_block_merge_implIS3_PjPyjNS1_19radix_merge_compareILb0ELb1EjNS0_19identity_decomposerEEEEE10hipError_tT0_T1_T2_jT3_P12ihipStream_tbPNSt15iterator_traitsISD_E10value_typeEPNSJ_ISE_E10value_typeEPSF_NS1_7vsmem_tEENKUlT_SD_SE_SF_E_clIS7_S7_S8_S8_EESC_SS_SD_SE_SF_EUlSS_E0_NS1_11comp_targetILNS1_3genE5ELNS1_11target_archE942ELNS1_3gpuE9ELNS1_3repE0EEENS1_38merge_mergepath_config_static_selectorELNS0_4arch9wavefront6targetE1EEEvSE_
                                        ; -- End function
	.section	.AMDGPU.csdata,"",@progbits
; Kernel info:
; codeLenInByte = 0
; NumSgprs: 4
; NumVgprs: 0
; NumAgprs: 0
; TotalNumVgprs: 0
; ScratchSize: 0
; MemoryBound: 0
; FloatMode: 240
; IeeeMode: 1
; LDSByteSize: 0 bytes/workgroup (compile time only)
; SGPRBlocks: 0
; VGPRBlocks: 0
; NumSGPRsForWavesPerEU: 4
; NumVGPRsForWavesPerEU: 1
; AccumOffset: 4
; Occupancy: 8
; WaveLimiterHint : 0
; COMPUTE_PGM_RSRC2:SCRATCH_EN: 0
; COMPUTE_PGM_RSRC2:USER_SGPR: 6
; COMPUTE_PGM_RSRC2:TRAP_HANDLER: 0
; COMPUTE_PGM_RSRC2:TGID_X_EN: 1
; COMPUTE_PGM_RSRC2:TGID_Y_EN: 0
; COMPUTE_PGM_RSRC2:TGID_Z_EN: 0
; COMPUTE_PGM_RSRC2:TIDIG_COMP_CNT: 0
; COMPUTE_PGM_RSRC3_GFX90A:ACCUM_OFFSET: 0
; COMPUTE_PGM_RSRC3_GFX90A:TG_SPLIT: 0
	.section	.text._ZN7rocprim17ROCPRIM_400000_NS6detail17trampoline_kernelINS0_14default_configENS1_38merge_sort_block_merge_config_selectorIjyEEZZNS1_27merge_sort_block_merge_implIS3_PjPyjNS1_19radix_merge_compareILb0ELb1EjNS0_19identity_decomposerEEEEE10hipError_tT0_T1_T2_jT3_P12ihipStream_tbPNSt15iterator_traitsISD_E10value_typeEPNSJ_ISE_E10value_typeEPSF_NS1_7vsmem_tEENKUlT_SD_SE_SF_E_clIS7_S7_S8_S8_EESC_SS_SD_SE_SF_EUlSS_E0_NS1_11comp_targetILNS1_3genE4ELNS1_11target_archE910ELNS1_3gpuE8ELNS1_3repE0EEENS1_38merge_mergepath_config_static_selectorELNS0_4arch9wavefront6targetE1EEEvSE_,"axG",@progbits,_ZN7rocprim17ROCPRIM_400000_NS6detail17trampoline_kernelINS0_14default_configENS1_38merge_sort_block_merge_config_selectorIjyEEZZNS1_27merge_sort_block_merge_implIS3_PjPyjNS1_19radix_merge_compareILb0ELb1EjNS0_19identity_decomposerEEEEE10hipError_tT0_T1_T2_jT3_P12ihipStream_tbPNSt15iterator_traitsISD_E10value_typeEPNSJ_ISE_E10value_typeEPSF_NS1_7vsmem_tEENKUlT_SD_SE_SF_E_clIS7_S7_S8_S8_EESC_SS_SD_SE_SF_EUlSS_E0_NS1_11comp_targetILNS1_3genE4ELNS1_11target_archE910ELNS1_3gpuE8ELNS1_3repE0EEENS1_38merge_mergepath_config_static_selectorELNS0_4arch9wavefront6targetE1EEEvSE_,comdat
	.protected	_ZN7rocprim17ROCPRIM_400000_NS6detail17trampoline_kernelINS0_14default_configENS1_38merge_sort_block_merge_config_selectorIjyEEZZNS1_27merge_sort_block_merge_implIS3_PjPyjNS1_19radix_merge_compareILb0ELb1EjNS0_19identity_decomposerEEEEE10hipError_tT0_T1_T2_jT3_P12ihipStream_tbPNSt15iterator_traitsISD_E10value_typeEPNSJ_ISE_E10value_typeEPSF_NS1_7vsmem_tEENKUlT_SD_SE_SF_E_clIS7_S7_S8_S8_EESC_SS_SD_SE_SF_EUlSS_E0_NS1_11comp_targetILNS1_3genE4ELNS1_11target_archE910ELNS1_3gpuE8ELNS1_3repE0EEENS1_38merge_mergepath_config_static_selectorELNS0_4arch9wavefront6targetE1EEEvSE_ ; -- Begin function _ZN7rocprim17ROCPRIM_400000_NS6detail17trampoline_kernelINS0_14default_configENS1_38merge_sort_block_merge_config_selectorIjyEEZZNS1_27merge_sort_block_merge_implIS3_PjPyjNS1_19radix_merge_compareILb0ELb1EjNS0_19identity_decomposerEEEEE10hipError_tT0_T1_T2_jT3_P12ihipStream_tbPNSt15iterator_traitsISD_E10value_typeEPNSJ_ISE_E10value_typeEPSF_NS1_7vsmem_tEENKUlT_SD_SE_SF_E_clIS7_S7_S8_S8_EESC_SS_SD_SE_SF_EUlSS_E0_NS1_11comp_targetILNS1_3genE4ELNS1_11target_archE910ELNS1_3gpuE8ELNS1_3repE0EEENS1_38merge_mergepath_config_static_selectorELNS0_4arch9wavefront6targetE1EEEvSE_
	.globl	_ZN7rocprim17ROCPRIM_400000_NS6detail17trampoline_kernelINS0_14default_configENS1_38merge_sort_block_merge_config_selectorIjyEEZZNS1_27merge_sort_block_merge_implIS3_PjPyjNS1_19radix_merge_compareILb0ELb1EjNS0_19identity_decomposerEEEEE10hipError_tT0_T1_T2_jT3_P12ihipStream_tbPNSt15iterator_traitsISD_E10value_typeEPNSJ_ISE_E10value_typeEPSF_NS1_7vsmem_tEENKUlT_SD_SE_SF_E_clIS7_S7_S8_S8_EESC_SS_SD_SE_SF_EUlSS_E0_NS1_11comp_targetILNS1_3genE4ELNS1_11target_archE910ELNS1_3gpuE8ELNS1_3repE0EEENS1_38merge_mergepath_config_static_selectorELNS0_4arch9wavefront6targetE1EEEvSE_
	.p2align	8
	.type	_ZN7rocprim17ROCPRIM_400000_NS6detail17trampoline_kernelINS0_14default_configENS1_38merge_sort_block_merge_config_selectorIjyEEZZNS1_27merge_sort_block_merge_implIS3_PjPyjNS1_19radix_merge_compareILb0ELb1EjNS0_19identity_decomposerEEEEE10hipError_tT0_T1_T2_jT3_P12ihipStream_tbPNSt15iterator_traitsISD_E10value_typeEPNSJ_ISE_E10value_typeEPSF_NS1_7vsmem_tEENKUlT_SD_SE_SF_E_clIS7_S7_S8_S8_EESC_SS_SD_SE_SF_EUlSS_E0_NS1_11comp_targetILNS1_3genE4ELNS1_11target_archE910ELNS1_3gpuE8ELNS1_3repE0EEENS1_38merge_mergepath_config_static_selectorELNS0_4arch9wavefront6targetE1EEEvSE_,@function
_ZN7rocprim17ROCPRIM_400000_NS6detail17trampoline_kernelINS0_14default_configENS1_38merge_sort_block_merge_config_selectorIjyEEZZNS1_27merge_sort_block_merge_implIS3_PjPyjNS1_19radix_merge_compareILb0ELb1EjNS0_19identity_decomposerEEEEE10hipError_tT0_T1_T2_jT3_P12ihipStream_tbPNSt15iterator_traitsISD_E10value_typeEPNSJ_ISE_E10value_typeEPSF_NS1_7vsmem_tEENKUlT_SD_SE_SF_E_clIS7_S7_S8_S8_EESC_SS_SD_SE_SF_EUlSS_E0_NS1_11comp_targetILNS1_3genE4ELNS1_11target_archE910ELNS1_3gpuE8ELNS1_3repE0EEENS1_38merge_mergepath_config_static_selectorELNS0_4arch9wavefront6targetE1EEEvSE_: ; @_ZN7rocprim17ROCPRIM_400000_NS6detail17trampoline_kernelINS0_14default_configENS1_38merge_sort_block_merge_config_selectorIjyEEZZNS1_27merge_sort_block_merge_implIS3_PjPyjNS1_19radix_merge_compareILb0ELb1EjNS0_19identity_decomposerEEEEE10hipError_tT0_T1_T2_jT3_P12ihipStream_tbPNSt15iterator_traitsISD_E10value_typeEPNSJ_ISE_E10value_typeEPSF_NS1_7vsmem_tEENKUlT_SD_SE_SF_E_clIS7_S7_S8_S8_EESC_SS_SD_SE_SF_EUlSS_E0_NS1_11comp_targetILNS1_3genE4ELNS1_11target_archE910ELNS1_3gpuE8ELNS1_3repE0EEENS1_38merge_mergepath_config_static_selectorELNS0_4arch9wavefront6targetE1EEEvSE_
; %bb.0:
	s_load_dwordx2 s[22:23], s[4:5], 0x40
	s_load_dwordx2 s[16:17], s[4:5], 0x30
	s_add_u32 s0, s4, 64
	s_addc_u32 s1, s5, 0
	s_waitcnt lgkmcnt(0)
	s_mul_i32 s2, s23, s8
	s_add_i32 s2, s2, s7
	s_mul_i32 s2, s2, s22
	s_add_i32 s20, s2, s6
	s_cmp_ge_u32 s20, s16
	s_cbranch_scc1 .LBB513_46
; %bb.1:
	s_load_dwordx8 s[8:15], s[4:5], 0x10
	s_load_dwordx2 s[28:29], s[4:5], 0x8
	s_load_dwordx2 s[2:3], s[4:5], 0x38
	s_mov_b32 s21, 0
	v_mov_b32_e32 v3, 0
	s_waitcnt lgkmcnt(0)
	s_lshr_b32 s7, s14, 10
	s_cmp_lg_u32 s20, s7
	s_cselect_b64 s[18:19], -1, 0
	s_lshl_b64 s[4:5], s[20:21], 2
	s_add_u32 s2, s2, s4
	s_addc_u32 s3, s3, s5
	s_lshr_b32 s4, s15, 9
	s_and_b32 s4, s4, 0x7ffffe
	s_load_dwordx2 s[2:3], s[2:3], 0x0
	s_sub_i32 s5, 0, s4
	s_and_b32 s4, s20, s5
	s_lshl_b32 s23, s4, 10
	s_lshl_b32 s16, s20, 10
	;; [unrolled: 1-line block ×3, first 2 shown]
	s_sub_i32 s24, s16, s23
	s_add_i32 s25, s4, s15
	s_add_i32 s24, s25, s24
	s_waitcnt lgkmcnt(0)
	s_sub_i32 s4, s24, s2
	s_sub_i32 s24, s24, s3
	;; [unrolled: 1-line block ×3, first 2 shown]
	s_min_u32 s4, s14, s4
	s_addk_i32 s24, 0x400
	s_or_b32 s5, s20, s5
	s_min_u32 s25, s14, s23
	s_add_i32 s23, s23, s15
	s_cmp_eq_u32 s5, -1
	s_cselect_b32 s3, s25, s3
	s_cselect_b32 s5, s23, s24
	s_sub_i32 s15, s3, s2
	s_mov_b32 s3, s21
	s_min_u32 s26, s5, s14
	s_lshl_b64 s[24:25], s[2:3], 2
	s_add_u32 s24, s28, s24
	s_mov_b32 s5, s21
	s_addc_u32 s25, s29, s25
	s_lshl_b64 s[30:31], s[4:5], 2
	s_add_u32 s21, s28, s30
	s_addc_u32 s23, s29, s31
	s_cmp_lt_u32 s6, s22
	s_cselect_b32 s6, 12, 18
	global_load_dword v1, v3, s[0:1] offset:14
	s_add_u32 s0, s0, s6
	s_addc_u32 s1, s1, 0
	global_load_ushort v2, v3, s[0:1]
	s_cmp_eq_u32 s20, s7
	s_waitcnt vmcnt(1)
	v_lshrrev_b32_e32 v4, 16, v1
	v_and_b32_e32 v1, 0xffff, v1
	v_mul_lo_u32 v1, v1, v4
	s_waitcnt vmcnt(0)
	v_mul_lo_u32 v19, v1, v2
	v_add_u32_e32 v16, v19, v0
	v_lshlrev_b32_e32 v1, 2, v0
	v_add_u32_e32 v14, v16, v19
	s_cbranch_scc1 .LBB513_3
; %bb.2:
	v_mov_b32_e32 v2, s25
	v_add_co_u32_e32 v6, vcc, s24, v1
	v_addc_co_u32_e32 v7, vcc, 0, v2, vcc
	v_subrev_u32_e32 v2, s15, v0
	v_lshlrev_b64 v[4:5], 2, v[2:3]
	v_mov_b32_e32 v2, s23
	v_add_co_u32_e32 v4, vcc, s21, v4
	v_addc_co_u32_e32 v2, vcc, v2, v5, vcc
	v_cmp_gt_u32_e32 vcc, s15, v0
	v_cndmask_b32_e32 v5, v2, v7, vcc
	v_cndmask_b32_e32 v4, v4, v6, vcc
	v_mov_b32_e32 v17, v3
	global_load_dword v10, v[4:5], off
	v_lshlrev_b64 v[4:5], 2, v[16:17]
	v_mov_b32_e32 v2, s25
	v_add_co_u32_e32 v6, vcc, s24, v4
	v_addc_co_u32_e32 v7, vcc, v2, v5, vcc
	v_subrev_u32_e32 v2, s15, v16
	v_lshlrev_b64 v[4:5], 2, v[2:3]
	v_mov_b32_e32 v2, s23
	v_add_co_u32_e32 v4, vcc, s21, v4
	v_addc_co_u32_e32 v2, vcc, v2, v5, vcc
	v_cmp_gt_u32_e32 vcc, s15, v16
	v_cndmask_b32_e32 v5, v2, v7, vcc
	v_cndmask_b32_e32 v4, v4, v6, vcc
	v_mov_b32_e32 v15, v3
	global_load_dword v11, v[4:5], off
	v_lshlrev_b64 v[4:5], 2, v[14:15]
	v_mov_b32_e32 v2, s25
	v_add_co_u32_e32 v4, vcc, s24, v4
	v_addc_co_u32_e32 v5, vcc, v2, v5, vcc
	v_subrev_u32_e32 v2, s15, v14
	v_lshlrev_b64 v[2:3], 2, v[2:3]
	v_mov_b32_e32 v6, s23
	v_add_co_u32_e32 v2, vcc, s21, v2
	v_addc_co_u32_e32 v3, vcc, v6, v3, vcc
	v_cmp_gt_u32_e32 vcc, s15, v14
	v_cndmask_b32_e32 v3, v3, v5, vcc
	v_cndmask_b32_e32 v2, v2, v4, vcc
	global_load_dword v12, v[2:3], off
	v_add_u32_e32 v2, v14, v19
	s_mov_b64 s[0:1], -1
	s_sub_i32 s20, s26, s4
	s_cbranch_execz .LBB513_4
	s_branch .LBB513_9
.LBB513_3:
	s_mov_b64 s[0:1], 0
                                        ; implicit-def: $vgpr10_vgpr11_vgpr12_vgpr13
                                        ; implicit-def: $vgpr2
	s_sub_i32 s20, s26, s4
.LBB513_4:
	s_add_i32 s6, s20, s15
	v_cmp_gt_u32_e32 vcc, s6, v0
                                        ; implicit-def: $vgpr10_vgpr11_vgpr12_vgpr13
	s_and_saveexec_b64 s[0:1], vcc
	s_cbranch_execnz .LBB513_47
; %bb.5:
	s_or_b64 exec, exec, s[0:1]
	v_cmp_gt_u32_e32 vcc, s6, v16
	s_and_saveexec_b64 s[0:1], vcc
	s_cbranch_execnz .LBB513_48
.LBB513_6:
	s_or_b64 exec, exec, s[0:1]
	v_cmp_gt_u32_e32 vcc, s6, v14
	s_and_saveexec_b64 s[0:1], vcc
	s_cbranch_execz .LBB513_8
.LBB513_7:
	v_mov_b32_e32 v15, 0
	v_lshlrev_b64 v[2:3], 2, v[14:15]
	v_mov_b32_e32 v4, s25
	v_add_co_u32_e32 v5, vcc, s24, v2
	v_addc_co_u32_e32 v4, vcc, v4, v3, vcc
	v_subrev_u32_e32 v2, s15, v14
	v_mov_b32_e32 v3, v15
	v_lshlrev_b64 v[2:3], 2, v[2:3]
	v_mov_b32_e32 v6, s23
	v_add_co_u32_e32 v2, vcc, s21, v2
	v_addc_co_u32_e32 v3, vcc, v6, v3, vcc
	v_cmp_gt_u32_e32 vcc, s15, v14
	v_cndmask_b32_e32 v3, v3, v4, vcc
	v_cndmask_b32_e32 v2, v2, v5, vcc
	global_load_dword v12, v[2:3], off
.LBB513_8:
	s_or_b64 exec, exec, s[0:1]
	v_add_u32_e32 v2, v14, v19
	v_cmp_gt_u32_e64 s[0:1], s6, v2
.LBB513_9:
	s_and_saveexec_b64 s[6:7], s[0:1]
	s_cbranch_execz .LBB513_11
; %bb.10:
	v_mov_b32_e32 v3, 0
	v_lshlrev_b64 v[4:5], 2, v[2:3]
	v_mov_b32_e32 v6, s25
	v_add_co_u32_e32 v4, vcc, s24, v4
	v_addc_co_u32_e32 v5, vcc, v6, v5, vcc
	v_cmp_gt_u32_e32 vcc, s15, v2
	v_subrev_u32_e32 v2, s15, v2
	v_lshlrev_b64 v[2:3], 2, v[2:3]
	v_mov_b32_e32 v6, s23
	v_add_co_u32_e64 v2, s[0:1], s21, v2
	v_addc_co_u32_e64 v3, s[0:1], v6, v3, s[0:1]
	v_cndmask_b32_e32 v3, v3, v5, vcc
	v_cndmask_b32_e32 v2, v2, v4, vcc
	global_load_dword v13, v[2:3], off
.LBB513_11:
	s_or_b64 exec, exec, s[6:7]
	s_lshl_b64 s[0:1], s[2:3], 3
	s_add_u32 s6, s10, s0
	s_addc_u32 s7, s11, s1
	s_lshl_b64 s[0:1], s[4:5], 3
	s_add_u32 s4, s10, s0
	s_addc_u32 s5, s11, s1
	s_andn2_b64 vcc, exec, s[18:19]
	v_lshlrev_b32_e32 v18, 3, v0
	s_waitcnt vmcnt(0)
	ds_write2st64_b32 v1, v10, v11 offset1:4
	ds_write2st64_b32 v1, v12, v13 offset0:8 offset1:12
	s_cbranch_vccnz .LBB513_13
; %bb.12:
	v_mov_b32_e32 v9, 0
	v_mov_b32_e32 v2, s7
	v_add_co_u32_e32 v4, vcc, s6, v18
	v_subrev_u32_e32 v8, s15, v0
	v_addc_co_u32_e32 v5, vcc, 0, v2, vcc
	v_lshlrev_b64 v[2:3], 3, v[8:9]
	v_mov_b32_e32 v6, s5
	v_add_co_u32_e32 v2, vcc, s4, v2
	v_addc_co_u32_e32 v3, vcc, v6, v3, vcc
	v_cmp_gt_u32_e32 vcc, s15, v0
	v_mov_b32_e32 v17, v9
	v_cndmask_b32_e32 v3, v3, v5, vcc
	v_cndmask_b32_e32 v2, v2, v4, vcc
	v_lshlrev_b64 v[4:5], 3, v[16:17]
	v_mov_b32_e32 v6, s7
	v_add_co_u32_e32 v7, vcc, s6, v4
	v_subrev_u32_e32 v8, s15, v16
	v_addc_co_u32_e32 v6, vcc, v6, v5, vcc
	v_lshlrev_b64 v[4:5], 3, v[8:9]
	v_mov_b32_e32 v8, s5
	v_add_co_u32_e32 v4, vcc, s4, v4
	v_addc_co_u32_e32 v5, vcc, v8, v5, vcc
	v_cmp_gt_u32_e32 vcc, s15, v16
	v_mov_b32_e32 v15, v9
	v_cndmask_b32_e32 v5, v5, v6, vcc
	v_cndmask_b32_e32 v4, v4, v7, vcc
	v_lshlrev_b64 v[6:7], 3, v[14:15]
	v_mov_b32_e32 v8, s7
	v_add_co_u32_e32 v15, vcc, s6, v6
	v_addc_co_u32_e32 v17, vcc, v8, v7, vcc
	v_subrev_u32_e32 v8, s15, v14
	v_lshlrev_b64 v[6:7], 3, v[8:9]
	v_mov_b32_e32 v8, s5
	v_add_co_u32_e32 v6, vcc, s4, v6
	v_addc_co_u32_e32 v7, vcc, v8, v7, vcc
	v_add_u32_e32 v8, v14, v19
	v_cmp_gt_u32_e32 vcc, s15, v14
	v_lshlrev_b64 v[20:21], 3, v[8:9]
	v_cndmask_b32_e32 v7, v7, v17, vcc
	v_cndmask_b32_e32 v6, v6, v15, vcc
	v_mov_b32_e32 v15, s7
	v_add_co_u32_e32 v17, vcc, s6, v20
	v_addc_co_u32_e32 v15, vcc, v15, v21, vcc
	v_cmp_gt_u32_e32 vcc, s15, v8
	v_subrev_u32_e32 v8, s15, v8
	v_lshlrev_b64 v[8:9], 3, v[8:9]
	v_mov_b32_e32 v20, s5
	v_add_co_u32_e64 v8, s[0:1], s4, v8
	v_addc_co_u32_e64 v9, s[0:1], v20, v9, s[0:1]
	v_cndmask_b32_e32 v9, v9, v15, vcc
	v_cndmask_b32_e32 v8, v8, v17, vcc
	global_load_dwordx2 v[2:3], v[2:3], off
	s_add_i32 s21, s20, s15
	global_load_dwordx2 v[4:5], v[4:5], off
	s_nop 0
	global_load_dwordx2 v[6:7], v[6:7], off
	s_nop 0
	global_load_dwordx2 v[8:9], v[8:9], off
	s_cbranch_execz .LBB513_14
	s_branch .LBB513_21
.LBB513_13:
                                        ; implicit-def: $vgpr2_vgpr3_vgpr4_vgpr5_vgpr6_vgpr7_vgpr8_vgpr9
                                        ; implicit-def: $sgpr21
.LBB513_14:
	s_add_i32 s21, s20, s15
	v_cmp_gt_u32_e32 vcc, s21, v0
                                        ; implicit-def: $vgpr2_vgpr3_vgpr4_vgpr5_vgpr6_vgpr7_vgpr8_vgpr9
	s_and_saveexec_b64 s[0:1], vcc
	s_cbranch_execnz .LBB513_49
; %bb.15:
	s_or_b64 exec, exec, s[0:1]
	v_cmp_gt_u32_e32 vcc, s21, v16
	s_and_saveexec_b64 s[2:3], vcc
	s_cbranch_execnz .LBB513_50
.LBB513_16:
	s_or_b64 exec, exec, s[2:3]
	v_cmp_gt_u32_e32 vcc, s21, v14
	s_and_saveexec_b64 s[0:1], vcc
	s_cbranch_execz .LBB513_18
.LBB513_17:
	v_mov_b32_e32 v15, 0
	s_waitcnt vmcnt(1)
	v_lshlrev_b64 v[6:7], 3, v[14:15]
	v_mov_b32_e32 v16, s7
	v_add_co_u32_e32 v17, vcc, s6, v6
	v_addc_co_u32_e32 v16, vcc, v16, v7, vcc
	v_subrev_u32_e32 v6, s15, v14
	v_mov_b32_e32 v7, v15
	v_lshlrev_b64 v[6:7], 3, v[6:7]
	v_mov_b32_e32 v15, s5
	v_add_co_u32_e32 v6, vcc, s4, v6
	v_addc_co_u32_e32 v7, vcc, v15, v7, vcc
	v_cmp_gt_u32_e32 vcc, s15, v14
	v_cndmask_b32_e32 v7, v7, v16, vcc
	v_cndmask_b32_e32 v6, v6, v17, vcc
	global_load_dwordx2 v[6:7], v[6:7], off
.LBB513_18:
	s_or_b64 exec, exec, s[0:1]
	v_add_u32_e32 v14, v14, v19
	v_cmp_gt_u32_e32 vcc, s21, v14
	s_and_saveexec_b64 s[2:3], vcc
	s_cbranch_execz .LBB513_20
; %bb.19:
	v_mov_b32_e32 v15, 0
	s_waitcnt vmcnt(0)
	v_lshlrev_b64 v[8:9], 3, v[14:15]
	v_mov_b32_e32 v16, s7
	v_add_co_u32_e32 v17, vcc, s6, v8
	v_addc_co_u32_e32 v16, vcc, v16, v9, vcc
	v_cmp_gt_u32_e32 vcc, s15, v14
	v_subrev_u32_e32 v14, s15, v14
	v_lshlrev_b64 v[8:9], 3, v[14:15]
	v_mov_b32_e32 v14, s5
	v_add_co_u32_e64 v8, s[0:1], s4, v8
	v_addc_co_u32_e64 v9, s[0:1], v14, v9, s[0:1]
	v_cndmask_b32_e32 v9, v9, v16, vcc
	v_cndmask_b32_e32 v8, v8, v17, vcc
	global_load_dwordx2 v[8:9], v[8:9], off
.LBB513_20:
	s_or_b64 exec, exec, s[2:3]
.LBB513_21:
	v_min_u32_e32 v15, s21, v1
	v_sub_u32_e64 v14, v15, s20 clamp
	v_min_u32_e32 v16, s15, v15
	v_cmp_lt_u32_e32 vcc, v14, v16
	s_waitcnt lgkmcnt(0)
	s_barrier
	s_and_saveexec_b64 s[0:1], vcc
	s_cbranch_execz .LBB513_25
; %bb.22:
	v_lshlrev_b32_e32 v17, 2, v15
	v_lshl_add_u32 v17, s15, 2, v17
	s_mov_b64 s[2:3], 0
.LBB513_23:                             ; =>This Inner Loop Header: Depth=1
	v_add_u32_e32 v19, v16, v14
	v_lshrrev_b32_e32 v19, 1, v19
	v_not_b32_e32 v20, v19
	v_lshlrev_b32_e32 v21, 2, v19
	v_lshl_add_u32 v20, v20, 2, v17
	ds_read_b32 v21, v21
	ds_read_b32 v20, v20
	v_add_u32_e32 v22, 1, v19
	s_waitcnt lgkmcnt(1)
	v_and_b32_e32 v21, s17, v21
	s_waitcnt lgkmcnt(0)
	v_and_b32_e32 v20, s17, v20
	v_cmp_gt_u32_e32 vcc, v21, v20
	v_cndmask_b32_e32 v16, v16, v19, vcc
	v_cndmask_b32_e32 v14, v22, v14, vcc
	v_cmp_ge_u32_e32 vcc, v14, v16
	s_or_b64 s[2:3], vcc, s[2:3]
	s_andn2_b64 exec, exec, s[2:3]
	s_cbranch_execnz .LBB513_23
; %bb.24:
	s_or_b64 exec, exec, s[2:3]
.LBB513_25:
	s_or_b64 exec, exec, s[0:1]
	v_sub_u32_e32 v15, v15, v14
	v_add_u32_e32 v20, s15, v15
	v_cmp_ge_u32_e32 vcc, s15, v14
	v_cmp_ge_u32_e64 s[0:1], s21, v20
	s_or_b64 s[0:1], vcc, s[0:1]
                                        ; implicit-def: $vgpr19
                                        ; implicit-def: $vgpr17
                                        ; implicit-def: $vgpr16
                                        ; implicit-def: $vgpr15
	s_and_saveexec_b64 s[10:11], s[0:1]
	s_cbranch_execz .LBB513_31
; %bb.26:
	v_cmp_gt_u32_e32 vcc, s15, v14
                                        ; implicit-def: $vgpr10
	s_and_saveexec_b64 s[0:1], vcc
	s_cbranch_execz .LBB513_28
; %bb.27:
	v_lshlrev_b32_e32 v10, 2, v14
	ds_read_b32 v10, v10
.LBB513_28:
	s_or_b64 exec, exec, s[0:1]
	v_cmp_le_u32_e64 s[0:1], s21, v20
	v_cmp_gt_u32_e64 s[2:3], s21, v20
                                        ; implicit-def: $vgpr11
	s_and_saveexec_b64 s[4:5], s[2:3]
	s_cbranch_execz .LBB513_30
; %bb.29:
	v_lshlrev_b32_e32 v11, 2, v20
	ds_read_b32 v11, v11
.LBB513_30:
	s_or_b64 exec, exec, s[4:5]
	s_waitcnt lgkmcnt(0)
	v_and_b32_e32 v12, s17, v11
	v_and_b32_e32 v13, s17, v10
	v_cmp_le_u32_e64 s[2:3], v13, v12
	s_and_b64 s[2:3], vcc, s[2:3]
	s_or_b64 vcc, s[0:1], s[2:3]
	v_mov_b32_e32 v12, s21
	v_mov_b32_e32 v13, s15
	v_cndmask_b32_e32 v15, v20, v14, vcc
	v_cndmask_b32_e32 v16, v12, v13, vcc
	v_add_u32_e32 v17, 1, v15
	v_add_u32_e32 v16, -1, v16
	v_min_u32_e32 v16, v17, v16
	v_lshlrev_b32_e32 v16, 2, v16
	ds_read_b32 v16, v16
	v_cndmask_b32_e32 v20, v17, v20, vcc
	v_cndmask_b32_e32 v14, v14, v17, vcc
	v_cmp_gt_u32_e64 s[2:3], s15, v14
	v_cmp_le_u32_e64 s[0:1], s21, v20
	s_waitcnt lgkmcnt(0)
	v_cndmask_b32_e32 v19, v16, v11, vcc
	v_cndmask_b32_e32 v21, v10, v16, vcc
	v_and_b32_e32 v16, s17, v19
	v_and_b32_e32 v17, s17, v21
	v_cmp_le_u32_e64 s[4:5], v17, v16
	s_and_b64 s[2:3], s[2:3], s[4:5]
	s_or_b64 s[0:1], s[0:1], s[2:3]
	v_cndmask_b32_e64 v16, v20, v14, s[0:1]
	v_cndmask_b32_e64 v17, v12, v13, s[0:1]
	v_add_u32_e32 v22, 1, v16
	v_add_u32_e32 v17, -1, v17
	v_min_u32_e32 v17, v22, v17
	v_lshlrev_b32_e32 v17, 2, v17
	ds_read_b32 v17, v17
	v_cndmask_b32_e64 v20, v22, v20, s[0:1]
	v_cndmask_b32_e64 v14, v14, v22, s[0:1]
	v_cmp_gt_u32_e64 s[4:5], s15, v14
	v_cmp_le_u32_e64 s[2:3], s21, v20
	s_waitcnt lgkmcnt(0)
	v_cndmask_b32_e64 v23, v17, v19, s[0:1]
	v_cndmask_b32_e64 v24, v21, v17, s[0:1]
	v_and_b32_e32 v17, s17, v23
	v_and_b32_e32 v22, s17, v24
	v_cmp_le_u32_e64 s[6:7], v22, v17
	s_and_b64 s[4:5], s[4:5], s[6:7]
	s_or_b64 s[2:3], s[2:3], s[4:5]
	v_cndmask_b32_e64 v17, v20, v14, s[2:3]
	v_cndmask_b32_e64 v12, v12, v13, s[2:3]
	v_add_u32_e32 v13, 1, v17
	v_add_u32_e32 v12, -1, v12
	v_min_u32_e32 v12, v13, v12
	v_lshlrev_b32_e32 v12, 2, v12
	ds_read_b32 v22, v12
	v_cndmask_b32_e32 v10, v11, v10, vcc
	v_cndmask_b32_e64 v11, v19, v21, s[0:1]
	v_cndmask_b32_e64 v19, v13, v20, s[2:3]
	;; [unrolled: 1-line block ×3, first 2 shown]
	s_waitcnt lgkmcnt(0)
	v_cndmask_b32_e64 v21, v22, v23, s[2:3]
	v_cndmask_b32_e64 v22, v24, v22, s[2:3]
	v_and_b32_e32 v14, s17, v21
	v_and_b32_e32 v20, s17, v22
	v_cndmask_b32_e64 v12, v23, v24, s[2:3]
	v_cmp_gt_u32_e64 s[0:1], s15, v13
	v_cmp_le_u32_e64 s[2:3], v20, v14
	v_cmp_le_u32_e32 vcc, s21, v19
	s_and_b64 s[0:1], s[0:1], s[2:3]
	s_or_b64 vcc, vcc, s[0:1]
	v_cndmask_b32_e32 v19, v19, v13, vcc
	v_cndmask_b32_e32 v13, v21, v22, vcc
.LBB513_31:
	s_or_b64 exec, exec, s[10:11]
	v_add_u32_e32 v24, v1, v1
	s_barrier
	s_waitcnt vmcnt(0)
	ds_write2st64_b64 v24, v[2:3], v[4:5] offset1:4
	ds_write2st64_b64 v24, v[6:7], v[8:9] offset0:8 offset1:12
	v_lshlrev_b32_e32 v2, 3, v15
	v_lshlrev_b32_e32 v3, 3, v16
	;; [unrolled: 1-line block ×4, first 2 shown]
	s_waitcnt lgkmcnt(0)
	s_barrier
	ds_read_b64 v[6:7], v2
	ds_read_b64 v[8:9], v3
	;; [unrolled: 1-line block ×4, first 2 shown]
	s_mov_b32 s17, 0
	s_lshl_b64 s[0:1], s[16:17], 2
	v_lshrrev_b32_e32 v14, 3, v0
	s_add_u32 s0, s8, s0
	v_add_u32_e32 v16, v14, v1
	s_addc_u32 s1, s9, s1
	v_lshlrev_b32_e32 v17, 2, v16
	s_waitcnt lgkmcnt(0)
	s_barrier
	s_barrier
	ds_write2_b32 v17, v10, v11 offset1:1
	ds_write2_b32 v17, v12, v13 offset0:2 offset1:3
	v_or_b32_e32 v23, 0x100, v0
	v_or_b32_e32 v22, 0x200, v0
	;; [unrolled: 1-line block ×3, first 2 shown]
	v_mov_b32_e32 v11, s1
	v_add_co_u32_e32 v10, vcc, s0, v1
	v_lshrrev_b32_e32 v14, 5, v0
	v_lshrrev_b32_e32 v12, 5, v23
	;; [unrolled: 1-line block ×4, first 2 shown]
	v_addc_co_u32_e32 v11, vcc, 0, v11, vcc
	v_lshl_add_u32 v15, v14, 2, v1
	v_lshl_add_u32 v25, v12, 2, v1
	;; [unrolled: 1-line block ×4, first 2 shown]
	s_and_b64 vcc, exec, s[18:19]
	v_lshl_add_u32 v1, v12, 3, v24
	v_lshl_add_u32 v19, v13, 3, v24
	;; [unrolled: 1-line block ×3, first 2 shown]
	s_waitcnt lgkmcnt(0)
	s_cbranch_vccz .LBB513_33
; %bb.32:
	s_barrier
	ds_read_b32 v12, v15
	ds_read_b32 v13, v25 offset:1024
	ds_read_b32 v28, v26 offset:2048
	;; [unrolled: 1-line block ×3, first 2 shown]
	s_lshl_b64 s[0:1], s[16:17], 3
	s_add_u32 s0, s12, s0
	s_waitcnt lgkmcnt(3)
	global_store_dword v[10:11], v12, off
	s_waitcnt lgkmcnt(2)
	global_store_dword v[10:11], v13, off offset:1024
	s_waitcnt lgkmcnt(1)
	global_store_dword v[10:11], v28, off offset:2048
	;; [unrolled: 2-line block ×3, first 2 shown]
	v_lshlrev_b32_e32 v12, 3, v16
	s_barrier
	ds_write2_b64 v12, v[6:7], v[8:9] offset1:1
	ds_write2_b64 v12, v[2:3], v[4:5] offset0:2 offset1:3
	v_lshl_add_u32 v12, v14, 3, v24
	s_addc_u32 s1, s13, s1
	s_waitcnt lgkmcnt(0)
	s_barrier
	ds_read_b64 v[28:29], v12
	ds_read_b64 v[30:31], v1 offset:2048
	ds_read_b64 v[32:33], v19 offset:4096
	;; [unrolled: 1-line block ×3, first 2 shown]
	v_mov_b32_e32 v24, s1
	v_add_co_u32_e32 v34, vcc, s0, v18
	v_addc_co_u32_e32 v24, vcc, 0, v24, vcc
	s_waitcnt lgkmcnt(3)
	global_store_dwordx2 v18, v[28:29], s[0:1]
	s_waitcnt lgkmcnt(2)
	global_store_dwordx2 v18, v[30:31], s[0:1] offset:2048
	v_add_co_u32_e32 v28, vcc, 0x1000, v34
	v_addc_co_u32_e32 v29, vcc, 0, v24, vcc
	s_waitcnt lgkmcnt(1)
	global_store_dwordx2 v[28:29], v[32:33], off
	s_mov_b64 s[6:7], -1
	s_cbranch_execz .LBB513_34
	s_branch .LBB513_44
.LBB513_33:
	s_mov_b64 s[6:7], 0
                                        ; implicit-def: $vgpr12_vgpr13
.LBB513_34:
	s_barrier
	s_waitcnt lgkmcnt(0)
	ds_read_b32 v24, v25 offset:1024
	ds_read_b32 v13, v26 offset:2048
	ds_read_b32 v12, v27 offset:3072
	s_sub_i32 s6, s14, s16
	v_cmp_gt_u32_e32 vcc, s6, v0
	s_and_saveexec_b64 s[0:1], vcc
	s_cbranch_execnz .LBB513_51
; %bb.35:
	s_or_b64 exec, exec, s[0:1]
	v_cmp_gt_u32_e64 s[0:1], s6, v23
	s_and_saveexec_b64 s[2:3], s[0:1]
	s_cbranch_execnz .LBB513_52
.LBB513_36:
	s_or_b64 exec, exec, s[2:3]
	v_cmp_gt_u32_e64 s[2:3], s6, v22
	s_and_saveexec_b64 s[4:5], s[2:3]
	s_cbranch_execnz .LBB513_53
.LBB513_37:
	s_or_b64 exec, exec, s[4:5]
	v_cmp_gt_u32_e64 s[6:7], s6, v21
	s_and_saveexec_b64 s[4:5], s[6:7]
	s_cbranch_execz .LBB513_39
.LBB513_38:
	s_waitcnt lgkmcnt(0)
	global_store_dword v[10:11], v12, off offset:3072
.LBB513_39:
	s_or_b64 exec, exec, s[4:5]
	v_lshl_add_u32 v10, v16, 2, v17
	s_waitcnt lgkmcnt(0)
	s_barrier
	ds_write2_b64 v10, v[6:7], v[8:9] offset1:1
	ds_write2_b64 v10, v[2:3], v[4:5] offset0:2 offset1:3
	s_waitcnt lgkmcnt(0)
	s_barrier
	ds_read_b64 v[6:7], v1 offset:2048
	ds_read_b64 v[2:3], v19 offset:4096
	;; [unrolled: 1-line block ×3, first 2 shown]
	s_lshl_b64 s[4:5], s[16:17], 3
	s_add_u32 s4, s12, s4
	s_addc_u32 s5, s13, s5
	v_mov_b32_e32 v1, s5
	v_add_co_u32_e64 v4, s[4:5], s4, v18
	v_addc_co_u32_e64 v5, s[4:5], 0, v1, s[4:5]
	s_and_saveexec_b64 s[4:5], vcc
	s_cbranch_execnz .LBB513_54
; %bb.40:
	s_or_b64 exec, exec, s[4:5]
	s_and_saveexec_b64 s[4:5], s[0:1]
	s_cbranch_execnz .LBB513_55
.LBB513_41:
	s_or_b64 exec, exec, s[4:5]
	s_and_saveexec_b64 s[0:1], s[2:3]
	s_cbranch_execz .LBB513_43
.LBB513_42:
	v_add_co_u32_e32 v0, vcc, 0x1000, v4
	v_addc_co_u32_e32 v1, vcc, 0, v5, vcc
	s_waitcnt lgkmcnt(1)
	global_store_dwordx2 v[0:1], v[2:3], off
.LBB513_43:
	s_or_b64 exec, exec, s[0:1]
.LBB513_44:
	s_and_saveexec_b64 s[0:1], s[6:7]
	s_cbranch_execz .LBB513_46
; %bb.45:
	s_lshl_b64 s[0:1], s[16:17], 3
	s_add_u32 s0, s12, s0
	s_addc_u32 s1, s13, s1
	v_mov_b32_e32 v0, s1
	v_add_co_u32_e32 v1, vcc, s0, v18
	s_waitcnt lgkmcnt(1)
	v_addc_co_u32_e32 v2, vcc, 0, v0, vcc
	v_add_co_u32_e32 v0, vcc, 0x1000, v1
	v_addc_co_u32_e32 v1, vcc, 0, v2, vcc
	s_waitcnt lgkmcnt(0)
	global_store_dwordx2 v[0:1], v[12:13], off offset:2048
.LBB513_46:
	s_endpgm
.LBB513_47:
	v_mov_b32_e32 v2, s25
	v_add_co_u32_e32 v4, vcc, s24, v1
	v_mov_b32_e32 v3, 0
	v_addc_co_u32_e32 v5, vcc, 0, v2, vcc
	v_subrev_u32_e32 v2, s15, v0
	v_lshlrev_b64 v[2:3], 2, v[2:3]
	v_mov_b32_e32 v6, s23
	v_add_co_u32_e32 v2, vcc, s21, v2
	v_addc_co_u32_e32 v3, vcc, v6, v3, vcc
	v_cmp_gt_u32_e32 vcc, s15, v0
	v_cndmask_b32_e32 v3, v3, v5, vcc
	v_cndmask_b32_e32 v2, v2, v4, vcc
	global_load_dword v10, v[2:3], off
	s_or_b64 exec, exec, s[0:1]
	v_cmp_gt_u32_e32 vcc, s6, v16
	s_and_saveexec_b64 s[0:1], vcc
	s_cbranch_execz .LBB513_6
.LBB513_48:
	v_mov_b32_e32 v17, 0
	v_lshlrev_b64 v[2:3], 2, v[16:17]
	v_mov_b32_e32 v4, s25
	v_add_co_u32_e32 v5, vcc, s24, v2
	v_addc_co_u32_e32 v4, vcc, v4, v3, vcc
	v_subrev_u32_e32 v2, s15, v16
	v_mov_b32_e32 v3, v17
	v_lshlrev_b64 v[2:3], 2, v[2:3]
	v_mov_b32_e32 v6, s23
	v_add_co_u32_e32 v2, vcc, s21, v2
	v_addc_co_u32_e32 v3, vcc, v6, v3, vcc
	v_cmp_gt_u32_e32 vcc, s15, v16
	v_cndmask_b32_e32 v3, v3, v4, vcc
	v_cndmask_b32_e32 v2, v2, v5, vcc
	global_load_dword v11, v[2:3], off
	s_or_b64 exec, exec, s[0:1]
	v_cmp_gt_u32_e32 vcc, s6, v14
	s_and_saveexec_b64 s[0:1], vcc
	s_cbranch_execnz .LBB513_7
	s_branch .LBB513_8
.LBB513_49:
	s_waitcnt vmcnt(3)
	v_mov_b32_e32 v2, s7
	s_waitcnt vmcnt(2)
	v_add_co_u32_e32 v4, vcc, s6, v18
	v_mov_b32_e32 v3, 0
	v_addc_co_u32_e32 v5, vcc, 0, v2, vcc
	v_subrev_u32_e32 v2, s15, v0
	v_lshlrev_b64 v[2:3], 3, v[2:3]
	s_waitcnt vmcnt(1)
	v_mov_b32_e32 v6, s5
	v_add_co_u32_e32 v2, vcc, s4, v2
	v_addc_co_u32_e32 v3, vcc, v6, v3, vcc
	v_cmp_gt_u32_e32 vcc, s15, v0
	v_cndmask_b32_e32 v3, v3, v5, vcc
	v_cndmask_b32_e32 v2, v2, v4, vcc
	global_load_dwordx2 v[2:3], v[2:3], off
	s_or_b64 exec, exec, s[0:1]
	v_cmp_gt_u32_e32 vcc, s21, v16
	s_and_saveexec_b64 s[2:3], vcc
	s_cbranch_execz .LBB513_16
.LBB513_50:
	v_mov_b32_e32 v17, 0
	s_waitcnt vmcnt(2)
	v_lshlrev_b64 v[4:5], 3, v[16:17]
	v_mov_b32_e32 v15, s7
	v_add_co_u32_e32 v20, vcc, s6, v4
	v_addc_co_u32_e32 v15, vcc, v15, v5, vcc
	v_cmp_gt_u32_e32 vcc, s15, v16
	v_subrev_u32_e32 v16, s15, v16
	v_lshlrev_b64 v[4:5], 3, v[16:17]
	v_mov_b32_e32 v16, s5
	v_add_co_u32_e64 v4, s[0:1], s4, v4
	v_addc_co_u32_e64 v5, s[0:1], v16, v5, s[0:1]
	v_cndmask_b32_e32 v5, v5, v15, vcc
	v_cndmask_b32_e32 v4, v4, v20, vcc
	global_load_dwordx2 v[4:5], v[4:5], off
	s_or_b64 exec, exec, s[2:3]
	v_cmp_gt_u32_e32 vcc, s21, v14
	s_and_saveexec_b64 s[0:1], vcc
	s_cbranch_execnz .LBB513_17
	s_branch .LBB513_18
.LBB513_51:
	ds_read_b32 v25, v15
	s_waitcnt lgkmcnt(0)
	global_store_dword v[10:11], v25, off
	s_or_b64 exec, exec, s[0:1]
	v_cmp_gt_u32_e64 s[0:1], s6, v23
	s_and_saveexec_b64 s[2:3], s[0:1]
	s_cbranch_execz .LBB513_36
.LBB513_52:
	s_waitcnt lgkmcnt(2)
	global_store_dword v[10:11], v24, off offset:1024
	s_or_b64 exec, exec, s[2:3]
	v_cmp_gt_u32_e64 s[2:3], s6, v22
	s_and_saveexec_b64 s[4:5], s[2:3]
	s_cbranch_execz .LBB513_37
.LBB513_53:
	s_waitcnt lgkmcnt(1)
	global_store_dword v[10:11], v13, off offset:2048
	s_or_b64 exec, exec, s[4:5]
	v_cmp_gt_u32_e64 s[6:7], s6, v21
	s_and_saveexec_b64 s[4:5], s[6:7]
	s_cbranch_execnz .LBB513_38
	s_branch .LBB513_39
.LBB513_54:
	v_add_u32_e32 v0, v14, v0
	v_lshl_add_u32 v0, v0, 2, v15
	ds_read_b64 v[0:1], v0
	s_waitcnt lgkmcnt(0)
	global_store_dwordx2 v[4:5], v[0:1], off
	s_or_b64 exec, exec, s[4:5]
	s_and_saveexec_b64 s[4:5], s[0:1]
	s_cbranch_execz .LBB513_41
.LBB513_55:
	s_waitcnt lgkmcnt(2)
	global_store_dwordx2 v[4:5], v[6:7], off offset:2048
	s_or_b64 exec, exec, s[4:5]
	s_and_saveexec_b64 s[0:1], s[2:3]
	s_cbranch_execnz .LBB513_42
	s_branch .LBB513_43
	.section	.rodata,"a",@progbits
	.p2align	6, 0x0
	.amdhsa_kernel _ZN7rocprim17ROCPRIM_400000_NS6detail17trampoline_kernelINS0_14default_configENS1_38merge_sort_block_merge_config_selectorIjyEEZZNS1_27merge_sort_block_merge_implIS3_PjPyjNS1_19radix_merge_compareILb0ELb1EjNS0_19identity_decomposerEEEEE10hipError_tT0_T1_T2_jT3_P12ihipStream_tbPNSt15iterator_traitsISD_E10value_typeEPNSJ_ISE_E10value_typeEPSF_NS1_7vsmem_tEENKUlT_SD_SE_SF_E_clIS7_S7_S8_S8_EESC_SS_SD_SE_SF_EUlSS_E0_NS1_11comp_targetILNS1_3genE4ELNS1_11target_archE910ELNS1_3gpuE8ELNS1_3repE0EEENS1_38merge_mergepath_config_static_selectorELNS0_4arch9wavefront6targetE1EEEvSE_
		.amdhsa_group_segment_fixed_size 8448
		.amdhsa_private_segment_fixed_size 0
		.amdhsa_kernarg_size 320
		.amdhsa_user_sgpr_count 6
		.amdhsa_user_sgpr_private_segment_buffer 1
		.amdhsa_user_sgpr_dispatch_ptr 0
		.amdhsa_user_sgpr_queue_ptr 0
		.amdhsa_user_sgpr_kernarg_segment_ptr 1
		.amdhsa_user_sgpr_dispatch_id 0
		.amdhsa_user_sgpr_flat_scratch_init 0
		.amdhsa_user_sgpr_kernarg_preload_length 0
		.amdhsa_user_sgpr_kernarg_preload_offset 0
		.amdhsa_user_sgpr_private_segment_size 0
		.amdhsa_uses_dynamic_stack 0
		.amdhsa_system_sgpr_private_segment_wavefront_offset 0
		.amdhsa_system_sgpr_workgroup_id_x 1
		.amdhsa_system_sgpr_workgroup_id_y 1
		.amdhsa_system_sgpr_workgroup_id_z 1
		.amdhsa_system_sgpr_workgroup_info 0
		.amdhsa_system_vgpr_workitem_id 0
		.amdhsa_next_free_vgpr 35
		.amdhsa_next_free_sgpr 32
		.amdhsa_accum_offset 36
		.amdhsa_reserve_vcc 1
		.amdhsa_reserve_flat_scratch 0
		.amdhsa_float_round_mode_32 0
		.amdhsa_float_round_mode_16_64 0
		.amdhsa_float_denorm_mode_32 3
		.amdhsa_float_denorm_mode_16_64 3
		.amdhsa_dx10_clamp 1
		.amdhsa_ieee_mode 1
		.amdhsa_fp16_overflow 0
		.amdhsa_tg_split 0
		.amdhsa_exception_fp_ieee_invalid_op 0
		.amdhsa_exception_fp_denorm_src 0
		.amdhsa_exception_fp_ieee_div_zero 0
		.amdhsa_exception_fp_ieee_overflow 0
		.amdhsa_exception_fp_ieee_underflow 0
		.amdhsa_exception_fp_ieee_inexact 0
		.amdhsa_exception_int_div_zero 0
	.end_amdhsa_kernel
	.section	.text._ZN7rocprim17ROCPRIM_400000_NS6detail17trampoline_kernelINS0_14default_configENS1_38merge_sort_block_merge_config_selectorIjyEEZZNS1_27merge_sort_block_merge_implIS3_PjPyjNS1_19radix_merge_compareILb0ELb1EjNS0_19identity_decomposerEEEEE10hipError_tT0_T1_T2_jT3_P12ihipStream_tbPNSt15iterator_traitsISD_E10value_typeEPNSJ_ISE_E10value_typeEPSF_NS1_7vsmem_tEENKUlT_SD_SE_SF_E_clIS7_S7_S8_S8_EESC_SS_SD_SE_SF_EUlSS_E0_NS1_11comp_targetILNS1_3genE4ELNS1_11target_archE910ELNS1_3gpuE8ELNS1_3repE0EEENS1_38merge_mergepath_config_static_selectorELNS0_4arch9wavefront6targetE1EEEvSE_,"axG",@progbits,_ZN7rocprim17ROCPRIM_400000_NS6detail17trampoline_kernelINS0_14default_configENS1_38merge_sort_block_merge_config_selectorIjyEEZZNS1_27merge_sort_block_merge_implIS3_PjPyjNS1_19radix_merge_compareILb0ELb1EjNS0_19identity_decomposerEEEEE10hipError_tT0_T1_T2_jT3_P12ihipStream_tbPNSt15iterator_traitsISD_E10value_typeEPNSJ_ISE_E10value_typeEPSF_NS1_7vsmem_tEENKUlT_SD_SE_SF_E_clIS7_S7_S8_S8_EESC_SS_SD_SE_SF_EUlSS_E0_NS1_11comp_targetILNS1_3genE4ELNS1_11target_archE910ELNS1_3gpuE8ELNS1_3repE0EEENS1_38merge_mergepath_config_static_selectorELNS0_4arch9wavefront6targetE1EEEvSE_,comdat
.Lfunc_end513:
	.size	_ZN7rocprim17ROCPRIM_400000_NS6detail17trampoline_kernelINS0_14default_configENS1_38merge_sort_block_merge_config_selectorIjyEEZZNS1_27merge_sort_block_merge_implIS3_PjPyjNS1_19radix_merge_compareILb0ELb1EjNS0_19identity_decomposerEEEEE10hipError_tT0_T1_T2_jT3_P12ihipStream_tbPNSt15iterator_traitsISD_E10value_typeEPNSJ_ISE_E10value_typeEPSF_NS1_7vsmem_tEENKUlT_SD_SE_SF_E_clIS7_S7_S8_S8_EESC_SS_SD_SE_SF_EUlSS_E0_NS1_11comp_targetILNS1_3genE4ELNS1_11target_archE910ELNS1_3gpuE8ELNS1_3repE0EEENS1_38merge_mergepath_config_static_selectorELNS0_4arch9wavefront6targetE1EEEvSE_, .Lfunc_end513-_ZN7rocprim17ROCPRIM_400000_NS6detail17trampoline_kernelINS0_14default_configENS1_38merge_sort_block_merge_config_selectorIjyEEZZNS1_27merge_sort_block_merge_implIS3_PjPyjNS1_19radix_merge_compareILb0ELb1EjNS0_19identity_decomposerEEEEE10hipError_tT0_T1_T2_jT3_P12ihipStream_tbPNSt15iterator_traitsISD_E10value_typeEPNSJ_ISE_E10value_typeEPSF_NS1_7vsmem_tEENKUlT_SD_SE_SF_E_clIS7_S7_S8_S8_EESC_SS_SD_SE_SF_EUlSS_E0_NS1_11comp_targetILNS1_3genE4ELNS1_11target_archE910ELNS1_3gpuE8ELNS1_3repE0EEENS1_38merge_mergepath_config_static_selectorELNS0_4arch9wavefront6targetE1EEEvSE_
                                        ; -- End function
	.section	.AMDGPU.csdata,"",@progbits
; Kernel info:
; codeLenInByte = 3380
; NumSgprs: 36
; NumVgprs: 35
; NumAgprs: 0
; TotalNumVgprs: 35
; ScratchSize: 0
; MemoryBound: 0
; FloatMode: 240
; IeeeMode: 1
; LDSByteSize: 8448 bytes/workgroup (compile time only)
; SGPRBlocks: 4
; VGPRBlocks: 4
; NumSGPRsForWavesPerEU: 36
; NumVGPRsForWavesPerEU: 35
; AccumOffset: 36
; Occupancy: 7
; WaveLimiterHint : 1
; COMPUTE_PGM_RSRC2:SCRATCH_EN: 0
; COMPUTE_PGM_RSRC2:USER_SGPR: 6
; COMPUTE_PGM_RSRC2:TRAP_HANDLER: 0
; COMPUTE_PGM_RSRC2:TGID_X_EN: 1
; COMPUTE_PGM_RSRC2:TGID_Y_EN: 1
; COMPUTE_PGM_RSRC2:TGID_Z_EN: 1
; COMPUTE_PGM_RSRC2:TIDIG_COMP_CNT: 0
; COMPUTE_PGM_RSRC3_GFX90A:ACCUM_OFFSET: 8
; COMPUTE_PGM_RSRC3_GFX90A:TG_SPLIT: 0
	.section	.text._ZN7rocprim17ROCPRIM_400000_NS6detail17trampoline_kernelINS0_14default_configENS1_38merge_sort_block_merge_config_selectorIjyEEZZNS1_27merge_sort_block_merge_implIS3_PjPyjNS1_19radix_merge_compareILb0ELb1EjNS0_19identity_decomposerEEEEE10hipError_tT0_T1_T2_jT3_P12ihipStream_tbPNSt15iterator_traitsISD_E10value_typeEPNSJ_ISE_E10value_typeEPSF_NS1_7vsmem_tEENKUlT_SD_SE_SF_E_clIS7_S7_S8_S8_EESC_SS_SD_SE_SF_EUlSS_E0_NS1_11comp_targetILNS1_3genE3ELNS1_11target_archE908ELNS1_3gpuE7ELNS1_3repE0EEENS1_38merge_mergepath_config_static_selectorELNS0_4arch9wavefront6targetE1EEEvSE_,"axG",@progbits,_ZN7rocprim17ROCPRIM_400000_NS6detail17trampoline_kernelINS0_14default_configENS1_38merge_sort_block_merge_config_selectorIjyEEZZNS1_27merge_sort_block_merge_implIS3_PjPyjNS1_19radix_merge_compareILb0ELb1EjNS0_19identity_decomposerEEEEE10hipError_tT0_T1_T2_jT3_P12ihipStream_tbPNSt15iterator_traitsISD_E10value_typeEPNSJ_ISE_E10value_typeEPSF_NS1_7vsmem_tEENKUlT_SD_SE_SF_E_clIS7_S7_S8_S8_EESC_SS_SD_SE_SF_EUlSS_E0_NS1_11comp_targetILNS1_3genE3ELNS1_11target_archE908ELNS1_3gpuE7ELNS1_3repE0EEENS1_38merge_mergepath_config_static_selectorELNS0_4arch9wavefront6targetE1EEEvSE_,comdat
	.protected	_ZN7rocprim17ROCPRIM_400000_NS6detail17trampoline_kernelINS0_14default_configENS1_38merge_sort_block_merge_config_selectorIjyEEZZNS1_27merge_sort_block_merge_implIS3_PjPyjNS1_19radix_merge_compareILb0ELb1EjNS0_19identity_decomposerEEEEE10hipError_tT0_T1_T2_jT3_P12ihipStream_tbPNSt15iterator_traitsISD_E10value_typeEPNSJ_ISE_E10value_typeEPSF_NS1_7vsmem_tEENKUlT_SD_SE_SF_E_clIS7_S7_S8_S8_EESC_SS_SD_SE_SF_EUlSS_E0_NS1_11comp_targetILNS1_3genE3ELNS1_11target_archE908ELNS1_3gpuE7ELNS1_3repE0EEENS1_38merge_mergepath_config_static_selectorELNS0_4arch9wavefront6targetE1EEEvSE_ ; -- Begin function _ZN7rocprim17ROCPRIM_400000_NS6detail17trampoline_kernelINS0_14default_configENS1_38merge_sort_block_merge_config_selectorIjyEEZZNS1_27merge_sort_block_merge_implIS3_PjPyjNS1_19radix_merge_compareILb0ELb1EjNS0_19identity_decomposerEEEEE10hipError_tT0_T1_T2_jT3_P12ihipStream_tbPNSt15iterator_traitsISD_E10value_typeEPNSJ_ISE_E10value_typeEPSF_NS1_7vsmem_tEENKUlT_SD_SE_SF_E_clIS7_S7_S8_S8_EESC_SS_SD_SE_SF_EUlSS_E0_NS1_11comp_targetILNS1_3genE3ELNS1_11target_archE908ELNS1_3gpuE7ELNS1_3repE0EEENS1_38merge_mergepath_config_static_selectorELNS0_4arch9wavefront6targetE1EEEvSE_
	.globl	_ZN7rocprim17ROCPRIM_400000_NS6detail17trampoline_kernelINS0_14default_configENS1_38merge_sort_block_merge_config_selectorIjyEEZZNS1_27merge_sort_block_merge_implIS3_PjPyjNS1_19radix_merge_compareILb0ELb1EjNS0_19identity_decomposerEEEEE10hipError_tT0_T1_T2_jT3_P12ihipStream_tbPNSt15iterator_traitsISD_E10value_typeEPNSJ_ISE_E10value_typeEPSF_NS1_7vsmem_tEENKUlT_SD_SE_SF_E_clIS7_S7_S8_S8_EESC_SS_SD_SE_SF_EUlSS_E0_NS1_11comp_targetILNS1_3genE3ELNS1_11target_archE908ELNS1_3gpuE7ELNS1_3repE0EEENS1_38merge_mergepath_config_static_selectorELNS0_4arch9wavefront6targetE1EEEvSE_
	.p2align	8
	.type	_ZN7rocprim17ROCPRIM_400000_NS6detail17trampoline_kernelINS0_14default_configENS1_38merge_sort_block_merge_config_selectorIjyEEZZNS1_27merge_sort_block_merge_implIS3_PjPyjNS1_19radix_merge_compareILb0ELb1EjNS0_19identity_decomposerEEEEE10hipError_tT0_T1_T2_jT3_P12ihipStream_tbPNSt15iterator_traitsISD_E10value_typeEPNSJ_ISE_E10value_typeEPSF_NS1_7vsmem_tEENKUlT_SD_SE_SF_E_clIS7_S7_S8_S8_EESC_SS_SD_SE_SF_EUlSS_E0_NS1_11comp_targetILNS1_3genE3ELNS1_11target_archE908ELNS1_3gpuE7ELNS1_3repE0EEENS1_38merge_mergepath_config_static_selectorELNS0_4arch9wavefront6targetE1EEEvSE_,@function
_ZN7rocprim17ROCPRIM_400000_NS6detail17trampoline_kernelINS0_14default_configENS1_38merge_sort_block_merge_config_selectorIjyEEZZNS1_27merge_sort_block_merge_implIS3_PjPyjNS1_19radix_merge_compareILb0ELb1EjNS0_19identity_decomposerEEEEE10hipError_tT0_T1_T2_jT3_P12ihipStream_tbPNSt15iterator_traitsISD_E10value_typeEPNSJ_ISE_E10value_typeEPSF_NS1_7vsmem_tEENKUlT_SD_SE_SF_E_clIS7_S7_S8_S8_EESC_SS_SD_SE_SF_EUlSS_E0_NS1_11comp_targetILNS1_3genE3ELNS1_11target_archE908ELNS1_3gpuE7ELNS1_3repE0EEENS1_38merge_mergepath_config_static_selectorELNS0_4arch9wavefront6targetE1EEEvSE_: ; @_ZN7rocprim17ROCPRIM_400000_NS6detail17trampoline_kernelINS0_14default_configENS1_38merge_sort_block_merge_config_selectorIjyEEZZNS1_27merge_sort_block_merge_implIS3_PjPyjNS1_19radix_merge_compareILb0ELb1EjNS0_19identity_decomposerEEEEE10hipError_tT0_T1_T2_jT3_P12ihipStream_tbPNSt15iterator_traitsISD_E10value_typeEPNSJ_ISE_E10value_typeEPSF_NS1_7vsmem_tEENKUlT_SD_SE_SF_E_clIS7_S7_S8_S8_EESC_SS_SD_SE_SF_EUlSS_E0_NS1_11comp_targetILNS1_3genE3ELNS1_11target_archE908ELNS1_3gpuE7ELNS1_3repE0EEENS1_38merge_mergepath_config_static_selectorELNS0_4arch9wavefront6targetE1EEEvSE_
; %bb.0:
	.section	.rodata,"a",@progbits
	.p2align	6, 0x0
	.amdhsa_kernel _ZN7rocprim17ROCPRIM_400000_NS6detail17trampoline_kernelINS0_14default_configENS1_38merge_sort_block_merge_config_selectorIjyEEZZNS1_27merge_sort_block_merge_implIS3_PjPyjNS1_19radix_merge_compareILb0ELb1EjNS0_19identity_decomposerEEEEE10hipError_tT0_T1_T2_jT3_P12ihipStream_tbPNSt15iterator_traitsISD_E10value_typeEPNSJ_ISE_E10value_typeEPSF_NS1_7vsmem_tEENKUlT_SD_SE_SF_E_clIS7_S7_S8_S8_EESC_SS_SD_SE_SF_EUlSS_E0_NS1_11comp_targetILNS1_3genE3ELNS1_11target_archE908ELNS1_3gpuE7ELNS1_3repE0EEENS1_38merge_mergepath_config_static_selectorELNS0_4arch9wavefront6targetE1EEEvSE_
		.amdhsa_group_segment_fixed_size 0
		.amdhsa_private_segment_fixed_size 0
		.amdhsa_kernarg_size 64
		.amdhsa_user_sgpr_count 6
		.amdhsa_user_sgpr_private_segment_buffer 1
		.amdhsa_user_sgpr_dispatch_ptr 0
		.amdhsa_user_sgpr_queue_ptr 0
		.amdhsa_user_sgpr_kernarg_segment_ptr 1
		.amdhsa_user_sgpr_dispatch_id 0
		.amdhsa_user_sgpr_flat_scratch_init 0
		.amdhsa_user_sgpr_kernarg_preload_length 0
		.amdhsa_user_sgpr_kernarg_preload_offset 0
		.amdhsa_user_sgpr_private_segment_size 0
		.amdhsa_uses_dynamic_stack 0
		.amdhsa_system_sgpr_private_segment_wavefront_offset 0
		.amdhsa_system_sgpr_workgroup_id_x 1
		.amdhsa_system_sgpr_workgroup_id_y 0
		.amdhsa_system_sgpr_workgroup_id_z 0
		.amdhsa_system_sgpr_workgroup_info 0
		.amdhsa_system_vgpr_workitem_id 0
		.amdhsa_next_free_vgpr 1
		.amdhsa_next_free_sgpr 0
		.amdhsa_accum_offset 4
		.amdhsa_reserve_vcc 0
		.amdhsa_reserve_flat_scratch 0
		.amdhsa_float_round_mode_32 0
		.amdhsa_float_round_mode_16_64 0
		.amdhsa_float_denorm_mode_32 3
		.amdhsa_float_denorm_mode_16_64 3
		.amdhsa_dx10_clamp 1
		.amdhsa_ieee_mode 1
		.amdhsa_fp16_overflow 0
		.amdhsa_tg_split 0
		.amdhsa_exception_fp_ieee_invalid_op 0
		.amdhsa_exception_fp_denorm_src 0
		.amdhsa_exception_fp_ieee_div_zero 0
		.amdhsa_exception_fp_ieee_overflow 0
		.amdhsa_exception_fp_ieee_underflow 0
		.amdhsa_exception_fp_ieee_inexact 0
		.amdhsa_exception_int_div_zero 0
	.end_amdhsa_kernel
	.section	.text._ZN7rocprim17ROCPRIM_400000_NS6detail17trampoline_kernelINS0_14default_configENS1_38merge_sort_block_merge_config_selectorIjyEEZZNS1_27merge_sort_block_merge_implIS3_PjPyjNS1_19radix_merge_compareILb0ELb1EjNS0_19identity_decomposerEEEEE10hipError_tT0_T1_T2_jT3_P12ihipStream_tbPNSt15iterator_traitsISD_E10value_typeEPNSJ_ISE_E10value_typeEPSF_NS1_7vsmem_tEENKUlT_SD_SE_SF_E_clIS7_S7_S8_S8_EESC_SS_SD_SE_SF_EUlSS_E0_NS1_11comp_targetILNS1_3genE3ELNS1_11target_archE908ELNS1_3gpuE7ELNS1_3repE0EEENS1_38merge_mergepath_config_static_selectorELNS0_4arch9wavefront6targetE1EEEvSE_,"axG",@progbits,_ZN7rocprim17ROCPRIM_400000_NS6detail17trampoline_kernelINS0_14default_configENS1_38merge_sort_block_merge_config_selectorIjyEEZZNS1_27merge_sort_block_merge_implIS3_PjPyjNS1_19radix_merge_compareILb0ELb1EjNS0_19identity_decomposerEEEEE10hipError_tT0_T1_T2_jT3_P12ihipStream_tbPNSt15iterator_traitsISD_E10value_typeEPNSJ_ISE_E10value_typeEPSF_NS1_7vsmem_tEENKUlT_SD_SE_SF_E_clIS7_S7_S8_S8_EESC_SS_SD_SE_SF_EUlSS_E0_NS1_11comp_targetILNS1_3genE3ELNS1_11target_archE908ELNS1_3gpuE7ELNS1_3repE0EEENS1_38merge_mergepath_config_static_selectorELNS0_4arch9wavefront6targetE1EEEvSE_,comdat
.Lfunc_end514:
	.size	_ZN7rocprim17ROCPRIM_400000_NS6detail17trampoline_kernelINS0_14default_configENS1_38merge_sort_block_merge_config_selectorIjyEEZZNS1_27merge_sort_block_merge_implIS3_PjPyjNS1_19radix_merge_compareILb0ELb1EjNS0_19identity_decomposerEEEEE10hipError_tT0_T1_T2_jT3_P12ihipStream_tbPNSt15iterator_traitsISD_E10value_typeEPNSJ_ISE_E10value_typeEPSF_NS1_7vsmem_tEENKUlT_SD_SE_SF_E_clIS7_S7_S8_S8_EESC_SS_SD_SE_SF_EUlSS_E0_NS1_11comp_targetILNS1_3genE3ELNS1_11target_archE908ELNS1_3gpuE7ELNS1_3repE0EEENS1_38merge_mergepath_config_static_selectorELNS0_4arch9wavefront6targetE1EEEvSE_, .Lfunc_end514-_ZN7rocprim17ROCPRIM_400000_NS6detail17trampoline_kernelINS0_14default_configENS1_38merge_sort_block_merge_config_selectorIjyEEZZNS1_27merge_sort_block_merge_implIS3_PjPyjNS1_19radix_merge_compareILb0ELb1EjNS0_19identity_decomposerEEEEE10hipError_tT0_T1_T2_jT3_P12ihipStream_tbPNSt15iterator_traitsISD_E10value_typeEPNSJ_ISE_E10value_typeEPSF_NS1_7vsmem_tEENKUlT_SD_SE_SF_E_clIS7_S7_S8_S8_EESC_SS_SD_SE_SF_EUlSS_E0_NS1_11comp_targetILNS1_3genE3ELNS1_11target_archE908ELNS1_3gpuE7ELNS1_3repE0EEENS1_38merge_mergepath_config_static_selectorELNS0_4arch9wavefront6targetE1EEEvSE_
                                        ; -- End function
	.section	.AMDGPU.csdata,"",@progbits
; Kernel info:
; codeLenInByte = 0
; NumSgprs: 4
; NumVgprs: 0
; NumAgprs: 0
; TotalNumVgprs: 0
; ScratchSize: 0
; MemoryBound: 0
; FloatMode: 240
; IeeeMode: 1
; LDSByteSize: 0 bytes/workgroup (compile time only)
; SGPRBlocks: 0
; VGPRBlocks: 0
; NumSGPRsForWavesPerEU: 4
; NumVGPRsForWavesPerEU: 1
; AccumOffset: 4
; Occupancy: 8
; WaveLimiterHint : 0
; COMPUTE_PGM_RSRC2:SCRATCH_EN: 0
; COMPUTE_PGM_RSRC2:USER_SGPR: 6
; COMPUTE_PGM_RSRC2:TRAP_HANDLER: 0
; COMPUTE_PGM_RSRC2:TGID_X_EN: 1
; COMPUTE_PGM_RSRC2:TGID_Y_EN: 0
; COMPUTE_PGM_RSRC2:TGID_Z_EN: 0
; COMPUTE_PGM_RSRC2:TIDIG_COMP_CNT: 0
; COMPUTE_PGM_RSRC3_GFX90A:ACCUM_OFFSET: 0
; COMPUTE_PGM_RSRC3_GFX90A:TG_SPLIT: 0
	.section	.text._ZN7rocprim17ROCPRIM_400000_NS6detail17trampoline_kernelINS0_14default_configENS1_38merge_sort_block_merge_config_selectorIjyEEZZNS1_27merge_sort_block_merge_implIS3_PjPyjNS1_19radix_merge_compareILb0ELb1EjNS0_19identity_decomposerEEEEE10hipError_tT0_T1_T2_jT3_P12ihipStream_tbPNSt15iterator_traitsISD_E10value_typeEPNSJ_ISE_E10value_typeEPSF_NS1_7vsmem_tEENKUlT_SD_SE_SF_E_clIS7_S7_S8_S8_EESC_SS_SD_SE_SF_EUlSS_E0_NS1_11comp_targetILNS1_3genE2ELNS1_11target_archE906ELNS1_3gpuE6ELNS1_3repE0EEENS1_38merge_mergepath_config_static_selectorELNS0_4arch9wavefront6targetE1EEEvSE_,"axG",@progbits,_ZN7rocprim17ROCPRIM_400000_NS6detail17trampoline_kernelINS0_14default_configENS1_38merge_sort_block_merge_config_selectorIjyEEZZNS1_27merge_sort_block_merge_implIS3_PjPyjNS1_19radix_merge_compareILb0ELb1EjNS0_19identity_decomposerEEEEE10hipError_tT0_T1_T2_jT3_P12ihipStream_tbPNSt15iterator_traitsISD_E10value_typeEPNSJ_ISE_E10value_typeEPSF_NS1_7vsmem_tEENKUlT_SD_SE_SF_E_clIS7_S7_S8_S8_EESC_SS_SD_SE_SF_EUlSS_E0_NS1_11comp_targetILNS1_3genE2ELNS1_11target_archE906ELNS1_3gpuE6ELNS1_3repE0EEENS1_38merge_mergepath_config_static_selectorELNS0_4arch9wavefront6targetE1EEEvSE_,comdat
	.protected	_ZN7rocprim17ROCPRIM_400000_NS6detail17trampoline_kernelINS0_14default_configENS1_38merge_sort_block_merge_config_selectorIjyEEZZNS1_27merge_sort_block_merge_implIS3_PjPyjNS1_19radix_merge_compareILb0ELb1EjNS0_19identity_decomposerEEEEE10hipError_tT0_T1_T2_jT3_P12ihipStream_tbPNSt15iterator_traitsISD_E10value_typeEPNSJ_ISE_E10value_typeEPSF_NS1_7vsmem_tEENKUlT_SD_SE_SF_E_clIS7_S7_S8_S8_EESC_SS_SD_SE_SF_EUlSS_E0_NS1_11comp_targetILNS1_3genE2ELNS1_11target_archE906ELNS1_3gpuE6ELNS1_3repE0EEENS1_38merge_mergepath_config_static_selectorELNS0_4arch9wavefront6targetE1EEEvSE_ ; -- Begin function _ZN7rocprim17ROCPRIM_400000_NS6detail17trampoline_kernelINS0_14default_configENS1_38merge_sort_block_merge_config_selectorIjyEEZZNS1_27merge_sort_block_merge_implIS3_PjPyjNS1_19radix_merge_compareILb0ELb1EjNS0_19identity_decomposerEEEEE10hipError_tT0_T1_T2_jT3_P12ihipStream_tbPNSt15iterator_traitsISD_E10value_typeEPNSJ_ISE_E10value_typeEPSF_NS1_7vsmem_tEENKUlT_SD_SE_SF_E_clIS7_S7_S8_S8_EESC_SS_SD_SE_SF_EUlSS_E0_NS1_11comp_targetILNS1_3genE2ELNS1_11target_archE906ELNS1_3gpuE6ELNS1_3repE0EEENS1_38merge_mergepath_config_static_selectorELNS0_4arch9wavefront6targetE1EEEvSE_
	.globl	_ZN7rocprim17ROCPRIM_400000_NS6detail17trampoline_kernelINS0_14default_configENS1_38merge_sort_block_merge_config_selectorIjyEEZZNS1_27merge_sort_block_merge_implIS3_PjPyjNS1_19radix_merge_compareILb0ELb1EjNS0_19identity_decomposerEEEEE10hipError_tT0_T1_T2_jT3_P12ihipStream_tbPNSt15iterator_traitsISD_E10value_typeEPNSJ_ISE_E10value_typeEPSF_NS1_7vsmem_tEENKUlT_SD_SE_SF_E_clIS7_S7_S8_S8_EESC_SS_SD_SE_SF_EUlSS_E0_NS1_11comp_targetILNS1_3genE2ELNS1_11target_archE906ELNS1_3gpuE6ELNS1_3repE0EEENS1_38merge_mergepath_config_static_selectorELNS0_4arch9wavefront6targetE1EEEvSE_
	.p2align	8
	.type	_ZN7rocprim17ROCPRIM_400000_NS6detail17trampoline_kernelINS0_14default_configENS1_38merge_sort_block_merge_config_selectorIjyEEZZNS1_27merge_sort_block_merge_implIS3_PjPyjNS1_19radix_merge_compareILb0ELb1EjNS0_19identity_decomposerEEEEE10hipError_tT0_T1_T2_jT3_P12ihipStream_tbPNSt15iterator_traitsISD_E10value_typeEPNSJ_ISE_E10value_typeEPSF_NS1_7vsmem_tEENKUlT_SD_SE_SF_E_clIS7_S7_S8_S8_EESC_SS_SD_SE_SF_EUlSS_E0_NS1_11comp_targetILNS1_3genE2ELNS1_11target_archE906ELNS1_3gpuE6ELNS1_3repE0EEENS1_38merge_mergepath_config_static_selectorELNS0_4arch9wavefront6targetE1EEEvSE_,@function
_ZN7rocprim17ROCPRIM_400000_NS6detail17trampoline_kernelINS0_14default_configENS1_38merge_sort_block_merge_config_selectorIjyEEZZNS1_27merge_sort_block_merge_implIS3_PjPyjNS1_19radix_merge_compareILb0ELb1EjNS0_19identity_decomposerEEEEE10hipError_tT0_T1_T2_jT3_P12ihipStream_tbPNSt15iterator_traitsISD_E10value_typeEPNSJ_ISE_E10value_typeEPSF_NS1_7vsmem_tEENKUlT_SD_SE_SF_E_clIS7_S7_S8_S8_EESC_SS_SD_SE_SF_EUlSS_E0_NS1_11comp_targetILNS1_3genE2ELNS1_11target_archE906ELNS1_3gpuE6ELNS1_3repE0EEENS1_38merge_mergepath_config_static_selectorELNS0_4arch9wavefront6targetE1EEEvSE_: ; @_ZN7rocprim17ROCPRIM_400000_NS6detail17trampoline_kernelINS0_14default_configENS1_38merge_sort_block_merge_config_selectorIjyEEZZNS1_27merge_sort_block_merge_implIS3_PjPyjNS1_19radix_merge_compareILb0ELb1EjNS0_19identity_decomposerEEEEE10hipError_tT0_T1_T2_jT3_P12ihipStream_tbPNSt15iterator_traitsISD_E10value_typeEPNSJ_ISE_E10value_typeEPSF_NS1_7vsmem_tEENKUlT_SD_SE_SF_E_clIS7_S7_S8_S8_EESC_SS_SD_SE_SF_EUlSS_E0_NS1_11comp_targetILNS1_3genE2ELNS1_11target_archE906ELNS1_3gpuE6ELNS1_3repE0EEENS1_38merge_mergepath_config_static_selectorELNS0_4arch9wavefront6targetE1EEEvSE_
; %bb.0:
	.section	.rodata,"a",@progbits
	.p2align	6, 0x0
	.amdhsa_kernel _ZN7rocprim17ROCPRIM_400000_NS6detail17trampoline_kernelINS0_14default_configENS1_38merge_sort_block_merge_config_selectorIjyEEZZNS1_27merge_sort_block_merge_implIS3_PjPyjNS1_19radix_merge_compareILb0ELb1EjNS0_19identity_decomposerEEEEE10hipError_tT0_T1_T2_jT3_P12ihipStream_tbPNSt15iterator_traitsISD_E10value_typeEPNSJ_ISE_E10value_typeEPSF_NS1_7vsmem_tEENKUlT_SD_SE_SF_E_clIS7_S7_S8_S8_EESC_SS_SD_SE_SF_EUlSS_E0_NS1_11comp_targetILNS1_3genE2ELNS1_11target_archE906ELNS1_3gpuE6ELNS1_3repE0EEENS1_38merge_mergepath_config_static_selectorELNS0_4arch9wavefront6targetE1EEEvSE_
		.amdhsa_group_segment_fixed_size 0
		.amdhsa_private_segment_fixed_size 0
		.amdhsa_kernarg_size 64
		.amdhsa_user_sgpr_count 6
		.amdhsa_user_sgpr_private_segment_buffer 1
		.amdhsa_user_sgpr_dispatch_ptr 0
		.amdhsa_user_sgpr_queue_ptr 0
		.amdhsa_user_sgpr_kernarg_segment_ptr 1
		.amdhsa_user_sgpr_dispatch_id 0
		.amdhsa_user_sgpr_flat_scratch_init 0
		.amdhsa_user_sgpr_kernarg_preload_length 0
		.amdhsa_user_sgpr_kernarg_preload_offset 0
		.amdhsa_user_sgpr_private_segment_size 0
		.amdhsa_uses_dynamic_stack 0
		.amdhsa_system_sgpr_private_segment_wavefront_offset 0
		.amdhsa_system_sgpr_workgroup_id_x 1
		.amdhsa_system_sgpr_workgroup_id_y 0
		.amdhsa_system_sgpr_workgroup_id_z 0
		.amdhsa_system_sgpr_workgroup_info 0
		.amdhsa_system_vgpr_workitem_id 0
		.amdhsa_next_free_vgpr 1
		.amdhsa_next_free_sgpr 0
		.amdhsa_accum_offset 4
		.amdhsa_reserve_vcc 0
		.amdhsa_reserve_flat_scratch 0
		.amdhsa_float_round_mode_32 0
		.amdhsa_float_round_mode_16_64 0
		.amdhsa_float_denorm_mode_32 3
		.amdhsa_float_denorm_mode_16_64 3
		.amdhsa_dx10_clamp 1
		.amdhsa_ieee_mode 1
		.amdhsa_fp16_overflow 0
		.amdhsa_tg_split 0
		.amdhsa_exception_fp_ieee_invalid_op 0
		.amdhsa_exception_fp_denorm_src 0
		.amdhsa_exception_fp_ieee_div_zero 0
		.amdhsa_exception_fp_ieee_overflow 0
		.amdhsa_exception_fp_ieee_underflow 0
		.amdhsa_exception_fp_ieee_inexact 0
		.amdhsa_exception_int_div_zero 0
	.end_amdhsa_kernel
	.section	.text._ZN7rocprim17ROCPRIM_400000_NS6detail17trampoline_kernelINS0_14default_configENS1_38merge_sort_block_merge_config_selectorIjyEEZZNS1_27merge_sort_block_merge_implIS3_PjPyjNS1_19radix_merge_compareILb0ELb1EjNS0_19identity_decomposerEEEEE10hipError_tT0_T1_T2_jT3_P12ihipStream_tbPNSt15iterator_traitsISD_E10value_typeEPNSJ_ISE_E10value_typeEPSF_NS1_7vsmem_tEENKUlT_SD_SE_SF_E_clIS7_S7_S8_S8_EESC_SS_SD_SE_SF_EUlSS_E0_NS1_11comp_targetILNS1_3genE2ELNS1_11target_archE906ELNS1_3gpuE6ELNS1_3repE0EEENS1_38merge_mergepath_config_static_selectorELNS0_4arch9wavefront6targetE1EEEvSE_,"axG",@progbits,_ZN7rocprim17ROCPRIM_400000_NS6detail17trampoline_kernelINS0_14default_configENS1_38merge_sort_block_merge_config_selectorIjyEEZZNS1_27merge_sort_block_merge_implIS3_PjPyjNS1_19radix_merge_compareILb0ELb1EjNS0_19identity_decomposerEEEEE10hipError_tT0_T1_T2_jT3_P12ihipStream_tbPNSt15iterator_traitsISD_E10value_typeEPNSJ_ISE_E10value_typeEPSF_NS1_7vsmem_tEENKUlT_SD_SE_SF_E_clIS7_S7_S8_S8_EESC_SS_SD_SE_SF_EUlSS_E0_NS1_11comp_targetILNS1_3genE2ELNS1_11target_archE906ELNS1_3gpuE6ELNS1_3repE0EEENS1_38merge_mergepath_config_static_selectorELNS0_4arch9wavefront6targetE1EEEvSE_,comdat
.Lfunc_end515:
	.size	_ZN7rocprim17ROCPRIM_400000_NS6detail17trampoline_kernelINS0_14default_configENS1_38merge_sort_block_merge_config_selectorIjyEEZZNS1_27merge_sort_block_merge_implIS3_PjPyjNS1_19radix_merge_compareILb0ELb1EjNS0_19identity_decomposerEEEEE10hipError_tT0_T1_T2_jT3_P12ihipStream_tbPNSt15iterator_traitsISD_E10value_typeEPNSJ_ISE_E10value_typeEPSF_NS1_7vsmem_tEENKUlT_SD_SE_SF_E_clIS7_S7_S8_S8_EESC_SS_SD_SE_SF_EUlSS_E0_NS1_11comp_targetILNS1_3genE2ELNS1_11target_archE906ELNS1_3gpuE6ELNS1_3repE0EEENS1_38merge_mergepath_config_static_selectorELNS0_4arch9wavefront6targetE1EEEvSE_, .Lfunc_end515-_ZN7rocprim17ROCPRIM_400000_NS6detail17trampoline_kernelINS0_14default_configENS1_38merge_sort_block_merge_config_selectorIjyEEZZNS1_27merge_sort_block_merge_implIS3_PjPyjNS1_19radix_merge_compareILb0ELb1EjNS0_19identity_decomposerEEEEE10hipError_tT0_T1_T2_jT3_P12ihipStream_tbPNSt15iterator_traitsISD_E10value_typeEPNSJ_ISE_E10value_typeEPSF_NS1_7vsmem_tEENKUlT_SD_SE_SF_E_clIS7_S7_S8_S8_EESC_SS_SD_SE_SF_EUlSS_E0_NS1_11comp_targetILNS1_3genE2ELNS1_11target_archE906ELNS1_3gpuE6ELNS1_3repE0EEENS1_38merge_mergepath_config_static_selectorELNS0_4arch9wavefront6targetE1EEEvSE_
                                        ; -- End function
	.section	.AMDGPU.csdata,"",@progbits
; Kernel info:
; codeLenInByte = 0
; NumSgprs: 4
; NumVgprs: 0
; NumAgprs: 0
; TotalNumVgprs: 0
; ScratchSize: 0
; MemoryBound: 0
; FloatMode: 240
; IeeeMode: 1
; LDSByteSize: 0 bytes/workgroup (compile time only)
; SGPRBlocks: 0
; VGPRBlocks: 0
; NumSGPRsForWavesPerEU: 4
; NumVGPRsForWavesPerEU: 1
; AccumOffset: 4
; Occupancy: 8
; WaveLimiterHint : 0
; COMPUTE_PGM_RSRC2:SCRATCH_EN: 0
; COMPUTE_PGM_RSRC2:USER_SGPR: 6
; COMPUTE_PGM_RSRC2:TRAP_HANDLER: 0
; COMPUTE_PGM_RSRC2:TGID_X_EN: 1
; COMPUTE_PGM_RSRC2:TGID_Y_EN: 0
; COMPUTE_PGM_RSRC2:TGID_Z_EN: 0
; COMPUTE_PGM_RSRC2:TIDIG_COMP_CNT: 0
; COMPUTE_PGM_RSRC3_GFX90A:ACCUM_OFFSET: 0
; COMPUTE_PGM_RSRC3_GFX90A:TG_SPLIT: 0
	.section	.text._ZN7rocprim17ROCPRIM_400000_NS6detail17trampoline_kernelINS0_14default_configENS1_38merge_sort_block_merge_config_selectorIjyEEZZNS1_27merge_sort_block_merge_implIS3_PjPyjNS1_19radix_merge_compareILb0ELb1EjNS0_19identity_decomposerEEEEE10hipError_tT0_T1_T2_jT3_P12ihipStream_tbPNSt15iterator_traitsISD_E10value_typeEPNSJ_ISE_E10value_typeEPSF_NS1_7vsmem_tEENKUlT_SD_SE_SF_E_clIS7_S7_S8_S8_EESC_SS_SD_SE_SF_EUlSS_E0_NS1_11comp_targetILNS1_3genE9ELNS1_11target_archE1100ELNS1_3gpuE3ELNS1_3repE0EEENS1_38merge_mergepath_config_static_selectorELNS0_4arch9wavefront6targetE1EEEvSE_,"axG",@progbits,_ZN7rocprim17ROCPRIM_400000_NS6detail17trampoline_kernelINS0_14default_configENS1_38merge_sort_block_merge_config_selectorIjyEEZZNS1_27merge_sort_block_merge_implIS3_PjPyjNS1_19radix_merge_compareILb0ELb1EjNS0_19identity_decomposerEEEEE10hipError_tT0_T1_T2_jT3_P12ihipStream_tbPNSt15iterator_traitsISD_E10value_typeEPNSJ_ISE_E10value_typeEPSF_NS1_7vsmem_tEENKUlT_SD_SE_SF_E_clIS7_S7_S8_S8_EESC_SS_SD_SE_SF_EUlSS_E0_NS1_11comp_targetILNS1_3genE9ELNS1_11target_archE1100ELNS1_3gpuE3ELNS1_3repE0EEENS1_38merge_mergepath_config_static_selectorELNS0_4arch9wavefront6targetE1EEEvSE_,comdat
	.protected	_ZN7rocprim17ROCPRIM_400000_NS6detail17trampoline_kernelINS0_14default_configENS1_38merge_sort_block_merge_config_selectorIjyEEZZNS1_27merge_sort_block_merge_implIS3_PjPyjNS1_19radix_merge_compareILb0ELb1EjNS0_19identity_decomposerEEEEE10hipError_tT0_T1_T2_jT3_P12ihipStream_tbPNSt15iterator_traitsISD_E10value_typeEPNSJ_ISE_E10value_typeEPSF_NS1_7vsmem_tEENKUlT_SD_SE_SF_E_clIS7_S7_S8_S8_EESC_SS_SD_SE_SF_EUlSS_E0_NS1_11comp_targetILNS1_3genE9ELNS1_11target_archE1100ELNS1_3gpuE3ELNS1_3repE0EEENS1_38merge_mergepath_config_static_selectorELNS0_4arch9wavefront6targetE1EEEvSE_ ; -- Begin function _ZN7rocprim17ROCPRIM_400000_NS6detail17trampoline_kernelINS0_14default_configENS1_38merge_sort_block_merge_config_selectorIjyEEZZNS1_27merge_sort_block_merge_implIS3_PjPyjNS1_19radix_merge_compareILb0ELb1EjNS0_19identity_decomposerEEEEE10hipError_tT0_T1_T2_jT3_P12ihipStream_tbPNSt15iterator_traitsISD_E10value_typeEPNSJ_ISE_E10value_typeEPSF_NS1_7vsmem_tEENKUlT_SD_SE_SF_E_clIS7_S7_S8_S8_EESC_SS_SD_SE_SF_EUlSS_E0_NS1_11comp_targetILNS1_3genE9ELNS1_11target_archE1100ELNS1_3gpuE3ELNS1_3repE0EEENS1_38merge_mergepath_config_static_selectorELNS0_4arch9wavefront6targetE1EEEvSE_
	.globl	_ZN7rocprim17ROCPRIM_400000_NS6detail17trampoline_kernelINS0_14default_configENS1_38merge_sort_block_merge_config_selectorIjyEEZZNS1_27merge_sort_block_merge_implIS3_PjPyjNS1_19radix_merge_compareILb0ELb1EjNS0_19identity_decomposerEEEEE10hipError_tT0_T1_T2_jT3_P12ihipStream_tbPNSt15iterator_traitsISD_E10value_typeEPNSJ_ISE_E10value_typeEPSF_NS1_7vsmem_tEENKUlT_SD_SE_SF_E_clIS7_S7_S8_S8_EESC_SS_SD_SE_SF_EUlSS_E0_NS1_11comp_targetILNS1_3genE9ELNS1_11target_archE1100ELNS1_3gpuE3ELNS1_3repE0EEENS1_38merge_mergepath_config_static_selectorELNS0_4arch9wavefront6targetE1EEEvSE_
	.p2align	8
	.type	_ZN7rocprim17ROCPRIM_400000_NS6detail17trampoline_kernelINS0_14default_configENS1_38merge_sort_block_merge_config_selectorIjyEEZZNS1_27merge_sort_block_merge_implIS3_PjPyjNS1_19radix_merge_compareILb0ELb1EjNS0_19identity_decomposerEEEEE10hipError_tT0_T1_T2_jT3_P12ihipStream_tbPNSt15iterator_traitsISD_E10value_typeEPNSJ_ISE_E10value_typeEPSF_NS1_7vsmem_tEENKUlT_SD_SE_SF_E_clIS7_S7_S8_S8_EESC_SS_SD_SE_SF_EUlSS_E0_NS1_11comp_targetILNS1_3genE9ELNS1_11target_archE1100ELNS1_3gpuE3ELNS1_3repE0EEENS1_38merge_mergepath_config_static_selectorELNS0_4arch9wavefront6targetE1EEEvSE_,@function
_ZN7rocprim17ROCPRIM_400000_NS6detail17trampoline_kernelINS0_14default_configENS1_38merge_sort_block_merge_config_selectorIjyEEZZNS1_27merge_sort_block_merge_implIS3_PjPyjNS1_19radix_merge_compareILb0ELb1EjNS0_19identity_decomposerEEEEE10hipError_tT0_T1_T2_jT3_P12ihipStream_tbPNSt15iterator_traitsISD_E10value_typeEPNSJ_ISE_E10value_typeEPSF_NS1_7vsmem_tEENKUlT_SD_SE_SF_E_clIS7_S7_S8_S8_EESC_SS_SD_SE_SF_EUlSS_E0_NS1_11comp_targetILNS1_3genE9ELNS1_11target_archE1100ELNS1_3gpuE3ELNS1_3repE0EEENS1_38merge_mergepath_config_static_selectorELNS0_4arch9wavefront6targetE1EEEvSE_: ; @_ZN7rocprim17ROCPRIM_400000_NS6detail17trampoline_kernelINS0_14default_configENS1_38merge_sort_block_merge_config_selectorIjyEEZZNS1_27merge_sort_block_merge_implIS3_PjPyjNS1_19radix_merge_compareILb0ELb1EjNS0_19identity_decomposerEEEEE10hipError_tT0_T1_T2_jT3_P12ihipStream_tbPNSt15iterator_traitsISD_E10value_typeEPNSJ_ISE_E10value_typeEPSF_NS1_7vsmem_tEENKUlT_SD_SE_SF_E_clIS7_S7_S8_S8_EESC_SS_SD_SE_SF_EUlSS_E0_NS1_11comp_targetILNS1_3genE9ELNS1_11target_archE1100ELNS1_3gpuE3ELNS1_3repE0EEENS1_38merge_mergepath_config_static_selectorELNS0_4arch9wavefront6targetE1EEEvSE_
; %bb.0:
	.section	.rodata,"a",@progbits
	.p2align	6, 0x0
	.amdhsa_kernel _ZN7rocprim17ROCPRIM_400000_NS6detail17trampoline_kernelINS0_14default_configENS1_38merge_sort_block_merge_config_selectorIjyEEZZNS1_27merge_sort_block_merge_implIS3_PjPyjNS1_19radix_merge_compareILb0ELb1EjNS0_19identity_decomposerEEEEE10hipError_tT0_T1_T2_jT3_P12ihipStream_tbPNSt15iterator_traitsISD_E10value_typeEPNSJ_ISE_E10value_typeEPSF_NS1_7vsmem_tEENKUlT_SD_SE_SF_E_clIS7_S7_S8_S8_EESC_SS_SD_SE_SF_EUlSS_E0_NS1_11comp_targetILNS1_3genE9ELNS1_11target_archE1100ELNS1_3gpuE3ELNS1_3repE0EEENS1_38merge_mergepath_config_static_selectorELNS0_4arch9wavefront6targetE1EEEvSE_
		.amdhsa_group_segment_fixed_size 0
		.amdhsa_private_segment_fixed_size 0
		.amdhsa_kernarg_size 64
		.amdhsa_user_sgpr_count 6
		.amdhsa_user_sgpr_private_segment_buffer 1
		.amdhsa_user_sgpr_dispatch_ptr 0
		.amdhsa_user_sgpr_queue_ptr 0
		.amdhsa_user_sgpr_kernarg_segment_ptr 1
		.amdhsa_user_sgpr_dispatch_id 0
		.amdhsa_user_sgpr_flat_scratch_init 0
		.amdhsa_user_sgpr_kernarg_preload_length 0
		.amdhsa_user_sgpr_kernarg_preload_offset 0
		.amdhsa_user_sgpr_private_segment_size 0
		.amdhsa_uses_dynamic_stack 0
		.amdhsa_system_sgpr_private_segment_wavefront_offset 0
		.amdhsa_system_sgpr_workgroup_id_x 1
		.amdhsa_system_sgpr_workgroup_id_y 0
		.amdhsa_system_sgpr_workgroup_id_z 0
		.amdhsa_system_sgpr_workgroup_info 0
		.amdhsa_system_vgpr_workitem_id 0
		.amdhsa_next_free_vgpr 1
		.amdhsa_next_free_sgpr 0
		.amdhsa_accum_offset 4
		.amdhsa_reserve_vcc 0
		.amdhsa_reserve_flat_scratch 0
		.amdhsa_float_round_mode_32 0
		.amdhsa_float_round_mode_16_64 0
		.amdhsa_float_denorm_mode_32 3
		.amdhsa_float_denorm_mode_16_64 3
		.amdhsa_dx10_clamp 1
		.amdhsa_ieee_mode 1
		.amdhsa_fp16_overflow 0
		.amdhsa_tg_split 0
		.amdhsa_exception_fp_ieee_invalid_op 0
		.amdhsa_exception_fp_denorm_src 0
		.amdhsa_exception_fp_ieee_div_zero 0
		.amdhsa_exception_fp_ieee_overflow 0
		.amdhsa_exception_fp_ieee_underflow 0
		.amdhsa_exception_fp_ieee_inexact 0
		.amdhsa_exception_int_div_zero 0
	.end_amdhsa_kernel
	.section	.text._ZN7rocprim17ROCPRIM_400000_NS6detail17trampoline_kernelINS0_14default_configENS1_38merge_sort_block_merge_config_selectorIjyEEZZNS1_27merge_sort_block_merge_implIS3_PjPyjNS1_19radix_merge_compareILb0ELb1EjNS0_19identity_decomposerEEEEE10hipError_tT0_T1_T2_jT3_P12ihipStream_tbPNSt15iterator_traitsISD_E10value_typeEPNSJ_ISE_E10value_typeEPSF_NS1_7vsmem_tEENKUlT_SD_SE_SF_E_clIS7_S7_S8_S8_EESC_SS_SD_SE_SF_EUlSS_E0_NS1_11comp_targetILNS1_3genE9ELNS1_11target_archE1100ELNS1_3gpuE3ELNS1_3repE0EEENS1_38merge_mergepath_config_static_selectorELNS0_4arch9wavefront6targetE1EEEvSE_,"axG",@progbits,_ZN7rocprim17ROCPRIM_400000_NS6detail17trampoline_kernelINS0_14default_configENS1_38merge_sort_block_merge_config_selectorIjyEEZZNS1_27merge_sort_block_merge_implIS3_PjPyjNS1_19radix_merge_compareILb0ELb1EjNS0_19identity_decomposerEEEEE10hipError_tT0_T1_T2_jT3_P12ihipStream_tbPNSt15iterator_traitsISD_E10value_typeEPNSJ_ISE_E10value_typeEPSF_NS1_7vsmem_tEENKUlT_SD_SE_SF_E_clIS7_S7_S8_S8_EESC_SS_SD_SE_SF_EUlSS_E0_NS1_11comp_targetILNS1_3genE9ELNS1_11target_archE1100ELNS1_3gpuE3ELNS1_3repE0EEENS1_38merge_mergepath_config_static_selectorELNS0_4arch9wavefront6targetE1EEEvSE_,comdat
.Lfunc_end516:
	.size	_ZN7rocprim17ROCPRIM_400000_NS6detail17trampoline_kernelINS0_14default_configENS1_38merge_sort_block_merge_config_selectorIjyEEZZNS1_27merge_sort_block_merge_implIS3_PjPyjNS1_19radix_merge_compareILb0ELb1EjNS0_19identity_decomposerEEEEE10hipError_tT0_T1_T2_jT3_P12ihipStream_tbPNSt15iterator_traitsISD_E10value_typeEPNSJ_ISE_E10value_typeEPSF_NS1_7vsmem_tEENKUlT_SD_SE_SF_E_clIS7_S7_S8_S8_EESC_SS_SD_SE_SF_EUlSS_E0_NS1_11comp_targetILNS1_3genE9ELNS1_11target_archE1100ELNS1_3gpuE3ELNS1_3repE0EEENS1_38merge_mergepath_config_static_selectorELNS0_4arch9wavefront6targetE1EEEvSE_, .Lfunc_end516-_ZN7rocprim17ROCPRIM_400000_NS6detail17trampoline_kernelINS0_14default_configENS1_38merge_sort_block_merge_config_selectorIjyEEZZNS1_27merge_sort_block_merge_implIS3_PjPyjNS1_19radix_merge_compareILb0ELb1EjNS0_19identity_decomposerEEEEE10hipError_tT0_T1_T2_jT3_P12ihipStream_tbPNSt15iterator_traitsISD_E10value_typeEPNSJ_ISE_E10value_typeEPSF_NS1_7vsmem_tEENKUlT_SD_SE_SF_E_clIS7_S7_S8_S8_EESC_SS_SD_SE_SF_EUlSS_E0_NS1_11comp_targetILNS1_3genE9ELNS1_11target_archE1100ELNS1_3gpuE3ELNS1_3repE0EEENS1_38merge_mergepath_config_static_selectorELNS0_4arch9wavefront6targetE1EEEvSE_
                                        ; -- End function
	.section	.AMDGPU.csdata,"",@progbits
; Kernel info:
; codeLenInByte = 0
; NumSgprs: 4
; NumVgprs: 0
; NumAgprs: 0
; TotalNumVgprs: 0
; ScratchSize: 0
; MemoryBound: 0
; FloatMode: 240
; IeeeMode: 1
; LDSByteSize: 0 bytes/workgroup (compile time only)
; SGPRBlocks: 0
; VGPRBlocks: 0
; NumSGPRsForWavesPerEU: 4
; NumVGPRsForWavesPerEU: 1
; AccumOffset: 4
; Occupancy: 8
; WaveLimiterHint : 0
; COMPUTE_PGM_RSRC2:SCRATCH_EN: 0
; COMPUTE_PGM_RSRC2:USER_SGPR: 6
; COMPUTE_PGM_RSRC2:TRAP_HANDLER: 0
; COMPUTE_PGM_RSRC2:TGID_X_EN: 1
; COMPUTE_PGM_RSRC2:TGID_Y_EN: 0
; COMPUTE_PGM_RSRC2:TGID_Z_EN: 0
; COMPUTE_PGM_RSRC2:TIDIG_COMP_CNT: 0
; COMPUTE_PGM_RSRC3_GFX90A:ACCUM_OFFSET: 0
; COMPUTE_PGM_RSRC3_GFX90A:TG_SPLIT: 0
	.section	.text._ZN7rocprim17ROCPRIM_400000_NS6detail17trampoline_kernelINS0_14default_configENS1_38merge_sort_block_merge_config_selectorIjyEEZZNS1_27merge_sort_block_merge_implIS3_PjPyjNS1_19radix_merge_compareILb0ELb1EjNS0_19identity_decomposerEEEEE10hipError_tT0_T1_T2_jT3_P12ihipStream_tbPNSt15iterator_traitsISD_E10value_typeEPNSJ_ISE_E10value_typeEPSF_NS1_7vsmem_tEENKUlT_SD_SE_SF_E_clIS7_S7_S8_S8_EESC_SS_SD_SE_SF_EUlSS_E0_NS1_11comp_targetILNS1_3genE8ELNS1_11target_archE1030ELNS1_3gpuE2ELNS1_3repE0EEENS1_38merge_mergepath_config_static_selectorELNS0_4arch9wavefront6targetE1EEEvSE_,"axG",@progbits,_ZN7rocprim17ROCPRIM_400000_NS6detail17trampoline_kernelINS0_14default_configENS1_38merge_sort_block_merge_config_selectorIjyEEZZNS1_27merge_sort_block_merge_implIS3_PjPyjNS1_19radix_merge_compareILb0ELb1EjNS0_19identity_decomposerEEEEE10hipError_tT0_T1_T2_jT3_P12ihipStream_tbPNSt15iterator_traitsISD_E10value_typeEPNSJ_ISE_E10value_typeEPSF_NS1_7vsmem_tEENKUlT_SD_SE_SF_E_clIS7_S7_S8_S8_EESC_SS_SD_SE_SF_EUlSS_E0_NS1_11comp_targetILNS1_3genE8ELNS1_11target_archE1030ELNS1_3gpuE2ELNS1_3repE0EEENS1_38merge_mergepath_config_static_selectorELNS0_4arch9wavefront6targetE1EEEvSE_,comdat
	.protected	_ZN7rocprim17ROCPRIM_400000_NS6detail17trampoline_kernelINS0_14default_configENS1_38merge_sort_block_merge_config_selectorIjyEEZZNS1_27merge_sort_block_merge_implIS3_PjPyjNS1_19radix_merge_compareILb0ELb1EjNS0_19identity_decomposerEEEEE10hipError_tT0_T1_T2_jT3_P12ihipStream_tbPNSt15iterator_traitsISD_E10value_typeEPNSJ_ISE_E10value_typeEPSF_NS1_7vsmem_tEENKUlT_SD_SE_SF_E_clIS7_S7_S8_S8_EESC_SS_SD_SE_SF_EUlSS_E0_NS1_11comp_targetILNS1_3genE8ELNS1_11target_archE1030ELNS1_3gpuE2ELNS1_3repE0EEENS1_38merge_mergepath_config_static_selectorELNS0_4arch9wavefront6targetE1EEEvSE_ ; -- Begin function _ZN7rocprim17ROCPRIM_400000_NS6detail17trampoline_kernelINS0_14default_configENS1_38merge_sort_block_merge_config_selectorIjyEEZZNS1_27merge_sort_block_merge_implIS3_PjPyjNS1_19radix_merge_compareILb0ELb1EjNS0_19identity_decomposerEEEEE10hipError_tT0_T1_T2_jT3_P12ihipStream_tbPNSt15iterator_traitsISD_E10value_typeEPNSJ_ISE_E10value_typeEPSF_NS1_7vsmem_tEENKUlT_SD_SE_SF_E_clIS7_S7_S8_S8_EESC_SS_SD_SE_SF_EUlSS_E0_NS1_11comp_targetILNS1_3genE8ELNS1_11target_archE1030ELNS1_3gpuE2ELNS1_3repE0EEENS1_38merge_mergepath_config_static_selectorELNS0_4arch9wavefront6targetE1EEEvSE_
	.globl	_ZN7rocprim17ROCPRIM_400000_NS6detail17trampoline_kernelINS0_14default_configENS1_38merge_sort_block_merge_config_selectorIjyEEZZNS1_27merge_sort_block_merge_implIS3_PjPyjNS1_19radix_merge_compareILb0ELb1EjNS0_19identity_decomposerEEEEE10hipError_tT0_T1_T2_jT3_P12ihipStream_tbPNSt15iterator_traitsISD_E10value_typeEPNSJ_ISE_E10value_typeEPSF_NS1_7vsmem_tEENKUlT_SD_SE_SF_E_clIS7_S7_S8_S8_EESC_SS_SD_SE_SF_EUlSS_E0_NS1_11comp_targetILNS1_3genE8ELNS1_11target_archE1030ELNS1_3gpuE2ELNS1_3repE0EEENS1_38merge_mergepath_config_static_selectorELNS0_4arch9wavefront6targetE1EEEvSE_
	.p2align	8
	.type	_ZN7rocprim17ROCPRIM_400000_NS6detail17trampoline_kernelINS0_14default_configENS1_38merge_sort_block_merge_config_selectorIjyEEZZNS1_27merge_sort_block_merge_implIS3_PjPyjNS1_19radix_merge_compareILb0ELb1EjNS0_19identity_decomposerEEEEE10hipError_tT0_T1_T2_jT3_P12ihipStream_tbPNSt15iterator_traitsISD_E10value_typeEPNSJ_ISE_E10value_typeEPSF_NS1_7vsmem_tEENKUlT_SD_SE_SF_E_clIS7_S7_S8_S8_EESC_SS_SD_SE_SF_EUlSS_E0_NS1_11comp_targetILNS1_3genE8ELNS1_11target_archE1030ELNS1_3gpuE2ELNS1_3repE0EEENS1_38merge_mergepath_config_static_selectorELNS0_4arch9wavefront6targetE1EEEvSE_,@function
_ZN7rocprim17ROCPRIM_400000_NS6detail17trampoline_kernelINS0_14default_configENS1_38merge_sort_block_merge_config_selectorIjyEEZZNS1_27merge_sort_block_merge_implIS3_PjPyjNS1_19radix_merge_compareILb0ELb1EjNS0_19identity_decomposerEEEEE10hipError_tT0_T1_T2_jT3_P12ihipStream_tbPNSt15iterator_traitsISD_E10value_typeEPNSJ_ISE_E10value_typeEPSF_NS1_7vsmem_tEENKUlT_SD_SE_SF_E_clIS7_S7_S8_S8_EESC_SS_SD_SE_SF_EUlSS_E0_NS1_11comp_targetILNS1_3genE8ELNS1_11target_archE1030ELNS1_3gpuE2ELNS1_3repE0EEENS1_38merge_mergepath_config_static_selectorELNS0_4arch9wavefront6targetE1EEEvSE_: ; @_ZN7rocprim17ROCPRIM_400000_NS6detail17trampoline_kernelINS0_14default_configENS1_38merge_sort_block_merge_config_selectorIjyEEZZNS1_27merge_sort_block_merge_implIS3_PjPyjNS1_19radix_merge_compareILb0ELb1EjNS0_19identity_decomposerEEEEE10hipError_tT0_T1_T2_jT3_P12ihipStream_tbPNSt15iterator_traitsISD_E10value_typeEPNSJ_ISE_E10value_typeEPSF_NS1_7vsmem_tEENKUlT_SD_SE_SF_E_clIS7_S7_S8_S8_EESC_SS_SD_SE_SF_EUlSS_E0_NS1_11comp_targetILNS1_3genE8ELNS1_11target_archE1030ELNS1_3gpuE2ELNS1_3repE0EEENS1_38merge_mergepath_config_static_selectorELNS0_4arch9wavefront6targetE1EEEvSE_
; %bb.0:
	.section	.rodata,"a",@progbits
	.p2align	6, 0x0
	.amdhsa_kernel _ZN7rocprim17ROCPRIM_400000_NS6detail17trampoline_kernelINS0_14default_configENS1_38merge_sort_block_merge_config_selectorIjyEEZZNS1_27merge_sort_block_merge_implIS3_PjPyjNS1_19radix_merge_compareILb0ELb1EjNS0_19identity_decomposerEEEEE10hipError_tT0_T1_T2_jT3_P12ihipStream_tbPNSt15iterator_traitsISD_E10value_typeEPNSJ_ISE_E10value_typeEPSF_NS1_7vsmem_tEENKUlT_SD_SE_SF_E_clIS7_S7_S8_S8_EESC_SS_SD_SE_SF_EUlSS_E0_NS1_11comp_targetILNS1_3genE8ELNS1_11target_archE1030ELNS1_3gpuE2ELNS1_3repE0EEENS1_38merge_mergepath_config_static_selectorELNS0_4arch9wavefront6targetE1EEEvSE_
		.amdhsa_group_segment_fixed_size 0
		.amdhsa_private_segment_fixed_size 0
		.amdhsa_kernarg_size 64
		.amdhsa_user_sgpr_count 6
		.amdhsa_user_sgpr_private_segment_buffer 1
		.amdhsa_user_sgpr_dispatch_ptr 0
		.amdhsa_user_sgpr_queue_ptr 0
		.amdhsa_user_sgpr_kernarg_segment_ptr 1
		.amdhsa_user_sgpr_dispatch_id 0
		.amdhsa_user_sgpr_flat_scratch_init 0
		.amdhsa_user_sgpr_kernarg_preload_length 0
		.amdhsa_user_sgpr_kernarg_preload_offset 0
		.amdhsa_user_sgpr_private_segment_size 0
		.amdhsa_uses_dynamic_stack 0
		.amdhsa_system_sgpr_private_segment_wavefront_offset 0
		.amdhsa_system_sgpr_workgroup_id_x 1
		.amdhsa_system_sgpr_workgroup_id_y 0
		.amdhsa_system_sgpr_workgroup_id_z 0
		.amdhsa_system_sgpr_workgroup_info 0
		.amdhsa_system_vgpr_workitem_id 0
		.amdhsa_next_free_vgpr 1
		.amdhsa_next_free_sgpr 0
		.amdhsa_accum_offset 4
		.amdhsa_reserve_vcc 0
		.amdhsa_reserve_flat_scratch 0
		.amdhsa_float_round_mode_32 0
		.amdhsa_float_round_mode_16_64 0
		.amdhsa_float_denorm_mode_32 3
		.amdhsa_float_denorm_mode_16_64 3
		.amdhsa_dx10_clamp 1
		.amdhsa_ieee_mode 1
		.amdhsa_fp16_overflow 0
		.amdhsa_tg_split 0
		.amdhsa_exception_fp_ieee_invalid_op 0
		.amdhsa_exception_fp_denorm_src 0
		.amdhsa_exception_fp_ieee_div_zero 0
		.amdhsa_exception_fp_ieee_overflow 0
		.amdhsa_exception_fp_ieee_underflow 0
		.amdhsa_exception_fp_ieee_inexact 0
		.amdhsa_exception_int_div_zero 0
	.end_amdhsa_kernel
	.section	.text._ZN7rocprim17ROCPRIM_400000_NS6detail17trampoline_kernelINS0_14default_configENS1_38merge_sort_block_merge_config_selectorIjyEEZZNS1_27merge_sort_block_merge_implIS3_PjPyjNS1_19radix_merge_compareILb0ELb1EjNS0_19identity_decomposerEEEEE10hipError_tT0_T1_T2_jT3_P12ihipStream_tbPNSt15iterator_traitsISD_E10value_typeEPNSJ_ISE_E10value_typeEPSF_NS1_7vsmem_tEENKUlT_SD_SE_SF_E_clIS7_S7_S8_S8_EESC_SS_SD_SE_SF_EUlSS_E0_NS1_11comp_targetILNS1_3genE8ELNS1_11target_archE1030ELNS1_3gpuE2ELNS1_3repE0EEENS1_38merge_mergepath_config_static_selectorELNS0_4arch9wavefront6targetE1EEEvSE_,"axG",@progbits,_ZN7rocprim17ROCPRIM_400000_NS6detail17trampoline_kernelINS0_14default_configENS1_38merge_sort_block_merge_config_selectorIjyEEZZNS1_27merge_sort_block_merge_implIS3_PjPyjNS1_19radix_merge_compareILb0ELb1EjNS0_19identity_decomposerEEEEE10hipError_tT0_T1_T2_jT3_P12ihipStream_tbPNSt15iterator_traitsISD_E10value_typeEPNSJ_ISE_E10value_typeEPSF_NS1_7vsmem_tEENKUlT_SD_SE_SF_E_clIS7_S7_S8_S8_EESC_SS_SD_SE_SF_EUlSS_E0_NS1_11comp_targetILNS1_3genE8ELNS1_11target_archE1030ELNS1_3gpuE2ELNS1_3repE0EEENS1_38merge_mergepath_config_static_selectorELNS0_4arch9wavefront6targetE1EEEvSE_,comdat
.Lfunc_end517:
	.size	_ZN7rocprim17ROCPRIM_400000_NS6detail17trampoline_kernelINS0_14default_configENS1_38merge_sort_block_merge_config_selectorIjyEEZZNS1_27merge_sort_block_merge_implIS3_PjPyjNS1_19radix_merge_compareILb0ELb1EjNS0_19identity_decomposerEEEEE10hipError_tT0_T1_T2_jT3_P12ihipStream_tbPNSt15iterator_traitsISD_E10value_typeEPNSJ_ISE_E10value_typeEPSF_NS1_7vsmem_tEENKUlT_SD_SE_SF_E_clIS7_S7_S8_S8_EESC_SS_SD_SE_SF_EUlSS_E0_NS1_11comp_targetILNS1_3genE8ELNS1_11target_archE1030ELNS1_3gpuE2ELNS1_3repE0EEENS1_38merge_mergepath_config_static_selectorELNS0_4arch9wavefront6targetE1EEEvSE_, .Lfunc_end517-_ZN7rocprim17ROCPRIM_400000_NS6detail17trampoline_kernelINS0_14default_configENS1_38merge_sort_block_merge_config_selectorIjyEEZZNS1_27merge_sort_block_merge_implIS3_PjPyjNS1_19radix_merge_compareILb0ELb1EjNS0_19identity_decomposerEEEEE10hipError_tT0_T1_T2_jT3_P12ihipStream_tbPNSt15iterator_traitsISD_E10value_typeEPNSJ_ISE_E10value_typeEPSF_NS1_7vsmem_tEENKUlT_SD_SE_SF_E_clIS7_S7_S8_S8_EESC_SS_SD_SE_SF_EUlSS_E0_NS1_11comp_targetILNS1_3genE8ELNS1_11target_archE1030ELNS1_3gpuE2ELNS1_3repE0EEENS1_38merge_mergepath_config_static_selectorELNS0_4arch9wavefront6targetE1EEEvSE_
                                        ; -- End function
	.section	.AMDGPU.csdata,"",@progbits
; Kernel info:
; codeLenInByte = 0
; NumSgprs: 4
; NumVgprs: 0
; NumAgprs: 0
; TotalNumVgprs: 0
; ScratchSize: 0
; MemoryBound: 0
; FloatMode: 240
; IeeeMode: 1
; LDSByteSize: 0 bytes/workgroup (compile time only)
; SGPRBlocks: 0
; VGPRBlocks: 0
; NumSGPRsForWavesPerEU: 4
; NumVGPRsForWavesPerEU: 1
; AccumOffset: 4
; Occupancy: 8
; WaveLimiterHint : 0
; COMPUTE_PGM_RSRC2:SCRATCH_EN: 0
; COMPUTE_PGM_RSRC2:USER_SGPR: 6
; COMPUTE_PGM_RSRC2:TRAP_HANDLER: 0
; COMPUTE_PGM_RSRC2:TGID_X_EN: 1
; COMPUTE_PGM_RSRC2:TGID_Y_EN: 0
; COMPUTE_PGM_RSRC2:TGID_Z_EN: 0
; COMPUTE_PGM_RSRC2:TIDIG_COMP_CNT: 0
; COMPUTE_PGM_RSRC3_GFX90A:ACCUM_OFFSET: 0
; COMPUTE_PGM_RSRC3_GFX90A:TG_SPLIT: 0
	.section	.text._ZN7rocprim17ROCPRIM_400000_NS6detail17trampoline_kernelINS0_14default_configENS1_38merge_sort_block_merge_config_selectorIjyEEZZNS1_27merge_sort_block_merge_implIS3_PjPyjNS1_19radix_merge_compareILb0ELb1EjNS0_19identity_decomposerEEEEE10hipError_tT0_T1_T2_jT3_P12ihipStream_tbPNSt15iterator_traitsISD_E10value_typeEPNSJ_ISE_E10value_typeEPSF_NS1_7vsmem_tEENKUlT_SD_SE_SF_E_clIS7_S7_S8_S8_EESC_SS_SD_SE_SF_EUlSS_E1_NS1_11comp_targetILNS1_3genE0ELNS1_11target_archE4294967295ELNS1_3gpuE0ELNS1_3repE0EEENS1_36merge_oddeven_config_static_selectorELNS0_4arch9wavefront6targetE1EEEvSE_,"axG",@progbits,_ZN7rocprim17ROCPRIM_400000_NS6detail17trampoline_kernelINS0_14default_configENS1_38merge_sort_block_merge_config_selectorIjyEEZZNS1_27merge_sort_block_merge_implIS3_PjPyjNS1_19radix_merge_compareILb0ELb1EjNS0_19identity_decomposerEEEEE10hipError_tT0_T1_T2_jT3_P12ihipStream_tbPNSt15iterator_traitsISD_E10value_typeEPNSJ_ISE_E10value_typeEPSF_NS1_7vsmem_tEENKUlT_SD_SE_SF_E_clIS7_S7_S8_S8_EESC_SS_SD_SE_SF_EUlSS_E1_NS1_11comp_targetILNS1_3genE0ELNS1_11target_archE4294967295ELNS1_3gpuE0ELNS1_3repE0EEENS1_36merge_oddeven_config_static_selectorELNS0_4arch9wavefront6targetE1EEEvSE_,comdat
	.protected	_ZN7rocprim17ROCPRIM_400000_NS6detail17trampoline_kernelINS0_14default_configENS1_38merge_sort_block_merge_config_selectorIjyEEZZNS1_27merge_sort_block_merge_implIS3_PjPyjNS1_19radix_merge_compareILb0ELb1EjNS0_19identity_decomposerEEEEE10hipError_tT0_T1_T2_jT3_P12ihipStream_tbPNSt15iterator_traitsISD_E10value_typeEPNSJ_ISE_E10value_typeEPSF_NS1_7vsmem_tEENKUlT_SD_SE_SF_E_clIS7_S7_S8_S8_EESC_SS_SD_SE_SF_EUlSS_E1_NS1_11comp_targetILNS1_3genE0ELNS1_11target_archE4294967295ELNS1_3gpuE0ELNS1_3repE0EEENS1_36merge_oddeven_config_static_selectorELNS0_4arch9wavefront6targetE1EEEvSE_ ; -- Begin function _ZN7rocprim17ROCPRIM_400000_NS6detail17trampoline_kernelINS0_14default_configENS1_38merge_sort_block_merge_config_selectorIjyEEZZNS1_27merge_sort_block_merge_implIS3_PjPyjNS1_19radix_merge_compareILb0ELb1EjNS0_19identity_decomposerEEEEE10hipError_tT0_T1_T2_jT3_P12ihipStream_tbPNSt15iterator_traitsISD_E10value_typeEPNSJ_ISE_E10value_typeEPSF_NS1_7vsmem_tEENKUlT_SD_SE_SF_E_clIS7_S7_S8_S8_EESC_SS_SD_SE_SF_EUlSS_E1_NS1_11comp_targetILNS1_3genE0ELNS1_11target_archE4294967295ELNS1_3gpuE0ELNS1_3repE0EEENS1_36merge_oddeven_config_static_selectorELNS0_4arch9wavefront6targetE1EEEvSE_
	.globl	_ZN7rocprim17ROCPRIM_400000_NS6detail17trampoline_kernelINS0_14default_configENS1_38merge_sort_block_merge_config_selectorIjyEEZZNS1_27merge_sort_block_merge_implIS3_PjPyjNS1_19radix_merge_compareILb0ELb1EjNS0_19identity_decomposerEEEEE10hipError_tT0_T1_T2_jT3_P12ihipStream_tbPNSt15iterator_traitsISD_E10value_typeEPNSJ_ISE_E10value_typeEPSF_NS1_7vsmem_tEENKUlT_SD_SE_SF_E_clIS7_S7_S8_S8_EESC_SS_SD_SE_SF_EUlSS_E1_NS1_11comp_targetILNS1_3genE0ELNS1_11target_archE4294967295ELNS1_3gpuE0ELNS1_3repE0EEENS1_36merge_oddeven_config_static_selectorELNS0_4arch9wavefront6targetE1EEEvSE_
	.p2align	8
	.type	_ZN7rocprim17ROCPRIM_400000_NS6detail17trampoline_kernelINS0_14default_configENS1_38merge_sort_block_merge_config_selectorIjyEEZZNS1_27merge_sort_block_merge_implIS3_PjPyjNS1_19radix_merge_compareILb0ELb1EjNS0_19identity_decomposerEEEEE10hipError_tT0_T1_T2_jT3_P12ihipStream_tbPNSt15iterator_traitsISD_E10value_typeEPNSJ_ISE_E10value_typeEPSF_NS1_7vsmem_tEENKUlT_SD_SE_SF_E_clIS7_S7_S8_S8_EESC_SS_SD_SE_SF_EUlSS_E1_NS1_11comp_targetILNS1_3genE0ELNS1_11target_archE4294967295ELNS1_3gpuE0ELNS1_3repE0EEENS1_36merge_oddeven_config_static_selectorELNS0_4arch9wavefront6targetE1EEEvSE_,@function
_ZN7rocprim17ROCPRIM_400000_NS6detail17trampoline_kernelINS0_14default_configENS1_38merge_sort_block_merge_config_selectorIjyEEZZNS1_27merge_sort_block_merge_implIS3_PjPyjNS1_19radix_merge_compareILb0ELb1EjNS0_19identity_decomposerEEEEE10hipError_tT0_T1_T2_jT3_P12ihipStream_tbPNSt15iterator_traitsISD_E10value_typeEPNSJ_ISE_E10value_typeEPSF_NS1_7vsmem_tEENKUlT_SD_SE_SF_E_clIS7_S7_S8_S8_EESC_SS_SD_SE_SF_EUlSS_E1_NS1_11comp_targetILNS1_3genE0ELNS1_11target_archE4294967295ELNS1_3gpuE0ELNS1_3repE0EEENS1_36merge_oddeven_config_static_selectorELNS0_4arch9wavefront6targetE1EEEvSE_: ; @_ZN7rocprim17ROCPRIM_400000_NS6detail17trampoline_kernelINS0_14default_configENS1_38merge_sort_block_merge_config_selectorIjyEEZZNS1_27merge_sort_block_merge_implIS3_PjPyjNS1_19radix_merge_compareILb0ELb1EjNS0_19identity_decomposerEEEEE10hipError_tT0_T1_T2_jT3_P12ihipStream_tbPNSt15iterator_traitsISD_E10value_typeEPNSJ_ISE_E10value_typeEPSF_NS1_7vsmem_tEENKUlT_SD_SE_SF_E_clIS7_S7_S8_S8_EESC_SS_SD_SE_SF_EUlSS_E1_NS1_11comp_targetILNS1_3genE0ELNS1_11target_archE4294967295ELNS1_3gpuE0ELNS1_3repE0EEENS1_36merge_oddeven_config_static_selectorELNS0_4arch9wavefront6targetE1EEEvSE_
; %bb.0:
	.section	.rodata,"a",@progbits
	.p2align	6, 0x0
	.amdhsa_kernel _ZN7rocprim17ROCPRIM_400000_NS6detail17trampoline_kernelINS0_14default_configENS1_38merge_sort_block_merge_config_selectorIjyEEZZNS1_27merge_sort_block_merge_implIS3_PjPyjNS1_19radix_merge_compareILb0ELb1EjNS0_19identity_decomposerEEEEE10hipError_tT0_T1_T2_jT3_P12ihipStream_tbPNSt15iterator_traitsISD_E10value_typeEPNSJ_ISE_E10value_typeEPSF_NS1_7vsmem_tEENKUlT_SD_SE_SF_E_clIS7_S7_S8_S8_EESC_SS_SD_SE_SF_EUlSS_E1_NS1_11comp_targetILNS1_3genE0ELNS1_11target_archE4294967295ELNS1_3gpuE0ELNS1_3repE0EEENS1_36merge_oddeven_config_static_selectorELNS0_4arch9wavefront6targetE1EEEvSE_
		.amdhsa_group_segment_fixed_size 0
		.amdhsa_private_segment_fixed_size 0
		.amdhsa_kernarg_size 48
		.amdhsa_user_sgpr_count 6
		.amdhsa_user_sgpr_private_segment_buffer 1
		.amdhsa_user_sgpr_dispatch_ptr 0
		.amdhsa_user_sgpr_queue_ptr 0
		.amdhsa_user_sgpr_kernarg_segment_ptr 1
		.amdhsa_user_sgpr_dispatch_id 0
		.amdhsa_user_sgpr_flat_scratch_init 0
		.amdhsa_user_sgpr_kernarg_preload_length 0
		.amdhsa_user_sgpr_kernarg_preload_offset 0
		.amdhsa_user_sgpr_private_segment_size 0
		.amdhsa_uses_dynamic_stack 0
		.amdhsa_system_sgpr_private_segment_wavefront_offset 0
		.amdhsa_system_sgpr_workgroup_id_x 1
		.amdhsa_system_sgpr_workgroup_id_y 0
		.amdhsa_system_sgpr_workgroup_id_z 0
		.amdhsa_system_sgpr_workgroup_info 0
		.amdhsa_system_vgpr_workitem_id 0
		.amdhsa_next_free_vgpr 1
		.amdhsa_next_free_sgpr 0
		.amdhsa_accum_offset 4
		.amdhsa_reserve_vcc 0
		.amdhsa_reserve_flat_scratch 0
		.amdhsa_float_round_mode_32 0
		.amdhsa_float_round_mode_16_64 0
		.amdhsa_float_denorm_mode_32 3
		.amdhsa_float_denorm_mode_16_64 3
		.amdhsa_dx10_clamp 1
		.amdhsa_ieee_mode 1
		.amdhsa_fp16_overflow 0
		.amdhsa_tg_split 0
		.amdhsa_exception_fp_ieee_invalid_op 0
		.amdhsa_exception_fp_denorm_src 0
		.amdhsa_exception_fp_ieee_div_zero 0
		.amdhsa_exception_fp_ieee_overflow 0
		.amdhsa_exception_fp_ieee_underflow 0
		.amdhsa_exception_fp_ieee_inexact 0
		.amdhsa_exception_int_div_zero 0
	.end_amdhsa_kernel
	.section	.text._ZN7rocprim17ROCPRIM_400000_NS6detail17trampoline_kernelINS0_14default_configENS1_38merge_sort_block_merge_config_selectorIjyEEZZNS1_27merge_sort_block_merge_implIS3_PjPyjNS1_19radix_merge_compareILb0ELb1EjNS0_19identity_decomposerEEEEE10hipError_tT0_T1_T2_jT3_P12ihipStream_tbPNSt15iterator_traitsISD_E10value_typeEPNSJ_ISE_E10value_typeEPSF_NS1_7vsmem_tEENKUlT_SD_SE_SF_E_clIS7_S7_S8_S8_EESC_SS_SD_SE_SF_EUlSS_E1_NS1_11comp_targetILNS1_3genE0ELNS1_11target_archE4294967295ELNS1_3gpuE0ELNS1_3repE0EEENS1_36merge_oddeven_config_static_selectorELNS0_4arch9wavefront6targetE1EEEvSE_,"axG",@progbits,_ZN7rocprim17ROCPRIM_400000_NS6detail17trampoline_kernelINS0_14default_configENS1_38merge_sort_block_merge_config_selectorIjyEEZZNS1_27merge_sort_block_merge_implIS3_PjPyjNS1_19radix_merge_compareILb0ELb1EjNS0_19identity_decomposerEEEEE10hipError_tT0_T1_T2_jT3_P12ihipStream_tbPNSt15iterator_traitsISD_E10value_typeEPNSJ_ISE_E10value_typeEPSF_NS1_7vsmem_tEENKUlT_SD_SE_SF_E_clIS7_S7_S8_S8_EESC_SS_SD_SE_SF_EUlSS_E1_NS1_11comp_targetILNS1_3genE0ELNS1_11target_archE4294967295ELNS1_3gpuE0ELNS1_3repE0EEENS1_36merge_oddeven_config_static_selectorELNS0_4arch9wavefront6targetE1EEEvSE_,comdat
.Lfunc_end518:
	.size	_ZN7rocprim17ROCPRIM_400000_NS6detail17trampoline_kernelINS0_14default_configENS1_38merge_sort_block_merge_config_selectorIjyEEZZNS1_27merge_sort_block_merge_implIS3_PjPyjNS1_19radix_merge_compareILb0ELb1EjNS0_19identity_decomposerEEEEE10hipError_tT0_T1_T2_jT3_P12ihipStream_tbPNSt15iterator_traitsISD_E10value_typeEPNSJ_ISE_E10value_typeEPSF_NS1_7vsmem_tEENKUlT_SD_SE_SF_E_clIS7_S7_S8_S8_EESC_SS_SD_SE_SF_EUlSS_E1_NS1_11comp_targetILNS1_3genE0ELNS1_11target_archE4294967295ELNS1_3gpuE0ELNS1_3repE0EEENS1_36merge_oddeven_config_static_selectorELNS0_4arch9wavefront6targetE1EEEvSE_, .Lfunc_end518-_ZN7rocprim17ROCPRIM_400000_NS6detail17trampoline_kernelINS0_14default_configENS1_38merge_sort_block_merge_config_selectorIjyEEZZNS1_27merge_sort_block_merge_implIS3_PjPyjNS1_19radix_merge_compareILb0ELb1EjNS0_19identity_decomposerEEEEE10hipError_tT0_T1_T2_jT3_P12ihipStream_tbPNSt15iterator_traitsISD_E10value_typeEPNSJ_ISE_E10value_typeEPSF_NS1_7vsmem_tEENKUlT_SD_SE_SF_E_clIS7_S7_S8_S8_EESC_SS_SD_SE_SF_EUlSS_E1_NS1_11comp_targetILNS1_3genE0ELNS1_11target_archE4294967295ELNS1_3gpuE0ELNS1_3repE0EEENS1_36merge_oddeven_config_static_selectorELNS0_4arch9wavefront6targetE1EEEvSE_
                                        ; -- End function
	.section	.AMDGPU.csdata,"",@progbits
; Kernel info:
; codeLenInByte = 0
; NumSgprs: 4
; NumVgprs: 0
; NumAgprs: 0
; TotalNumVgprs: 0
; ScratchSize: 0
; MemoryBound: 0
; FloatMode: 240
; IeeeMode: 1
; LDSByteSize: 0 bytes/workgroup (compile time only)
; SGPRBlocks: 0
; VGPRBlocks: 0
; NumSGPRsForWavesPerEU: 4
; NumVGPRsForWavesPerEU: 1
; AccumOffset: 4
; Occupancy: 8
; WaveLimiterHint : 0
; COMPUTE_PGM_RSRC2:SCRATCH_EN: 0
; COMPUTE_PGM_RSRC2:USER_SGPR: 6
; COMPUTE_PGM_RSRC2:TRAP_HANDLER: 0
; COMPUTE_PGM_RSRC2:TGID_X_EN: 1
; COMPUTE_PGM_RSRC2:TGID_Y_EN: 0
; COMPUTE_PGM_RSRC2:TGID_Z_EN: 0
; COMPUTE_PGM_RSRC2:TIDIG_COMP_CNT: 0
; COMPUTE_PGM_RSRC3_GFX90A:ACCUM_OFFSET: 0
; COMPUTE_PGM_RSRC3_GFX90A:TG_SPLIT: 0
	.section	.text._ZN7rocprim17ROCPRIM_400000_NS6detail17trampoline_kernelINS0_14default_configENS1_38merge_sort_block_merge_config_selectorIjyEEZZNS1_27merge_sort_block_merge_implIS3_PjPyjNS1_19radix_merge_compareILb0ELb1EjNS0_19identity_decomposerEEEEE10hipError_tT0_T1_T2_jT3_P12ihipStream_tbPNSt15iterator_traitsISD_E10value_typeEPNSJ_ISE_E10value_typeEPSF_NS1_7vsmem_tEENKUlT_SD_SE_SF_E_clIS7_S7_S8_S8_EESC_SS_SD_SE_SF_EUlSS_E1_NS1_11comp_targetILNS1_3genE10ELNS1_11target_archE1201ELNS1_3gpuE5ELNS1_3repE0EEENS1_36merge_oddeven_config_static_selectorELNS0_4arch9wavefront6targetE1EEEvSE_,"axG",@progbits,_ZN7rocprim17ROCPRIM_400000_NS6detail17trampoline_kernelINS0_14default_configENS1_38merge_sort_block_merge_config_selectorIjyEEZZNS1_27merge_sort_block_merge_implIS3_PjPyjNS1_19radix_merge_compareILb0ELb1EjNS0_19identity_decomposerEEEEE10hipError_tT0_T1_T2_jT3_P12ihipStream_tbPNSt15iterator_traitsISD_E10value_typeEPNSJ_ISE_E10value_typeEPSF_NS1_7vsmem_tEENKUlT_SD_SE_SF_E_clIS7_S7_S8_S8_EESC_SS_SD_SE_SF_EUlSS_E1_NS1_11comp_targetILNS1_3genE10ELNS1_11target_archE1201ELNS1_3gpuE5ELNS1_3repE0EEENS1_36merge_oddeven_config_static_selectorELNS0_4arch9wavefront6targetE1EEEvSE_,comdat
	.protected	_ZN7rocprim17ROCPRIM_400000_NS6detail17trampoline_kernelINS0_14default_configENS1_38merge_sort_block_merge_config_selectorIjyEEZZNS1_27merge_sort_block_merge_implIS3_PjPyjNS1_19radix_merge_compareILb0ELb1EjNS0_19identity_decomposerEEEEE10hipError_tT0_T1_T2_jT3_P12ihipStream_tbPNSt15iterator_traitsISD_E10value_typeEPNSJ_ISE_E10value_typeEPSF_NS1_7vsmem_tEENKUlT_SD_SE_SF_E_clIS7_S7_S8_S8_EESC_SS_SD_SE_SF_EUlSS_E1_NS1_11comp_targetILNS1_3genE10ELNS1_11target_archE1201ELNS1_3gpuE5ELNS1_3repE0EEENS1_36merge_oddeven_config_static_selectorELNS0_4arch9wavefront6targetE1EEEvSE_ ; -- Begin function _ZN7rocprim17ROCPRIM_400000_NS6detail17trampoline_kernelINS0_14default_configENS1_38merge_sort_block_merge_config_selectorIjyEEZZNS1_27merge_sort_block_merge_implIS3_PjPyjNS1_19radix_merge_compareILb0ELb1EjNS0_19identity_decomposerEEEEE10hipError_tT0_T1_T2_jT3_P12ihipStream_tbPNSt15iterator_traitsISD_E10value_typeEPNSJ_ISE_E10value_typeEPSF_NS1_7vsmem_tEENKUlT_SD_SE_SF_E_clIS7_S7_S8_S8_EESC_SS_SD_SE_SF_EUlSS_E1_NS1_11comp_targetILNS1_3genE10ELNS1_11target_archE1201ELNS1_3gpuE5ELNS1_3repE0EEENS1_36merge_oddeven_config_static_selectorELNS0_4arch9wavefront6targetE1EEEvSE_
	.globl	_ZN7rocprim17ROCPRIM_400000_NS6detail17trampoline_kernelINS0_14default_configENS1_38merge_sort_block_merge_config_selectorIjyEEZZNS1_27merge_sort_block_merge_implIS3_PjPyjNS1_19radix_merge_compareILb0ELb1EjNS0_19identity_decomposerEEEEE10hipError_tT0_T1_T2_jT3_P12ihipStream_tbPNSt15iterator_traitsISD_E10value_typeEPNSJ_ISE_E10value_typeEPSF_NS1_7vsmem_tEENKUlT_SD_SE_SF_E_clIS7_S7_S8_S8_EESC_SS_SD_SE_SF_EUlSS_E1_NS1_11comp_targetILNS1_3genE10ELNS1_11target_archE1201ELNS1_3gpuE5ELNS1_3repE0EEENS1_36merge_oddeven_config_static_selectorELNS0_4arch9wavefront6targetE1EEEvSE_
	.p2align	8
	.type	_ZN7rocprim17ROCPRIM_400000_NS6detail17trampoline_kernelINS0_14default_configENS1_38merge_sort_block_merge_config_selectorIjyEEZZNS1_27merge_sort_block_merge_implIS3_PjPyjNS1_19radix_merge_compareILb0ELb1EjNS0_19identity_decomposerEEEEE10hipError_tT0_T1_T2_jT3_P12ihipStream_tbPNSt15iterator_traitsISD_E10value_typeEPNSJ_ISE_E10value_typeEPSF_NS1_7vsmem_tEENKUlT_SD_SE_SF_E_clIS7_S7_S8_S8_EESC_SS_SD_SE_SF_EUlSS_E1_NS1_11comp_targetILNS1_3genE10ELNS1_11target_archE1201ELNS1_3gpuE5ELNS1_3repE0EEENS1_36merge_oddeven_config_static_selectorELNS0_4arch9wavefront6targetE1EEEvSE_,@function
_ZN7rocprim17ROCPRIM_400000_NS6detail17trampoline_kernelINS0_14default_configENS1_38merge_sort_block_merge_config_selectorIjyEEZZNS1_27merge_sort_block_merge_implIS3_PjPyjNS1_19radix_merge_compareILb0ELb1EjNS0_19identity_decomposerEEEEE10hipError_tT0_T1_T2_jT3_P12ihipStream_tbPNSt15iterator_traitsISD_E10value_typeEPNSJ_ISE_E10value_typeEPSF_NS1_7vsmem_tEENKUlT_SD_SE_SF_E_clIS7_S7_S8_S8_EESC_SS_SD_SE_SF_EUlSS_E1_NS1_11comp_targetILNS1_3genE10ELNS1_11target_archE1201ELNS1_3gpuE5ELNS1_3repE0EEENS1_36merge_oddeven_config_static_selectorELNS0_4arch9wavefront6targetE1EEEvSE_: ; @_ZN7rocprim17ROCPRIM_400000_NS6detail17trampoline_kernelINS0_14default_configENS1_38merge_sort_block_merge_config_selectorIjyEEZZNS1_27merge_sort_block_merge_implIS3_PjPyjNS1_19radix_merge_compareILb0ELb1EjNS0_19identity_decomposerEEEEE10hipError_tT0_T1_T2_jT3_P12ihipStream_tbPNSt15iterator_traitsISD_E10value_typeEPNSJ_ISE_E10value_typeEPSF_NS1_7vsmem_tEENKUlT_SD_SE_SF_E_clIS7_S7_S8_S8_EESC_SS_SD_SE_SF_EUlSS_E1_NS1_11comp_targetILNS1_3genE10ELNS1_11target_archE1201ELNS1_3gpuE5ELNS1_3repE0EEENS1_36merge_oddeven_config_static_selectorELNS0_4arch9wavefront6targetE1EEEvSE_
; %bb.0:
	.section	.rodata,"a",@progbits
	.p2align	6, 0x0
	.amdhsa_kernel _ZN7rocprim17ROCPRIM_400000_NS6detail17trampoline_kernelINS0_14default_configENS1_38merge_sort_block_merge_config_selectorIjyEEZZNS1_27merge_sort_block_merge_implIS3_PjPyjNS1_19radix_merge_compareILb0ELb1EjNS0_19identity_decomposerEEEEE10hipError_tT0_T1_T2_jT3_P12ihipStream_tbPNSt15iterator_traitsISD_E10value_typeEPNSJ_ISE_E10value_typeEPSF_NS1_7vsmem_tEENKUlT_SD_SE_SF_E_clIS7_S7_S8_S8_EESC_SS_SD_SE_SF_EUlSS_E1_NS1_11comp_targetILNS1_3genE10ELNS1_11target_archE1201ELNS1_3gpuE5ELNS1_3repE0EEENS1_36merge_oddeven_config_static_selectorELNS0_4arch9wavefront6targetE1EEEvSE_
		.amdhsa_group_segment_fixed_size 0
		.amdhsa_private_segment_fixed_size 0
		.amdhsa_kernarg_size 48
		.amdhsa_user_sgpr_count 6
		.amdhsa_user_sgpr_private_segment_buffer 1
		.amdhsa_user_sgpr_dispatch_ptr 0
		.amdhsa_user_sgpr_queue_ptr 0
		.amdhsa_user_sgpr_kernarg_segment_ptr 1
		.amdhsa_user_sgpr_dispatch_id 0
		.amdhsa_user_sgpr_flat_scratch_init 0
		.amdhsa_user_sgpr_kernarg_preload_length 0
		.amdhsa_user_sgpr_kernarg_preload_offset 0
		.amdhsa_user_sgpr_private_segment_size 0
		.amdhsa_uses_dynamic_stack 0
		.amdhsa_system_sgpr_private_segment_wavefront_offset 0
		.amdhsa_system_sgpr_workgroup_id_x 1
		.amdhsa_system_sgpr_workgroup_id_y 0
		.amdhsa_system_sgpr_workgroup_id_z 0
		.amdhsa_system_sgpr_workgroup_info 0
		.amdhsa_system_vgpr_workitem_id 0
		.amdhsa_next_free_vgpr 1
		.amdhsa_next_free_sgpr 0
		.amdhsa_accum_offset 4
		.amdhsa_reserve_vcc 0
		.amdhsa_reserve_flat_scratch 0
		.amdhsa_float_round_mode_32 0
		.amdhsa_float_round_mode_16_64 0
		.amdhsa_float_denorm_mode_32 3
		.amdhsa_float_denorm_mode_16_64 3
		.amdhsa_dx10_clamp 1
		.amdhsa_ieee_mode 1
		.amdhsa_fp16_overflow 0
		.amdhsa_tg_split 0
		.amdhsa_exception_fp_ieee_invalid_op 0
		.amdhsa_exception_fp_denorm_src 0
		.amdhsa_exception_fp_ieee_div_zero 0
		.amdhsa_exception_fp_ieee_overflow 0
		.amdhsa_exception_fp_ieee_underflow 0
		.amdhsa_exception_fp_ieee_inexact 0
		.amdhsa_exception_int_div_zero 0
	.end_amdhsa_kernel
	.section	.text._ZN7rocprim17ROCPRIM_400000_NS6detail17trampoline_kernelINS0_14default_configENS1_38merge_sort_block_merge_config_selectorIjyEEZZNS1_27merge_sort_block_merge_implIS3_PjPyjNS1_19radix_merge_compareILb0ELb1EjNS0_19identity_decomposerEEEEE10hipError_tT0_T1_T2_jT3_P12ihipStream_tbPNSt15iterator_traitsISD_E10value_typeEPNSJ_ISE_E10value_typeEPSF_NS1_7vsmem_tEENKUlT_SD_SE_SF_E_clIS7_S7_S8_S8_EESC_SS_SD_SE_SF_EUlSS_E1_NS1_11comp_targetILNS1_3genE10ELNS1_11target_archE1201ELNS1_3gpuE5ELNS1_3repE0EEENS1_36merge_oddeven_config_static_selectorELNS0_4arch9wavefront6targetE1EEEvSE_,"axG",@progbits,_ZN7rocprim17ROCPRIM_400000_NS6detail17trampoline_kernelINS0_14default_configENS1_38merge_sort_block_merge_config_selectorIjyEEZZNS1_27merge_sort_block_merge_implIS3_PjPyjNS1_19radix_merge_compareILb0ELb1EjNS0_19identity_decomposerEEEEE10hipError_tT0_T1_T2_jT3_P12ihipStream_tbPNSt15iterator_traitsISD_E10value_typeEPNSJ_ISE_E10value_typeEPSF_NS1_7vsmem_tEENKUlT_SD_SE_SF_E_clIS7_S7_S8_S8_EESC_SS_SD_SE_SF_EUlSS_E1_NS1_11comp_targetILNS1_3genE10ELNS1_11target_archE1201ELNS1_3gpuE5ELNS1_3repE0EEENS1_36merge_oddeven_config_static_selectorELNS0_4arch9wavefront6targetE1EEEvSE_,comdat
.Lfunc_end519:
	.size	_ZN7rocprim17ROCPRIM_400000_NS6detail17trampoline_kernelINS0_14default_configENS1_38merge_sort_block_merge_config_selectorIjyEEZZNS1_27merge_sort_block_merge_implIS3_PjPyjNS1_19radix_merge_compareILb0ELb1EjNS0_19identity_decomposerEEEEE10hipError_tT0_T1_T2_jT3_P12ihipStream_tbPNSt15iterator_traitsISD_E10value_typeEPNSJ_ISE_E10value_typeEPSF_NS1_7vsmem_tEENKUlT_SD_SE_SF_E_clIS7_S7_S8_S8_EESC_SS_SD_SE_SF_EUlSS_E1_NS1_11comp_targetILNS1_3genE10ELNS1_11target_archE1201ELNS1_3gpuE5ELNS1_3repE0EEENS1_36merge_oddeven_config_static_selectorELNS0_4arch9wavefront6targetE1EEEvSE_, .Lfunc_end519-_ZN7rocprim17ROCPRIM_400000_NS6detail17trampoline_kernelINS0_14default_configENS1_38merge_sort_block_merge_config_selectorIjyEEZZNS1_27merge_sort_block_merge_implIS3_PjPyjNS1_19radix_merge_compareILb0ELb1EjNS0_19identity_decomposerEEEEE10hipError_tT0_T1_T2_jT3_P12ihipStream_tbPNSt15iterator_traitsISD_E10value_typeEPNSJ_ISE_E10value_typeEPSF_NS1_7vsmem_tEENKUlT_SD_SE_SF_E_clIS7_S7_S8_S8_EESC_SS_SD_SE_SF_EUlSS_E1_NS1_11comp_targetILNS1_3genE10ELNS1_11target_archE1201ELNS1_3gpuE5ELNS1_3repE0EEENS1_36merge_oddeven_config_static_selectorELNS0_4arch9wavefront6targetE1EEEvSE_
                                        ; -- End function
	.section	.AMDGPU.csdata,"",@progbits
; Kernel info:
; codeLenInByte = 0
; NumSgprs: 4
; NumVgprs: 0
; NumAgprs: 0
; TotalNumVgprs: 0
; ScratchSize: 0
; MemoryBound: 0
; FloatMode: 240
; IeeeMode: 1
; LDSByteSize: 0 bytes/workgroup (compile time only)
; SGPRBlocks: 0
; VGPRBlocks: 0
; NumSGPRsForWavesPerEU: 4
; NumVGPRsForWavesPerEU: 1
; AccumOffset: 4
; Occupancy: 8
; WaveLimiterHint : 0
; COMPUTE_PGM_RSRC2:SCRATCH_EN: 0
; COMPUTE_PGM_RSRC2:USER_SGPR: 6
; COMPUTE_PGM_RSRC2:TRAP_HANDLER: 0
; COMPUTE_PGM_RSRC2:TGID_X_EN: 1
; COMPUTE_PGM_RSRC2:TGID_Y_EN: 0
; COMPUTE_PGM_RSRC2:TGID_Z_EN: 0
; COMPUTE_PGM_RSRC2:TIDIG_COMP_CNT: 0
; COMPUTE_PGM_RSRC3_GFX90A:ACCUM_OFFSET: 0
; COMPUTE_PGM_RSRC3_GFX90A:TG_SPLIT: 0
	.section	.text._ZN7rocprim17ROCPRIM_400000_NS6detail17trampoline_kernelINS0_14default_configENS1_38merge_sort_block_merge_config_selectorIjyEEZZNS1_27merge_sort_block_merge_implIS3_PjPyjNS1_19radix_merge_compareILb0ELb1EjNS0_19identity_decomposerEEEEE10hipError_tT0_T1_T2_jT3_P12ihipStream_tbPNSt15iterator_traitsISD_E10value_typeEPNSJ_ISE_E10value_typeEPSF_NS1_7vsmem_tEENKUlT_SD_SE_SF_E_clIS7_S7_S8_S8_EESC_SS_SD_SE_SF_EUlSS_E1_NS1_11comp_targetILNS1_3genE5ELNS1_11target_archE942ELNS1_3gpuE9ELNS1_3repE0EEENS1_36merge_oddeven_config_static_selectorELNS0_4arch9wavefront6targetE1EEEvSE_,"axG",@progbits,_ZN7rocprim17ROCPRIM_400000_NS6detail17trampoline_kernelINS0_14default_configENS1_38merge_sort_block_merge_config_selectorIjyEEZZNS1_27merge_sort_block_merge_implIS3_PjPyjNS1_19radix_merge_compareILb0ELb1EjNS0_19identity_decomposerEEEEE10hipError_tT0_T1_T2_jT3_P12ihipStream_tbPNSt15iterator_traitsISD_E10value_typeEPNSJ_ISE_E10value_typeEPSF_NS1_7vsmem_tEENKUlT_SD_SE_SF_E_clIS7_S7_S8_S8_EESC_SS_SD_SE_SF_EUlSS_E1_NS1_11comp_targetILNS1_3genE5ELNS1_11target_archE942ELNS1_3gpuE9ELNS1_3repE0EEENS1_36merge_oddeven_config_static_selectorELNS0_4arch9wavefront6targetE1EEEvSE_,comdat
	.protected	_ZN7rocprim17ROCPRIM_400000_NS6detail17trampoline_kernelINS0_14default_configENS1_38merge_sort_block_merge_config_selectorIjyEEZZNS1_27merge_sort_block_merge_implIS3_PjPyjNS1_19radix_merge_compareILb0ELb1EjNS0_19identity_decomposerEEEEE10hipError_tT0_T1_T2_jT3_P12ihipStream_tbPNSt15iterator_traitsISD_E10value_typeEPNSJ_ISE_E10value_typeEPSF_NS1_7vsmem_tEENKUlT_SD_SE_SF_E_clIS7_S7_S8_S8_EESC_SS_SD_SE_SF_EUlSS_E1_NS1_11comp_targetILNS1_3genE5ELNS1_11target_archE942ELNS1_3gpuE9ELNS1_3repE0EEENS1_36merge_oddeven_config_static_selectorELNS0_4arch9wavefront6targetE1EEEvSE_ ; -- Begin function _ZN7rocprim17ROCPRIM_400000_NS6detail17trampoline_kernelINS0_14default_configENS1_38merge_sort_block_merge_config_selectorIjyEEZZNS1_27merge_sort_block_merge_implIS3_PjPyjNS1_19radix_merge_compareILb0ELb1EjNS0_19identity_decomposerEEEEE10hipError_tT0_T1_T2_jT3_P12ihipStream_tbPNSt15iterator_traitsISD_E10value_typeEPNSJ_ISE_E10value_typeEPSF_NS1_7vsmem_tEENKUlT_SD_SE_SF_E_clIS7_S7_S8_S8_EESC_SS_SD_SE_SF_EUlSS_E1_NS1_11comp_targetILNS1_3genE5ELNS1_11target_archE942ELNS1_3gpuE9ELNS1_3repE0EEENS1_36merge_oddeven_config_static_selectorELNS0_4arch9wavefront6targetE1EEEvSE_
	.globl	_ZN7rocprim17ROCPRIM_400000_NS6detail17trampoline_kernelINS0_14default_configENS1_38merge_sort_block_merge_config_selectorIjyEEZZNS1_27merge_sort_block_merge_implIS3_PjPyjNS1_19radix_merge_compareILb0ELb1EjNS0_19identity_decomposerEEEEE10hipError_tT0_T1_T2_jT3_P12ihipStream_tbPNSt15iterator_traitsISD_E10value_typeEPNSJ_ISE_E10value_typeEPSF_NS1_7vsmem_tEENKUlT_SD_SE_SF_E_clIS7_S7_S8_S8_EESC_SS_SD_SE_SF_EUlSS_E1_NS1_11comp_targetILNS1_3genE5ELNS1_11target_archE942ELNS1_3gpuE9ELNS1_3repE0EEENS1_36merge_oddeven_config_static_selectorELNS0_4arch9wavefront6targetE1EEEvSE_
	.p2align	8
	.type	_ZN7rocprim17ROCPRIM_400000_NS6detail17trampoline_kernelINS0_14default_configENS1_38merge_sort_block_merge_config_selectorIjyEEZZNS1_27merge_sort_block_merge_implIS3_PjPyjNS1_19radix_merge_compareILb0ELb1EjNS0_19identity_decomposerEEEEE10hipError_tT0_T1_T2_jT3_P12ihipStream_tbPNSt15iterator_traitsISD_E10value_typeEPNSJ_ISE_E10value_typeEPSF_NS1_7vsmem_tEENKUlT_SD_SE_SF_E_clIS7_S7_S8_S8_EESC_SS_SD_SE_SF_EUlSS_E1_NS1_11comp_targetILNS1_3genE5ELNS1_11target_archE942ELNS1_3gpuE9ELNS1_3repE0EEENS1_36merge_oddeven_config_static_selectorELNS0_4arch9wavefront6targetE1EEEvSE_,@function
_ZN7rocprim17ROCPRIM_400000_NS6detail17trampoline_kernelINS0_14default_configENS1_38merge_sort_block_merge_config_selectorIjyEEZZNS1_27merge_sort_block_merge_implIS3_PjPyjNS1_19radix_merge_compareILb0ELb1EjNS0_19identity_decomposerEEEEE10hipError_tT0_T1_T2_jT3_P12ihipStream_tbPNSt15iterator_traitsISD_E10value_typeEPNSJ_ISE_E10value_typeEPSF_NS1_7vsmem_tEENKUlT_SD_SE_SF_E_clIS7_S7_S8_S8_EESC_SS_SD_SE_SF_EUlSS_E1_NS1_11comp_targetILNS1_3genE5ELNS1_11target_archE942ELNS1_3gpuE9ELNS1_3repE0EEENS1_36merge_oddeven_config_static_selectorELNS0_4arch9wavefront6targetE1EEEvSE_: ; @_ZN7rocprim17ROCPRIM_400000_NS6detail17trampoline_kernelINS0_14default_configENS1_38merge_sort_block_merge_config_selectorIjyEEZZNS1_27merge_sort_block_merge_implIS3_PjPyjNS1_19radix_merge_compareILb0ELb1EjNS0_19identity_decomposerEEEEE10hipError_tT0_T1_T2_jT3_P12ihipStream_tbPNSt15iterator_traitsISD_E10value_typeEPNSJ_ISE_E10value_typeEPSF_NS1_7vsmem_tEENKUlT_SD_SE_SF_E_clIS7_S7_S8_S8_EESC_SS_SD_SE_SF_EUlSS_E1_NS1_11comp_targetILNS1_3genE5ELNS1_11target_archE942ELNS1_3gpuE9ELNS1_3repE0EEENS1_36merge_oddeven_config_static_selectorELNS0_4arch9wavefront6targetE1EEEvSE_
; %bb.0:
	.section	.rodata,"a",@progbits
	.p2align	6, 0x0
	.amdhsa_kernel _ZN7rocprim17ROCPRIM_400000_NS6detail17trampoline_kernelINS0_14default_configENS1_38merge_sort_block_merge_config_selectorIjyEEZZNS1_27merge_sort_block_merge_implIS3_PjPyjNS1_19radix_merge_compareILb0ELb1EjNS0_19identity_decomposerEEEEE10hipError_tT0_T1_T2_jT3_P12ihipStream_tbPNSt15iterator_traitsISD_E10value_typeEPNSJ_ISE_E10value_typeEPSF_NS1_7vsmem_tEENKUlT_SD_SE_SF_E_clIS7_S7_S8_S8_EESC_SS_SD_SE_SF_EUlSS_E1_NS1_11comp_targetILNS1_3genE5ELNS1_11target_archE942ELNS1_3gpuE9ELNS1_3repE0EEENS1_36merge_oddeven_config_static_selectorELNS0_4arch9wavefront6targetE1EEEvSE_
		.amdhsa_group_segment_fixed_size 0
		.amdhsa_private_segment_fixed_size 0
		.amdhsa_kernarg_size 48
		.amdhsa_user_sgpr_count 6
		.amdhsa_user_sgpr_private_segment_buffer 1
		.amdhsa_user_sgpr_dispatch_ptr 0
		.amdhsa_user_sgpr_queue_ptr 0
		.amdhsa_user_sgpr_kernarg_segment_ptr 1
		.amdhsa_user_sgpr_dispatch_id 0
		.amdhsa_user_sgpr_flat_scratch_init 0
		.amdhsa_user_sgpr_kernarg_preload_length 0
		.amdhsa_user_sgpr_kernarg_preload_offset 0
		.amdhsa_user_sgpr_private_segment_size 0
		.amdhsa_uses_dynamic_stack 0
		.amdhsa_system_sgpr_private_segment_wavefront_offset 0
		.amdhsa_system_sgpr_workgroup_id_x 1
		.amdhsa_system_sgpr_workgroup_id_y 0
		.amdhsa_system_sgpr_workgroup_id_z 0
		.amdhsa_system_sgpr_workgroup_info 0
		.amdhsa_system_vgpr_workitem_id 0
		.amdhsa_next_free_vgpr 1
		.amdhsa_next_free_sgpr 0
		.amdhsa_accum_offset 4
		.amdhsa_reserve_vcc 0
		.amdhsa_reserve_flat_scratch 0
		.amdhsa_float_round_mode_32 0
		.amdhsa_float_round_mode_16_64 0
		.amdhsa_float_denorm_mode_32 3
		.amdhsa_float_denorm_mode_16_64 3
		.amdhsa_dx10_clamp 1
		.amdhsa_ieee_mode 1
		.amdhsa_fp16_overflow 0
		.amdhsa_tg_split 0
		.amdhsa_exception_fp_ieee_invalid_op 0
		.amdhsa_exception_fp_denorm_src 0
		.amdhsa_exception_fp_ieee_div_zero 0
		.amdhsa_exception_fp_ieee_overflow 0
		.amdhsa_exception_fp_ieee_underflow 0
		.amdhsa_exception_fp_ieee_inexact 0
		.amdhsa_exception_int_div_zero 0
	.end_amdhsa_kernel
	.section	.text._ZN7rocprim17ROCPRIM_400000_NS6detail17trampoline_kernelINS0_14default_configENS1_38merge_sort_block_merge_config_selectorIjyEEZZNS1_27merge_sort_block_merge_implIS3_PjPyjNS1_19radix_merge_compareILb0ELb1EjNS0_19identity_decomposerEEEEE10hipError_tT0_T1_T2_jT3_P12ihipStream_tbPNSt15iterator_traitsISD_E10value_typeEPNSJ_ISE_E10value_typeEPSF_NS1_7vsmem_tEENKUlT_SD_SE_SF_E_clIS7_S7_S8_S8_EESC_SS_SD_SE_SF_EUlSS_E1_NS1_11comp_targetILNS1_3genE5ELNS1_11target_archE942ELNS1_3gpuE9ELNS1_3repE0EEENS1_36merge_oddeven_config_static_selectorELNS0_4arch9wavefront6targetE1EEEvSE_,"axG",@progbits,_ZN7rocprim17ROCPRIM_400000_NS6detail17trampoline_kernelINS0_14default_configENS1_38merge_sort_block_merge_config_selectorIjyEEZZNS1_27merge_sort_block_merge_implIS3_PjPyjNS1_19radix_merge_compareILb0ELb1EjNS0_19identity_decomposerEEEEE10hipError_tT0_T1_T2_jT3_P12ihipStream_tbPNSt15iterator_traitsISD_E10value_typeEPNSJ_ISE_E10value_typeEPSF_NS1_7vsmem_tEENKUlT_SD_SE_SF_E_clIS7_S7_S8_S8_EESC_SS_SD_SE_SF_EUlSS_E1_NS1_11comp_targetILNS1_3genE5ELNS1_11target_archE942ELNS1_3gpuE9ELNS1_3repE0EEENS1_36merge_oddeven_config_static_selectorELNS0_4arch9wavefront6targetE1EEEvSE_,comdat
.Lfunc_end520:
	.size	_ZN7rocprim17ROCPRIM_400000_NS6detail17trampoline_kernelINS0_14default_configENS1_38merge_sort_block_merge_config_selectorIjyEEZZNS1_27merge_sort_block_merge_implIS3_PjPyjNS1_19radix_merge_compareILb0ELb1EjNS0_19identity_decomposerEEEEE10hipError_tT0_T1_T2_jT3_P12ihipStream_tbPNSt15iterator_traitsISD_E10value_typeEPNSJ_ISE_E10value_typeEPSF_NS1_7vsmem_tEENKUlT_SD_SE_SF_E_clIS7_S7_S8_S8_EESC_SS_SD_SE_SF_EUlSS_E1_NS1_11comp_targetILNS1_3genE5ELNS1_11target_archE942ELNS1_3gpuE9ELNS1_3repE0EEENS1_36merge_oddeven_config_static_selectorELNS0_4arch9wavefront6targetE1EEEvSE_, .Lfunc_end520-_ZN7rocprim17ROCPRIM_400000_NS6detail17trampoline_kernelINS0_14default_configENS1_38merge_sort_block_merge_config_selectorIjyEEZZNS1_27merge_sort_block_merge_implIS3_PjPyjNS1_19radix_merge_compareILb0ELb1EjNS0_19identity_decomposerEEEEE10hipError_tT0_T1_T2_jT3_P12ihipStream_tbPNSt15iterator_traitsISD_E10value_typeEPNSJ_ISE_E10value_typeEPSF_NS1_7vsmem_tEENKUlT_SD_SE_SF_E_clIS7_S7_S8_S8_EESC_SS_SD_SE_SF_EUlSS_E1_NS1_11comp_targetILNS1_3genE5ELNS1_11target_archE942ELNS1_3gpuE9ELNS1_3repE0EEENS1_36merge_oddeven_config_static_selectorELNS0_4arch9wavefront6targetE1EEEvSE_
                                        ; -- End function
	.section	.AMDGPU.csdata,"",@progbits
; Kernel info:
; codeLenInByte = 0
; NumSgprs: 4
; NumVgprs: 0
; NumAgprs: 0
; TotalNumVgprs: 0
; ScratchSize: 0
; MemoryBound: 0
; FloatMode: 240
; IeeeMode: 1
; LDSByteSize: 0 bytes/workgroup (compile time only)
; SGPRBlocks: 0
; VGPRBlocks: 0
; NumSGPRsForWavesPerEU: 4
; NumVGPRsForWavesPerEU: 1
; AccumOffset: 4
; Occupancy: 8
; WaveLimiterHint : 0
; COMPUTE_PGM_RSRC2:SCRATCH_EN: 0
; COMPUTE_PGM_RSRC2:USER_SGPR: 6
; COMPUTE_PGM_RSRC2:TRAP_HANDLER: 0
; COMPUTE_PGM_RSRC2:TGID_X_EN: 1
; COMPUTE_PGM_RSRC2:TGID_Y_EN: 0
; COMPUTE_PGM_RSRC2:TGID_Z_EN: 0
; COMPUTE_PGM_RSRC2:TIDIG_COMP_CNT: 0
; COMPUTE_PGM_RSRC3_GFX90A:ACCUM_OFFSET: 0
; COMPUTE_PGM_RSRC3_GFX90A:TG_SPLIT: 0
	.section	.text._ZN7rocprim17ROCPRIM_400000_NS6detail17trampoline_kernelINS0_14default_configENS1_38merge_sort_block_merge_config_selectorIjyEEZZNS1_27merge_sort_block_merge_implIS3_PjPyjNS1_19radix_merge_compareILb0ELb1EjNS0_19identity_decomposerEEEEE10hipError_tT0_T1_T2_jT3_P12ihipStream_tbPNSt15iterator_traitsISD_E10value_typeEPNSJ_ISE_E10value_typeEPSF_NS1_7vsmem_tEENKUlT_SD_SE_SF_E_clIS7_S7_S8_S8_EESC_SS_SD_SE_SF_EUlSS_E1_NS1_11comp_targetILNS1_3genE4ELNS1_11target_archE910ELNS1_3gpuE8ELNS1_3repE0EEENS1_36merge_oddeven_config_static_selectorELNS0_4arch9wavefront6targetE1EEEvSE_,"axG",@progbits,_ZN7rocprim17ROCPRIM_400000_NS6detail17trampoline_kernelINS0_14default_configENS1_38merge_sort_block_merge_config_selectorIjyEEZZNS1_27merge_sort_block_merge_implIS3_PjPyjNS1_19radix_merge_compareILb0ELb1EjNS0_19identity_decomposerEEEEE10hipError_tT0_T1_T2_jT3_P12ihipStream_tbPNSt15iterator_traitsISD_E10value_typeEPNSJ_ISE_E10value_typeEPSF_NS1_7vsmem_tEENKUlT_SD_SE_SF_E_clIS7_S7_S8_S8_EESC_SS_SD_SE_SF_EUlSS_E1_NS1_11comp_targetILNS1_3genE4ELNS1_11target_archE910ELNS1_3gpuE8ELNS1_3repE0EEENS1_36merge_oddeven_config_static_selectorELNS0_4arch9wavefront6targetE1EEEvSE_,comdat
	.protected	_ZN7rocprim17ROCPRIM_400000_NS6detail17trampoline_kernelINS0_14default_configENS1_38merge_sort_block_merge_config_selectorIjyEEZZNS1_27merge_sort_block_merge_implIS3_PjPyjNS1_19radix_merge_compareILb0ELb1EjNS0_19identity_decomposerEEEEE10hipError_tT0_T1_T2_jT3_P12ihipStream_tbPNSt15iterator_traitsISD_E10value_typeEPNSJ_ISE_E10value_typeEPSF_NS1_7vsmem_tEENKUlT_SD_SE_SF_E_clIS7_S7_S8_S8_EESC_SS_SD_SE_SF_EUlSS_E1_NS1_11comp_targetILNS1_3genE4ELNS1_11target_archE910ELNS1_3gpuE8ELNS1_3repE0EEENS1_36merge_oddeven_config_static_selectorELNS0_4arch9wavefront6targetE1EEEvSE_ ; -- Begin function _ZN7rocprim17ROCPRIM_400000_NS6detail17trampoline_kernelINS0_14default_configENS1_38merge_sort_block_merge_config_selectorIjyEEZZNS1_27merge_sort_block_merge_implIS3_PjPyjNS1_19radix_merge_compareILb0ELb1EjNS0_19identity_decomposerEEEEE10hipError_tT0_T1_T2_jT3_P12ihipStream_tbPNSt15iterator_traitsISD_E10value_typeEPNSJ_ISE_E10value_typeEPSF_NS1_7vsmem_tEENKUlT_SD_SE_SF_E_clIS7_S7_S8_S8_EESC_SS_SD_SE_SF_EUlSS_E1_NS1_11comp_targetILNS1_3genE4ELNS1_11target_archE910ELNS1_3gpuE8ELNS1_3repE0EEENS1_36merge_oddeven_config_static_selectorELNS0_4arch9wavefront6targetE1EEEvSE_
	.globl	_ZN7rocprim17ROCPRIM_400000_NS6detail17trampoline_kernelINS0_14default_configENS1_38merge_sort_block_merge_config_selectorIjyEEZZNS1_27merge_sort_block_merge_implIS3_PjPyjNS1_19radix_merge_compareILb0ELb1EjNS0_19identity_decomposerEEEEE10hipError_tT0_T1_T2_jT3_P12ihipStream_tbPNSt15iterator_traitsISD_E10value_typeEPNSJ_ISE_E10value_typeEPSF_NS1_7vsmem_tEENKUlT_SD_SE_SF_E_clIS7_S7_S8_S8_EESC_SS_SD_SE_SF_EUlSS_E1_NS1_11comp_targetILNS1_3genE4ELNS1_11target_archE910ELNS1_3gpuE8ELNS1_3repE0EEENS1_36merge_oddeven_config_static_selectorELNS0_4arch9wavefront6targetE1EEEvSE_
	.p2align	8
	.type	_ZN7rocprim17ROCPRIM_400000_NS6detail17trampoline_kernelINS0_14default_configENS1_38merge_sort_block_merge_config_selectorIjyEEZZNS1_27merge_sort_block_merge_implIS3_PjPyjNS1_19radix_merge_compareILb0ELb1EjNS0_19identity_decomposerEEEEE10hipError_tT0_T1_T2_jT3_P12ihipStream_tbPNSt15iterator_traitsISD_E10value_typeEPNSJ_ISE_E10value_typeEPSF_NS1_7vsmem_tEENKUlT_SD_SE_SF_E_clIS7_S7_S8_S8_EESC_SS_SD_SE_SF_EUlSS_E1_NS1_11comp_targetILNS1_3genE4ELNS1_11target_archE910ELNS1_3gpuE8ELNS1_3repE0EEENS1_36merge_oddeven_config_static_selectorELNS0_4arch9wavefront6targetE1EEEvSE_,@function
_ZN7rocprim17ROCPRIM_400000_NS6detail17trampoline_kernelINS0_14default_configENS1_38merge_sort_block_merge_config_selectorIjyEEZZNS1_27merge_sort_block_merge_implIS3_PjPyjNS1_19radix_merge_compareILb0ELb1EjNS0_19identity_decomposerEEEEE10hipError_tT0_T1_T2_jT3_P12ihipStream_tbPNSt15iterator_traitsISD_E10value_typeEPNSJ_ISE_E10value_typeEPSF_NS1_7vsmem_tEENKUlT_SD_SE_SF_E_clIS7_S7_S8_S8_EESC_SS_SD_SE_SF_EUlSS_E1_NS1_11comp_targetILNS1_3genE4ELNS1_11target_archE910ELNS1_3gpuE8ELNS1_3repE0EEENS1_36merge_oddeven_config_static_selectorELNS0_4arch9wavefront6targetE1EEEvSE_: ; @_ZN7rocprim17ROCPRIM_400000_NS6detail17trampoline_kernelINS0_14default_configENS1_38merge_sort_block_merge_config_selectorIjyEEZZNS1_27merge_sort_block_merge_implIS3_PjPyjNS1_19radix_merge_compareILb0ELb1EjNS0_19identity_decomposerEEEEE10hipError_tT0_T1_T2_jT3_P12ihipStream_tbPNSt15iterator_traitsISD_E10value_typeEPNSJ_ISE_E10value_typeEPSF_NS1_7vsmem_tEENKUlT_SD_SE_SF_E_clIS7_S7_S8_S8_EESC_SS_SD_SE_SF_EUlSS_E1_NS1_11comp_targetILNS1_3genE4ELNS1_11target_archE910ELNS1_3gpuE8ELNS1_3repE0EEENS1_36merge_oddeven_config_static_selectorELNS0_4arch9wavefront6targetE1EEEvSE_
; %bb.0:
	s_load_dword s21, s[4:5], 0x20
	s_waitcnt lgkmcnt(0)
	s_lshr_b32 s2, s21, 8
	s_cmp_lg_u32 s6, s2
	s_cselect_b64 s[0:1], -1, 0
	s_cmp_eq_u32 s6, s2
	s_cselect_b64 s[16:17], -1, 0
	s_lshl_b32 s18, s6, 8
	s_sub_i32 s2, s21, s18
	v_cmp_gt_u32_e64 s[2:3], s2, v0
	s_or_b64 s[0:1], s[0:1], s[2:3]
	s_and_saveexec_b64 s[8:9], s[0:1]
	s_cbranch_execz .LBB521_26
; %bb.1:
	s_load_dwordx8 s[8:15], s[4:5], 0x0
	s_mov_b32 s19, 0
	s_lshl_b64 s[0:1], s[18:19], 2
	v_lshlrev_b32_e32 v4, 3, v0
	v_lshlrev_b32_e32 v1, 2, v0
	s_waitcnt lgkmcnt(0)
	s_add_u32 s0, s8, s0
	s_addc_u32 s1, s9, s1
	s_lshl_b64 s[22:23], s[18:19], 3
	s_add_u32 s12, s12, s22
	s_addc_u32 s13, s13, s23
	global_load_dwordx2 v[2:3], v4, s[12:13]
	global_load_dword v6, v1, s[0:1]
	s_load_dword s22, s[4:5], 0x24
	v_add_u32_e32 v4, s18, v0
	s_waitcnt lgkmcnt(0)
	s_lshr_b32 s0, s22, 8
	s_sub_i32 s1, 0, s0
	s_and_b32 s1, s6, s1
	s_and_b32 s0, s1, s0
	s_lshl_b32 s23, s1, 8
	s_sub_i32 s12, 0, s22
	s_cmp_eq_u32 s0, 0
	s_cselect_b64 s[0:1], -1, 0
	s_and_b64 s[6:7], s[0:1], exec
	s_cselect_b32 s20, s22, s12
	s_add_i32 s20, s20, s23
	s_cmp_lt_u32 s20, s21
	s_cbranch_scc1 .LBB521_6
; %bb.2:
	s_and_b64 vcc, exec, s[16:17]
	s_cbranch_vccz .LBB521_7
; %bb.3:
	v_cmp_gt_u32_e32 vcc, s21, v4
	s_mov_b64 s[12:13], 0
	s_mov_b64 s[6:7], 0
                                        ; implicit-def: $vgpr0_vgpr1
	s_and_saveexec_b64 s[18:19], vcc
	s_cbranch_execz .LBB521_5
; %bb.4:
	v_mov_b32_e32 v5, 0
	v_lshlrev_b64 v[0:1], 3, v[4:5]
	v_mov_b32_e32 v7, s15
	v_add_co_u32_e32 v0, vcc, s14, v0
	v_addc_co_u32_e32 v1, vcc, v7, v1, vcc
	v_lshlrev_b64 v[8:9], 2, v[4:5]
	v_mov_b32_e32 v5, s11
	v_add_co_u32_e32 v8, vcc, s10, v8
	s_mov_b64 s[6:7], exec
	v_addc_co_u32_e32 v9, vcc, v5, v9, vcc
	s_waitcnt vmcnt(0)
	global_store_dword v[8:9], v6, off
.LBB521_5:
	s_or_b64 exec, exec, s[18:19]
	s_and_b64 vcc, exec, s[12:13]
	s_cbranch_vccnz .LBB521_8
	s_branch .LBB521_9
.LBB521_6:
	s_mov_b64 s[6:7], 0
                                        ; implicit-def: $vgpr0_vgpr1
	s_cbranch_execnz .LBB521_10
	s_branch .LBB521_24
.LBB521_7:
	s_mov_b64 s[6:7], 0
                                        ; implicit-def: $vgpr0_vgpr1
	s_cbranch_execz .LBB521_9
.LBB521_8:
	v_mov_b32_e32 v5, 0
	v_lshlrev_b64 v[0:1], 2, v[4:5]
	v_mov_b32_e32 v7, s11
	v_add_co_u32_e32 v0, vcc, s10, v0
	v_addc_co_u32_e32 v1, vcc, v7, v1, vcc
	s_waitcnt vmcnt(0)
	global_store_dword v[0:1], v6, off
	v_lshlrev_b64 v[0:1], 3, v[4:5]
	v_mov_b32_e32 v5, s15
	v_add_co_u32_e32 v0, vcc, s14, v0
	v_addc_co_u32_e32 v1, vcc, v5, v1, vcc
	s_or_b64 s[6:7], s[6:7], exec
.LBB521_9:
	s_branch .LBB521_24
.LBB521_10:
	s_load_dword s12, s[4:5], 0x28
	s_min_u32 s13, s20, s21
	s_add_i32 s4, s13, s22
	s_min_u32 s18, s4, s21
	s_min_u32 s4, s23, s13
	s_add_i32 s23, s23, s13
	v_subrev_u32_e32 v0, s23, v4
	v_add_u32_e32 v4, s4, v0
	s_and_b64 vcc, exec, s[16:17]
	s_cbranch_vccz .LBB521_18
; %bb.11:
                                        ; implicit-def: $vgpr0_vgpr1
	s_and_saveexec_b64 s[4:5], s[2:3]
	s_cbranch_execz .LBB521_17
; %bb.12:
	s_cmp_ge_u32 s20, s18
	v_mov_b32_e32 v5, s13
	s_cbranch_scc1 .LBB521_16
; %bb.13:
	s_waitcnt vmcnt(0) lgkmcnt(0)
	v_and_b32_e32 v7, s12, v6
	s_mov_b64 s[2:3], 0
	v_mov_b32_e32 v8, s18
	v_mov_b32_e32 v5, s13
	;; [unrolled: 1-line block ×4, first 2 shown]
.LBB521_14:                             ; =>This Inner Loop Header: Depth=1
	v_add_u32_e32 v0, v5, v8
	v_lshrrev_b32_e32 v0, 1, v0
	v_lshlrev_b64 v[10:11], 2, v[0:1]
	v_add_co_u32_e32 v10, vcc, s8, v10
	v_addc_co_u32_e32 v11, vcc, v9, v11, vcc
	global_load_dword v10, v[10:11], off
	v_add_u32_e32 v11, 1, v0
	s_waitcnt vmcnt(0)
	v_and_b32_e32 v10, s12, v10
	v_cmp_gt_u32_e32 vcc, v7, v10
	v_cndmask_b32_e64 v12, 0, 1, vcc
	v_cmp_le_u32_e32 vcc, v10, v7
	v_cndmask_b32_e64 v10, 0, 1, vcc
	v_cndmask_b32_e64 v10, v10, v12, s[0:1]
	v_and_b32_e32 v10, 1, v10
	v_cmp_eq_u32_e32 vcc, 1, v10
	v_cndmask_b32_e32 v8, v0, v8, vcc
	v_cndmask_b32_e32 v5, v5, v11, vcc
	v_cmp_ge_u32_e32 vcc, v5, v8
	s_or_b64 s[2:3], vcc, s[2:3]
	s_andn2_b64 exec, exec, s[2:3]
	s_cbranch_execnz .LBB521_14
; %bb.15:
	s_or_b64 exec, exec, s[2:3]
.LBB521_16:
	v_add_u32_e32 v0, v5, v4
	v_mov_b32_e32 v1, 0
	v_lshlrev_b64 v[8:9], 2, v[0:1]
	v_mov_b32_e32 v5, s11
	v_add_co_u32_e32 v8, vcc, s10, v8
	v_addc_co_u32_e32 v9, vcc, v5, v9, vcc
	v_lshlrev_b64 v[0:1], 3, v[0:1]
	v_mov_b32_e32 v5, s15
	v_add_co_u32_e32 v0, vcc, s14, v0
	s_waitcnt vmcnt(0)
	global_store_dword v[8:9], v6, off
	v_addc_co_u32_e32 v1, vcc, v5, v1, vcc
	s_or_b64 s[6:7], s[6:7], exec
.LBB521_17:
	s_or_b64 exec, exec, s[4:5]
	s_branch .LBB521_24
.LBB521_18:
                                        ; implicit-def: $vgpr0_vgpr1
	s_cbranch_execz .LBB521_24
; %bb.19:
	s_cmp_ge_u32 s20, s18
	v_mov_b32_e32 v5, s13
	s_cbranch_scc1 .LBB521_23
; %bb.20:
	s_waitcnt vmcnt(0) lgkmcnt(0)
	v_and_b32_e32 v7, s12, v6
	s_mov_b64 s[2:3], 0
	v_mov_b32_e32 v8, s18
	v_mov_b32_e32 v5, s13
	;; [unrolled: 1-line block ×4, first 2 shown]
.LBB521_21:                             ; =>This Inner Loop Header: Depth=1
	v_add_u32_e32 v0, v5, v8
	v_lshrrev_b32_e32 v0, 1, v0
	v_lshlrev_b64 v[10:11], 2, v[0:1]
	v_add_co_u32_e32 v10, vcc, s8, v10
	v_addc_co_u32_e32 v11, vcc, v9, v11, vcc
	global_load_dword v10, v[10:11], off
	v_add_u32_e32 v11, 1, v0
	s_waitcnt vmcnt(0)
	v_and_b32_e32 v10, s12, v10
	v_cmp_gt_u32_e32 vcc, v7, v10
	v_cndmask_b32_e64 v12, 0, 1, vcc
	v_cmp_le_u32_e32 vcc, v10, v7
	v_cndmask_b32_e64 v10, 0, 1, vcc
	v_cndmask_b32_e64 v10, v10, v12, s[0:1]
	v_and_b32_e32 v10, 1, v10
	v_cmp_eq_u32_e32 vcc, 1, v10
	v_cndmask_b32_e32 v8, v0, v8, vcc
	v_cndmask_b32_e32 v5, v5, v11, vcc
	v_cmp_ge_u32_e32 vcc, v5, v8
	s_or_b64 s[2:3], vcc, s[2:3]
	s_andn2_b64 exec, exec, s[2:3]
	s_cbranch_execnz .LBB521_21
; %bb.22:
	s_or_b64 exec, exec, s[2:3]
.LBB521_23:
	v_add_u32_e32 v0, v5, v4
	v_mov_b32_e32 v1, 0
	v_lshlrev_b64 v[4:5], 2, v[0:1]
	v_mov_b32_e32 v7, s11
	v_add_co_u32_e32 v4, vcc, s10, v4
	v_addc_co_u32_e32 v5, vcc, v7, v5, vcc
	v_lshlrev_b64 v[0:1], 3, v[0:1]
	s_waitcnt vmcnt(0)
	global_store_dword v[4:5], v6, off
	v_mov_b32_e32 v4, s15
	v_add_co_u32_e32 v0, vcc, s14, v0
	v_addc_co_u32_e32 v1, vcc, v4, v1, vcc
	s_mov_b64 s[6:7], -1
.LBB521_24:
	s_and_b64 exec, exec, s[6:7]
	s_cbranch_execz .LBB521_26
; %bb.25:
	s_waitcnt vmcnt(1)
	global_store_dwordx2 v[0:1], v[2:3], off
.LBB521_26:
	s_endpgm
	.section	.rodata,"a",@progbits
	.p2align	6, 0x0
	.amdhsa_kernel _ZN7rocprim17ROCPRIM_400000_NS6detail17trampoline_kernelINS0_14default_configENS1_38merge_sort_block_merge_config_selectorIjyEEZZNS1_27merge_sort_block_merge_implIS3_PjPyjNS1_19radix_merge_compareILb0ELb1EjNS0_19identity_decomposerEEEEE10hipError_tT0_T1_T2_jT3_P12ihipStream_tbPNSt15iterator_traitsISD_E10value_typeEPNSJ_ISE_E10value_typeEPSF_NS1_7vsmem_tEENKUlT_SD_SE_SF_E_clIS7_S7_S8_S8_EESC_SS_SD_SE_SF_EUlSS_E1_NS1_11comp_targetILNS1_3genE4ELNS1_11target_archE910ELNS1_3gpuE8ELNS1_3repE0EEENS1_36merge_oddeven_config_static_selectorELNS0_4arch9wavefront6targetE1EEEvSE_
		.amdhsa_group_segment_fixed_size 0
		.amdhsa_private_segment_fixed_size 0
		.amdhsa_kernarg_size 48
		.amdhsa_user_sgpr_count 6
		.amdhsa_user_sgpr_private_segment_buffer 1
		.amdhsa_user_sgpr_dispatch_ptr 0
		.amdhsa_user_sgpr_queue_ptr 0
		.amdhsa_user_sgpr_kernarg_segment_ptr 1
		.amdhsa_user_sgpr_dispatch_id 0
		.amdhsa_user_sgpr_flat_scratch_init 0
		.amdhsa_user_sgpr_kernarg_preload_length 0
		.amdhsa_user_sgpr_kernarg_preload_offset 0
		.amdhsa_user_sgpr_private_segment_size 0
		.amdhsa_uses_dynamic_stack 0
		.amdhsa_system_sgpr_private_segment_wavefront_offset 0
		.amdhsa_system_sgpr_workgroup_id_x 1
		.amdhsa_system_sgpr_workgroup_id_y 0
		.amdhsa_system_sgpr_workgroup_id_z 0
		.amdhsa_system_sgpr_workgroup_info 0
		.amdhsa_system_vgpr_workitem_id 0
		.amdhsa_next_free_vgpr 13
		.amdhsa_next_free_sgpr 24
		.amdhsa_accum_offset 16
		.amdhsa_reserve_vcc 1
		.amdhsa_reserve_flat_scratch 0
		.amdhsa_float_round_mode_32 0
		.amdhsa_float_round_mode_16_64 0
		.amdhsa_float_denorm_mode_32 3
		.amdhsa_float_denorm_mode_16_64 3
		.amdhsa_dx10_clamp 1
		.amdhsa_ieee_mode 1
		.amdhsa_fp16_overflow 0
		.amdhsa_tg_split 0
		.amdhsa_exception_fp_ieee_invalid_op 0
		.amdhsa_exception_fp_denorm_src 0
		.amdhsa_exception_fp_ieee_div_zero 0
		.amdhsa_exception_fp_ieee_overflow 0
		.amdhsa_exception_fp_ieee_underflow 0
		.amdhsa_exception_fp_ieee_inexact 0
		.amdhsa_exception_int_div_zero 0
	.end_amdhsa_kernel
	.section	.text._ZN7rocprim17ROCPRIM_400000_NS6detail17trampoline_kernelINS0_14default_configENS1_38merge_sort_block_merge_config_selectorIjyEEZZNS1_27merge_sort_block_merge_implIS3_PjPyjNS1_19radix_merge_compareILb0ELb1EjNS0_19identity_decomposerEEEEE10hipError_tT0_T1_T2_jT3_P12ihipStream_tbPNSt15iterator_traitsISD_E10value_typeEPNSJ_ISE_E10value_typeEPSF_NS1_7vsmem_tEENKUlT_SD_SE_SF_E_clIS7_S7_S8_S8_EESC_SS_SD_SE_SF_EUlSS_E1_NS1_11comp_targetILNS1_3genE4ELNS1_11target_archE910ELNS1_3gpuE8ELNS1_3repE0EEENS1_36merge_oddeven_config_static_selectorELNS0_4arch9wavefront6targetE1EEEvSE_,"axG",@progbits,_ZN7rocprim17ROCPRIM_400000_NS6detail17trampoline_kernelINS0_14default_configENS1_38merge_sort_block_merge_config_selectorIjyEEZZNS1_27merge_sort_block_merge_implIS3_PjPyjNS1_19radix_merge_compareILb0ELb1EjNS0_19identity_decomposerEEEEE10hipError_tT0_T1_T2_jT3_P12ihipStream_tbPNSt15iterator_traitsISD_E10value_typeEPNSJ_ISE_E10value_typeEPSF_NS1_7vsmem_tEENKUlT_SD_SE_SF_E_clIS7_S7_S8_S8_EESC_SS_SD_SE_SF_EUlSS_E1_NS1_11comp_targetILNS1_3genE4ELNS1_11target_archE910ELNS1_3gpuE8ELNS1_3repE0EEENS1_36merge_oddeven_config_static_selectorELNS0_4arch9wavefront6targetE1EEEvSE_,comdat
.Lfunc_end521:
	.size	_ZN7rocprim17ROCPRIM_400000_NS6detail17trampoline_kernelINS0_14default_configENS1_38merge_sort_block_merge_config_selectorIjyEEZZNS1_27merge_sort_block_merge_implIS3_PjPyjNS1_19radix_merge_compareILb0ELb1EjNS0_19identity_decomposerEEEEE10hipError_tT0_T1_T2_jT3_P12ihipStream_tbPNSt15iterator_traitsISD_E10value_typeEPNSJ_ISE_E10value_typeEPSF_NS1_7vsmem_tEENKUlT_SD_SE_SF_E_clIS7_S7_S8_S8_EESC_SS_SD_SE_SF_EUlSS_E1_NS1_11comp_targetILNS1_3genE4ELNS1_11target_archE910ELNS1_3gpuE8ELNS1_3repE0EEENS1_36merge_oddeven_config_static_selectorELNS0_4arch9wavefront6targetE1EEEvSE_, .Lfunc_end521-_ZN7rocprim17ROCPRIM_400000_NS6detail17trampoline_kernelINS0_14default_configENS1_38merge_sort_block_merge_config_selectorIjyEEZZNS1_27merge_sort_block_merge_implIS3_PjPyjNS1_19radix_merge_compareILb0ELb1EjNS0_19identity_decomposerEEEEE10hipError_tT0_T1_T2_jT3_P12ihipStream_tbPNSt15iterator_traitsISD_E10value_typeEPNSJ_ISE_E10value_typeEPSF_NS1_7vsmem_tEENKUlT_SD_SE_SF_E_clIS7_S7_S8_S8_EESC_SS_SD_SE_SF_EUlSS_E1_NS1_11comp_targetILNS1_3genE4ELNS1_11target_archE910ELNS1_3gpuE8ELNS1_3repE0EEENS1_36merge_oddeven_config_static_selectorELNS0_4arch9wavefront6targetE1EEEvSE_
                                        ; -- End function
	.section	.AMDGPU.csdata,"",@progbits
; Kernel info:
; codeLenInByte = 900
; NumSgprs: 28
; NumVgprs: 13
; NumAgprs: 0
; TotalNumVgprs: 13
; ScratchSize: 0
; MemoryBound: 0
; FloatMode: 240
; IeeeMode: 1
; LDSByteSize: 0 bytes/workgroup (compile time only)
; SGPRBlocks: 3
; VGPRBlocks: 1
; NumSGPRsForWavesPerEU: 28
; NumVGPRsForWavesPerEU: 13
; AccumOffset: 16
; Occupancy: 8
; WaveLimiterHint : 0
; COMPUTE_PGM_RSRC2:SCRATCH_EN: 0
; COMPUTE_PGM_RSRC2:USER_SGPR: 6
; COMPUTE_PGM_RSRC2:TRAP_HANDLER: 0
; COMPUTE_PGM_RSRC2:TGID_X_EN: 1
; COMPUTE_PGM_RSRC2:TGID_Y_EN: 0
; COMPUTE_PGM_RSRC2:TGID_Z_EN: 0
; COMPUTE_PGM_RSRC2:TIDIG_COMP_CNT: 0
; COMPUTE_PGM_RSRC3_GFX90A:ACCUM_OFFSET: 3
; COMPUTE_PGM_RSRC3_GFX90A:TG_SPLIT: 0
	.section	.text._ZN7rocprim17ROCPRIM_400000_NS6detail17trampoline_kernelINS0_14default_configENS1_38merge_sort_block_merge_config_selectorIjyEEZZNS1_27merge_sort_block_merge_implIS3_PjPyjNS1_19radix_merge_compareILb0ELb1EjNS0_19identity_decomposerEEEEE10hipError_tT0_T1_T2_jT3_P12ihipStream_tbPNSt15iterator_traitsISD_E10value_typeEPNSJ_ISE_E10value_typeEPSF_NS1_7vsmem_tEENKUlT_SD_SE_SF_E_clIS7_S7_S8_S8_EESC_SS_SD_SE_SF_EUlSS_E1_NS1_11comp_targetILNS1_3genE3ELNS1_11target_archE908ELNS1_3gpuE7ELNS1_3repE0EEENS1_36merge_oddeven_config_static_selectorELNS0_4arch9wavefront6targetE1EEEvSE_,"axG",@progbits,_ZN7rocprim17ROCPRIM_400000_NS6detail17trampoline_kernelINS0_14default_configENS1_38merge_sort_block_merge_config_selectorIjyEEZZNS1_27merge_sort_block_merge_implIS3_PjPyjNS1_19radix_merge_compareILb0ELb1EjNS0_19identity_decomposerEEEEE10hipError_tT0_T1_T2_jT3_P12ihipStream_tbPNSt15iterator_traitsISD_E10value_typeEPNSJ_ISE_E10value_typeEPSF_NS1_7vsmem_tEENKUlT_SD_SE_SF_E_clIS7_S7_S8_S8_EESC_SS_SD_SE_SF_EUlSS_E1_NS1_11comp_targetILNS1_3genE3ELNS1_11target_archE908ELNS1_3gpuE7ELNS1_3repE0EEENS1_36merge_oddeven_config_static_selectorELNS0_4arch9wavefront6targetE1EEEvSE_,comdat
	.protected	_ZN7rocprim17ROCPRIM_400000_NS6detail17trampoline_kernelINS0_14default_configENS1_38merge_sort_block_merge_config_selectorIjyEEZZNS1_27merge_sort_block_merge_implIS3_PjPyjNS1_19radix_merge_compareILb0ELb1EjNS0_19identity_decomposerEEEEE10hipError_tT0_T1_T2_jT3_P12ihipStream_tbPNSt15iterator_traitsISD_E10value_typeEPNSJ_ISE_E10value_typeEPSF_NS1_7vsmem_tEENKUlT_SD_SE_SF_E_clIS7_S7_S8_S8_EESC_SS_SD_SE_SF_EUlSS_E1_NS1_11comp_targetILNS1_3genE3ELNS1_11target_archE908ELNS1_3gpuE7ELNS1_3repE0EEENS1_36merge_oddeven_config_static_selectorELNS0_4arch9wavefront6targetE1EEEvSE_ ; -- Begin function _ZN7rocprim17ROCPRIM_400000_NS6detail17trampoline_kernelINS0_14default_configENS1_38merge_sort_block_merge_config_selectorIjyEEZZNS1_27merge_sort_block_merge_implIS3_PjPyjNS1_19radix_merge_compareILb0ELb1EjNS0_19identity_decomposerEEEEE10hipError_tT0_T1_T2_jT3_P12ihipStream_tbPNSt15iterator_traitsISD_E10value_typeEPNSJ_ISE_E10value_typeEPSF_NS1_7vsmem_tEENKUlT_SD_SE_SF_E_clIS7_S7_S8_S8_EESC_SS_SD_SE_SF_EUlSS_E1_NS1_11comp_targetILNS1_3genE3ELNS1_11target_archE908ELNS1_3gpuE7ELNS1_3repE0EEENS1_36merge_oddeven_config_static_selectorELNS0_4arch9wavefront6targetE1EEEvSE_
	.globl	_ZN7rocprim17ROCPRIM_400000_NS6detail17trampoline_kernelINS0_14default_configENS1_38merge_sort_block_merge_config_selectorIjyEEZZNS1_27merge_sort_block_merge_implIS3_PjPyjNS1_19radix_merge_compareILb0ELb1EjNS0_19identity_decomposerEEEEE10hipError_tT0_T1_T2_jT3_P12ihipStream_tbPNSt15iterator_traitsISD_E10value_typeEPNSJ_ISE_E10value_typeEPSF_NS1_7vsmem_tEENKUlT_SD_SE_SF_E_clIS7_S7_S8_S8_EESC_SS_SD_SE_SF_EUlSS_E1_NS1_11comp_targetILNS1_3genE3ELNS1_11target_archE908ELNS1_3gpuE7ELNS1_3repE0EEENS1_36merge_oddeven_config_static_selectorELNS0_4arch9wavefront6targetE1EEEvSE_
	.p2align	8
	.type	_ZN7rocprim17ROCPRIM_400000_NS6detail17trampoline_kernelINS0_14default_configENS1_38merge_sort_block_merge_config_selectorIjyEEZZNS1_27merge_sort_block_merge_implIS3_PjPyjNS1_19radix_merge_compareILb0ELb1EjNS0_19identity_decomposerEEEEE10hipError_tT0_T1_T2_jT3_P12ihipStream_tbPNSt15iterator_traitsISD_E10value_typeEPNSJ_ISE_E10value_typeEPSF_NS1_7vsmem_tEENKUlT_SD_SE_SF_E_clIS7_S7_S8_S8_EESC_SS_SD_SE_SF_EUlSS_E1_NS1_11comp_targetILNS1_3genE3ELNS1_11target_archE908ELNS1_3gpuE7ELNS1_3repE0EEENS1_36merge_oddeven_config_static_selectorELNS0_4arch9wavefront6targetE1EEEvSE_,@function
_ZN7rocprim17ROCPRIM_400000_NS6detail17trampoline_kernelINS0_14default_configENS1_38merge_sort_block_merge_config_selectorIjyEEZZNS1_27merge_sort_block_merge_implIS3_PjPyjNS1_19radix_merge_compareILb0ELb1EjNS0_19identity_decomposerEEEEE10hipError_tT0_T1_T2_jT3_P12ihipStream_tbPNSt15iterator_traitsISD_E10value_typeEPNSJ_ISE_E10value_typeEPSF_NS1_7vsmem_tEENKUlT_SD_SE_SF_E_clIS7_S7_S8_S8_EESC_SS_SD_SE_SF_EUlSS_E1_NS1_11comp_targetILNS1_3genE3ELNS1_11target_archE908ELNS1_3gpuE7ELNS1_3repE0EEENS1_36merge_oddeven_config_static_selectorELNS0_4arch9wavefront6targetE1EEEvSE_: ; @_ZN7rocprim17ROCPRIM_400000_NS6detail17trampoline_kernelINS0_14default_configENS1_38merge_sort_block_merge_config_selectorIjyEEZZNS1_27merge_sort_block_merge_implIS3_PjPyjNS1_19radix_merge_compareILb0ELb1EjNS0_19identity_decomposerEEEEE10hipError_tT0_T1_T2_jT3_P12ihipStream_tbPNSt15iterator_traitsISD_E10value_typeEPNSJ_ISE_E10value_typeEPSF_NS1_7vsmem_tEENKUlT_SD_SE_SF_E_clIS7_S7_S8_S8_EESC_SS_SD_SE_SF_EUlSS_E1_NS1_11comp_targetILNS1_3genE3ELNS1_11target_archE908ELNS1_3gpuE7ELNS1_3repE0EEENS1_36merge_oddeven_config_static_selectorELNS0_4arch9wavefront6targetE1EEEvSE_
; %bb.0:
	.section	.rodata,"a",@progbits
	.p2align	6, 0x0
	.amdhsa_kernel _ZN7rocprim17ROCPRIM_400000_NS6detail17trampoline_kernelINS0_14default_configENS1_38merge_sort_block_merge_config_selectorIjyEEZZNS1_27merge_sort_block_merge_implIS3_PjPyjNS1_19radix_merge_compareILb0ELb1EjNS0_19identity_decomposerEEEEE10hipError_tT0_T1_T2_jT3_P12ihipStream_tbPNSt15iterator_traitsISD_E10value_typeEPNSJ_ISE_E10value_typeEPSF_NS1_7vsmem_tEENKUlT_SD_SE_SF_E_clIS7_S7_S8_S8_EESC_SS_SD_SE_SF_EUlSS_E1_NS1_11comp_targetILNS1_3genE3ELNS1_11target_archE908ELNS1_3gpuE7ELNS1_3repE0EEENS1_36merge_oddeven_config_static_selectorELNS0_4arch9wavefront6targetE1EEEvSE_
		.amdhsa_group_segment_fixed_size 0
		.amdhsa_private_segment_fixed_size 0
		.amdhsa_kernarg_size 48
		.amdhsa_user_sgpr_count 6
		.amdhsa_user_sgpr_private_segment_buffer 1
		.amdhsa_user_sgpr_dispatch_ptr 0
		.amdhsa_user_sgpr_queue_ptr 0
		.amdhsa_user_sgpr_kernarg_segment_ptr 1
		.amdhsa_user_sgpr_dispatch_id 0
		.amdhsa_user_sgpr_flat_scratch_init 0
		.amdhsa_user_sgpr_kernarg_preload_length 0
		.amdhsa_user_sgpr_kernarg_preload_offset 0
		.amdhsa_user_sgpr_private_segment_size 0
		.amdhsa_uses_dynamic_stack 0
		.amdhsa_system_sgpr_private_segment_wavefront_offset 0
		.amdhsa_system_sgpr_workgroup_id_x 1
		.amdhsa_system_sgpr_workgroup_id_y 0
		.amdhsa_system_sgpr_workgroup_id_z 0
		.amdhsa_system_sgpr_workgroup_info 0
		.amdhsa_system_vgpr_workitem_id 0
		.amdhsa_next_free_vgpr 1
		.amdhsa_next_free_sgpr 0
		.amdhsa_accum_offset 4
		.amdhsa_reserve_vcc 0
		.amdhsa_reserve_flat_scratch 0
		.amdhsa_float_round_mode_32 0
		.amdhsa_float_round_mode_16_64 0
		.amdhsa_float_denorm_mode_32 3
		.amdhsa_float_denorm_mode_16_64 3
		.amdhsa_dx10_clamp 1
		.amdhsa_ieee_mode 1
		.amdhsa_fp16_overflow 0
		.amdhsa_tg_split 0
		.amdhsa_exception_fp_ieee_invalid_op 0
		.amdhsa_exception_fp_denorm_src 0
		.amdhsa_exception_fp_ieee_div_zero 0
		.amdhsa_exception_fp_ieee_overflow 0
		.amdhsa_exception_fp_ieee_underflow 0
		.amdhsa_exception_fp_ieee_inexact 0
		.amdhsa_exception_int_div_zero 0
	.end_amdhsa_kernel
	.section	.text._ZN7rocprim17ROCPRIM_400000_NS6detail17trampoline_kernelINS0_14default_configENS1_38merge_sort_block_merge_config_selectorIjyEEZZNS1_27merge_sort_block_merge_implIS3_PjPyjNS1_19radix_merge_compareILb0ELb1EjNS0_19identity_decomposerEEEEE10hipError_tT0_T1_T2_jT3_P12ihipStream_tbPNSt15iterator_traitsISD_E10value_typeEPNSJ_ISE_E10value_typeEPSF_NS1_7vsmem_tEENKUlT_SD_SE_SF_E_clIS7_S7_S8_S8_EESC_SS_SD_SE_SF_EUlSS_E1_NS1_11comp_targetILNS1_3genE3ELNS1_11target_archE908ELNS1_3gpuE7ELNS1_3repE0EEENS1_36merge_oddeven_config_static_selectorELNS0_4arch9wavefront6targetE1EEEvSE_,"axG",@progbits,_ZN7rocprim17ROCPRIM_400000_NS6detail17trampoline_kernelINS0_14default_configENS1_38merge_sort_block_merge_config_selectorIjyEEZZNS1_27merge_sort_block_merge_implIS3_PjPyjNS1_19radix_merge_compareILb0ELb1EjNS0_19identity_decomposerEEEEE10hipError_tT0_T1_T2_jT3_P12ihipStream_tbPNSt15iterator_traitsISD_E10value_typeEPNSJ_ISE_E10value_typeEPSF_NS1_7vsmem_tEENKUlT_SD_SE_SF_E_clIS7_S7_S8_S8_EESC_SS_SD_SE_SF_EUlSS_E1_NS1_11comp_targetILNS1_3genE3ELNS1_11target_archE908ELNS1_3gpuE7ELNS1_3repE0EEENS1_36merge_oddeven_config_static_selectorELNS0_4arch9wavefront6targetE1EEEvSE_,comdat
.Lfunc_end522:
	.size	_ZN7rocprim17ROCPRIM_400000_NS6detail17trampoline_kernelINS0_14default_configENS1_38merge_sort_block_merge_config_selectorIjyEEZZNS1_27merge_sort_block_merge_implIS3_PjPyjNS1_19radix_merge_compareILb0ELb1EjNS0_19identity_decomposerEEEEE10hipError_tT0_T1_T2_jT3_P12ihipStream_tbPNSt15iterator_traitsISD_E10value_typeEPNSJ_ISE_E10value_typeEPSF_NS1_7vsmem_tEENKUlT_SD_SE_SF_E_clIS7_S7_S8_S8_EESC_SS_SD_SE_SF_EUlSS_E1_NS1_11comp_targetILNS1_3genE3ELNS1_11target_archE908ELNS1_3gpuE7ELNS1_3repE0EEENS1_36merge_oddeven_config_static_selectorELNS0_4arch9wavefront6targetE1EEEvSE_, .Lfunc_end522-_ZN7rocprim17ROCPRIM_400000_NS6detail17trampoline_kernelINS0_14default_configENS1_38merge_sort_block_merge_config_selectorIjyEEZZNS1_27merge_sort_block_merge_implIS3_PjPyjNS1_19radix_merge_compareILb0ELb1EjNS0_19identity_decomposerEEEEE10hipError_tT0_T1_T2_jT3_P12ihipStream_tbPNSt15iterator_traitsISD_E10value_typeEPNSJ_ISE_E10value_typeEPSF_NS1_7vsmem_tEENKUlT_SD_SE_SF_E_clIS7_S7_S8_S8_EESC_SS_SD_SE_SF_EUlSS_E1_NS1_11comp_targetILNS1_3genE3ELNS1_11target_archE908ELNS1_3gpuE7ELNS1_3repE0EEENS1_36merge_oddeven_config_static_selectorELNS0_4arch9wavefront6targetE1EEEvSE_
                                        ; -- End function
	.section	.AMDGPU.csdata,"",@progbits
; Kernel info:
; codeLenInByte = 0
; NumSgprs: 4
; NumVgprs: 0
; NumAgprs: 0
; TotalNumVgprs: 0
; ScratchSize: 0
; MemoryBound: 0
; FloatMode: 240
; IeeeMode: 1
; LDSByteSize: 0 bytes/workgroup (compile time only)
; SGPRBlocks: 0
; VGPRBlocks: 0
; NumSGPRsForWavesPerEU: 4
; NumVGPRsForWavesPerEU: 1
; AccumOffset: 4
; Occupancy: 8
; WaveLimiterHint : 0
; COMPUTE_PGM_RSRC2:SCRATCH_EN: 0
; COMPUTE_PGM_RSRC2:USER_SGPR: 6
; COMPUTE_PGM_RSRC2:TRAP_HANDLER: 0
; COMPUTE_PGM_RSRC2:TGID_X_EN: 1
; COMPUTE_PGM_RSRC2:TGID_Y_EN: 0
; COMPUTE_PGM_RSRC2:TGID_Z_EN: 0
; COMPUTE_PGM_RSRC2:TIDIG_COMP_CNT: 0
; COMPUTE_PGM_RSRC3_GFX90A:ACCUM_OFFSET: 0
; COMPUTE_PGM_RSRC3_GFX90A:TG_SPLIT: 0
	.section	.text._ZN7rocprim17ROCPRIM_400000_NS6detail17trampoline_kernelINS0_14default_configENS1_38merge_sort_block_merge_config_selectorIjyEEZZNS1_27merge_sort_block_merge_implIS3_PjPyjNS1_19radix_merge_compareILb0ELb1EjNS0_19identity_decomposerEEEEE10hipError_tT0_T1_T2_jT3_P12ihipStream_tbPNSt15iterator_traitsISD_E10value_typeEPNSJ_ISE_E10value_typeEPSF_NS1_7vsmem_tEENKUlT_SD_SE_SF_E_clIS7_S7_S8_S8_EESC_SS_SD_SE_SF_EUlSS_E1_NS1_11comp_targetILNS1_3genE2ELNS1_11target_archE906ELNS1_3gpuE6ELNS1_3repE0EEENS1_36merge_oddeven_config_static_selectorELNS0_4arch9wavefront6targetE1EEEvSE_,"axG",@progbits,_ZN7rocprim17ROCPRIM_400000_NS6detail17trampoline_kernelINS0_14default_configENS1_38merge_sort_block_merge_config_selectorIjyEEZZNS1_27merge_sort_block_merge_implIS3_PjPyjNS1_19radix_merge_compareILb0ELb1EjNS0_19identity_decomposerEEEEE10hipError_tT0_T1_T2_jT3_P12ihipStream_tbPNSt15iterator_traitsISD_E10value_typeEPNSJ_ISE_E10value_typeEPSF_NS1_7vsmem_tEENKUlT_SD_SE_SF_E_clIS7_S7_S8_S8_EESC_SS_SD_SE_SF_EUlSS_E1_NS1_11comp_targetILNS1_3genE2ELNS1_11target_archE906ELNS1_3gpuE6ELNS1_3repE0EEENS1_36merge_oddeven_config_static_selectorELNS0_4arch9wavefront6targetE1EEEvSE_,comdat
	.protected	_ZN7rocprim17ROCPRIM_400000_NS6detail17trampoline_kernelINS0_14default_configENS1_38merge_sort_block_merge_config_selectorIjyEEZZNS1_27merge_sort_block_merge_implIS3_PjPyjNS1_19radix_merge_compareILb0ELb1EjNS0_19identity_decomposerEEEEE10hipError_tT0_T1_T2_jT3_P12ihipStream_tbPNSt15iterator_traitsISD_E10value_typeEPNSJ_ISE_E10value_typeEPSF_NS1_7vsmem_tEENKUlT_SD_SE_SF_E_clIS7_S7_S8_S8_EESC_SS_SD_SE_SF_EUlSS_E1_NS1_11comp_targetILNS1_3genE2ELNS1_11target_archE906ELNS1_3gpuE6ELNS1_3repE0EEENS1_36merge_oddeven_config_static_selectorELNS0_4arch9wavefront6targetE1EEEvSE_ ; -- Begin function _ZN7rocprim17ROCPRIM_400000_NS6detail17trampoline_kernelINS0_14default_configENS1_38merge_sort_block_merge_config_selectorIjyEEZZNS1_27merge_sort_block_merge_implIS3_PjPyjNS1_19radix_merge_compareILb0ELb1EjNS0_19identity_decomposerEEEEE10hipError_tT0_T1_T2_jT3_P12ihipStream_tbPNSt15iterator_traitsISD_E10value_typeEPNSJ_ISE_E10value_typeEPSF_NS1_7vsmem_tEENKUlT_SD_SE_SF_E_clIS7_S7_S8_S8_EESC_SS_SD_SE_SF_EUlSS_E1_NS1_11comp_targetILNS1_3genE2ELNS1_11target_archE906ELNS1_3gpuE6ELNS1_3repE0EEENS1_36merge_oddeven_config_static_selectorELNS0_4arch9wavefront6targetE1EEEvSE_
	.globl	_ZN7rocprim17ROCPRIM_400000_NS6detail17trampoline_kernelINS0_14default_configENS1_38merge_sort_block_merge_config_selectorIjyEEZZNS1_27merge_sort_block_merge_implIS3_PjPyjNS1_19radix_merge_compareILb0ELb1EjNS0_19identity_decomposerEEEEE10hipError_tT0_T1_T2_jT3_P12ihipStream_tbPNSt15iterator_traitsISD_E10value_typeEPNSJ_ISE_E10value_typeEPSF_NS1_7vsmem_tEENKUlT_SD_SE_SF_E_clIS7_S7_S8_S8_EESC_SS_SD_SE_SF_EUlSS_E1_NS1_11comp_targetILNS1_3genE2ELNS1_11target_archE906ELNS1_3gpuE6ELNS1_3repE0EEENS1_36merge_oddeven_config_static_selectorELNS0_4arch9wavefront6targetE1EEEvSE_
	.p2align	8
	.type	_ZN7rocprim17ROCPRIM_400000_NS6detail17trampoline_kernelINS0_14default_configENS1_38merge_sort_block_merge_config_selectorIjyEEZZNS1_27merge_sort_block_merge_implIS3_PjPyjNS1_19radix_merge_compareILb0ELb1EjNS0_19identity_decomposerEEEEE10hipError_tT0_T1_T2_jT3_P12ihipStream_tbPNSt15iterator_traitsISD_E10value_typeEPNSJ_ISE_E10value_typeEPSF_NS1_7vsmem_tEENKUlT_SD_SE_SF_E_clIS7_S7_S8_S8_EESC_SS_SD_SE_SF_EUlSS_E1_NS1_11comp_targetILNS1_3genE2ELNS1_11target_archE906ELNS1_3gpuE6ELNS1_3repE0EEENS1_36merge_oddeven_config_static_selectorELNS0_4arch9wavefront6targetE1EEEvSE_,@function
_ZN7rocprim17ROCPRIM_400000_NS6detail17trampoline_kernelINS0_14default_configENS1_38merge_sort_block_merge_config_selectorIjyEEZZNS1_27merge_sort_block_merge_implIS3_PjPyjNS1_19radix_merge_compareILb0ELb1EjNS0_19identity_decomposerEEEEE10hipError_tT0_T1_T2_jT3_P12ihipStream_tbPNSt15iterator_traitsISD_E10value_typeEPNSJ_ISE_E10value_typeEPSF_NS1_7vsmem_tEENKUlT_SD_SE_SF_E_clIS7_S7_S8_S8_EESC_SS_SD_SE_SF_EUlSS_E1_NS1_11comp_targetILNS1_3genE2ELNS1_11target_archE906ELNS1_3gpuE6ELNS1_3repE0EEENS1_36merge_oddeven_config_static_selectorELNS0_4arch9wavefront6targetE1EEEvSE_: ; @_ZN7rocprim17ROCPRIM_400000_NS6detail17trampoline_kernelINS0_14default_configENS1_38merge_sort_block_merge_config_selectorIjyEEZZNS1_27merge_sort_block_merge_implIS3_PjPyjNS1_19radix_merge_compareILb0ELb1EjNS0_19identity_decomposerEEEEE10hipError_tT0_T1_T2_jT3_P12ihipStream_tbPNSt15iterator_traitsISD_E10value_typeEPNSJ_ISE_E10value_typeEPSF_NS1_7vsmem_tEENKUlT_SD_SE_SF_E_clIS7_S7_S8_S8_EESC_SS_SD_SE_SF_EUlSS_E1_NS1_11comp_targetILNS1_3genE2ELNS1_11target_archE906ELNS1_3gpuE6ELNS1_3repE0EEENS1_36merge_oddeven_config_static_selectorELNS0_4arch9wavefront6targetE1EEEvSE_
; %bb.0:
	.section	.rodata,"a",@progbits
	.p2align	6, 0x0
	.amdhsa_kernel _ZN7rocprim17ROCPRIM_400000_NS6detail17trampoline_kernelINS0_14default_configENS1_38merge_sort_block_merge_config_selectorIjyEEZZNS1_27merge_sort_block_merge_implIS3_PjPyjNS1_19radix_merge_compareILb0ELb1EjNS0_19identity_decomposerEEEEE10hipError_tT0_T1_T2_jT3_P12ihipStream_tbPNSt15iterator_traitsISD_E10value_typeEPNSJ_ISE_E10value_typeEPSF_NS1_7vsmem_tEENKUlT_SD_SE_SF_E_clIS7_S7_S8_S8_EESC_SS_SD_SE_SF_EUlSS_E1_NS1_11comp_targetILNS1_3genE2ELNS1_11target_archE906ELNS1_3gpuE6ELNS1_3repE0EEENS1_36merge_oddeven_config_static_selectorELNS0_4arch9wavefront6targetE1EEEvSE_
		.amdhsa_group_segment_fixed_size 0
		.amdhsa_private_segment_fixed_size 0
		.amdhsa_kernarg_size 48
		.amdhsa_user_sgpr_count 6
		.amdhsa_user_sgpr_private_segment_buffer 1
		.amdhsa_user_sgpr_dispatch_ptr 0
		.amdhsa_user_sgpr_queue_ptr 0
		.amdhsa_user_sgpr_kernarg_segment_ptr 1
		.amdhsa_user_sgpr_dispatch_id 0
		.amdhsa_user_sgpr_flat_scratch_init 0
		.amdhsa_user_sgpr_kernarg_preload_length 0
		.amdhsa_user_sgpr_kernarg_preload_offset 0
		.amdhsa_user_sgpr_private_segment_size 0
		.amdhsa_uses_dynamic_stack 0
		.amdhsa_system_sgpr_private_segment_wavefront_offset 0
		.amdhsa_system_sgpr_workgroup_id_x 1
		.amdhsa_system_sgpr_workgroup_id_y 0
		.amdhsa_system_sgpr_workgroup_id_z 0
		.amdhsa_system_sgpr_workgroup_info 0
		.amdhsa_system_vgpr_workitem_id 0
		.amdhsa_next_free_vgpr 1
		.amdhsa_next_free_sgpr 0
		.amdhsa_accum_offset 4
		.amdhsa_reserve_vcc 0
		.amdhsa_reserve_flat_scratch 0
		.amdhsa_float_round_mode_32 0
		.amdhsa_float_round_mode_16_64 0
		.amdhsa_float_denorm_mode_32 3
		.amdhsa_float_denorm_mode_16_64 3
		.amdhsa_dx10_clamp 1
		.amdhsa_ieee_mode 1
		.amdhsa_fp16_overflow 0
		.amdhsa_tg_split 0
		.amdhsa_exception_fp_ieee_invalid_op 0
		.amdhsa_exception_fp_denorm_src 0
		.amdhsa_exception_fp_ieee_div_zero 0
		.amdhsa_exception_fp_ieee_overflow 0
		.amdhsa_exception_fp_ieee_underflow 0
		.amdhsa_exception_fp_ieee_inexact 0
		.amdhsa_exception_int_div_zero 0
	.end_amdhsa_kernel
	.section	.text._ZN7rocprim17ROCPRIM_400000_NS6detail17trampoline_kernelINS0_14default_configENS1_38merge_sort_block_merge_config_selectorIjyEEZZNS1_27merge_sort_block_merge_implIS3_PjPyjNS1_19radix_merge_compareILb0ELb1EjNS0_19identity_decomposerEEEEE10hipError_tT0_T1_T2_jT3_P12ihipStream_tbPNSt15iterator_traitsISD_E10value_typeEPNSJ_ISE_E10value_typeEPSF_NS1_7vsmem_tEENKUlT_SD_SE_SF_E_clIS7_S7_S8_S8_EESC_SS_SD_SE_SF_EUlSS_E1_NS1_11comp_targetILNS1_3genE2ELNS1_11target_archE906ELNS1_3gpuE6ELNS1_3repE0EEENS1_36merge_oddeven_config_static_selectorELNS0_4arch9wavefront6targetE1EEEvSE_,"axG",@progbits,_ZN7rocprim17ROCPRIM_400000_NS6detail17trampoline_kernelINS0_14default_configENS1_38merge_sort_block_merge_config_selectorIjyEEZZNS1_27merge_sort_block_merge_implIS3_PjPyjNS1_19radix_merge_compareILb0ELb1EjNS0_19identity_decomposerEEEEE10hipError_tT0_T1_T2_jT3_P12ihipStream_tbPNSt15iterator_traitsISD_E10value_typeEPNSJ_ISE_E10value_typeEPSF_NS1_7vsmem_tEENKUlT_SD_SE_SF_E_clIS7_S7_S8_S8_EESC_SS_SD_SE_SF_EUlSS_E1_NS1_11comp_targetILNS1_3genE2ELNS1_11target_archE906ELNS1_3gpuE6ELNS1_3repE0EEENS1_36merge_oddeven_config_static_selectorELNS0_4arch9wavefront6targetE1EEEvSE_,comdat
.Lfunc_end523:
	.size	_ZN7rocprim17ROCPRIM_400000_NS6detail17trampoline_kernelINS0_14default_configENS1_38merge_sort_block_merge_config_selectorIjyEEZZNS1_27merge_sort_block_merge_implIS3_PjPyjNS1_19radix_merge_compareILb0ELb1EjNS0_19identity_decomposerEEEEE10hipError_tT0_T1_T2_jT3_P12ihipStream_tbPNSt15iterator_traitsISD_E10value_typeEPNSJ_ISE_E10value_typeEPSF_NS1_7vsmem_tEENKUlT_SD_SE_SF_E_clIS7_S7_S8_S8_EESC_SS_SD_SE_SF_EUlSS_E1_NS1_11comp_targetILNS1_3genE2ELNS1_11target_archE906ELNS1_3gpuE6ELNS1_3repE0EEENS1_36merge_oddeven_config_static_selectorELNS0_4arch9wavefront6targetE1EEEvSE_, .Lfunc_end523-_ZN7rocprim17ROCPRIM_400000_NS6detail17trampoline_kernelINS0_14default_configENS1_38merge_sort_block_merge_config_selectorIjyEEZZNS1_27merge_sort_block_merge_implIS3_PjPyjNS1_19radix_merge_compareILb0ELb1EjNS0_19identity_decomposerEEEEE10hipError_tT0_T1_T2_jT3_P12ihipStream_tbPNSt15iterator_traitsISD_E10value_typeEPNSJ_ISE_E10value_typeEPSF_NS1_7vsmem_tEENKUlT_SD_SE_SF_E_clIS7_S7_S8_S8_EESC_SS_SD_SE_SF_EUlSS_E1_NS1_11comp_targetILNS1_3genE2ELNS1_11target_archE906ELNS1_3gpuE6ELNS1_3repE0EEENS1_36merge_oddeven_config_static_selectorELNS0_4arch9wavefront6targetE1EEEvSE_
                                        ; -- End function
	.section	.AMDGPU.csdata,"",@progbits
; Kernel info:
; codeLenInByte = 0
; NumSgprs: 4
; NumVgprs: 0
; NumAgprs: 0
; TotalNumVgprs: 0
; ScratchSize: 0
; MemoryBound: 0
; FloatMode: 240
; IeeeMode: 1
; LDSByteSize: 0 bytes/workgroup (compile time only)
; SGPRBlocks: 0
; VGPRBlocks: 0
; NumSGPRsForWavesPerEU: 4
; NumVGPRsForWavesPerEU: 1
; AccumOffset: 4
; Occupancy: 8
; WaveLimiterHint : 0
; COMPUTE_PGM_RSRC2:SCRATCH_EN: 0
; COMPUTE_PGM_RSRC2:USER_SGPR: 6
; COMPUTE_PGM_RSRC2:TRAP_HANDLER: 0
; COMPUTE_PGM_RSRC2:TGID_X_EN: 1
; COMPUTE_PGM_RSRC2:TGID_Y_EN: 0
; COMPUTE_PGM_RSRC2:TGID_Z_EN: 0
; COMPUTE_PGM_RSRC2:TIDIG_COMP_CNT: 0
; COMPUTE_PGM_RSRC3_GFX90A:ACCUM_OFFSET: 0
; COMPUTE_PGM_RSRC3_GFX90A:TG_SPLIT: 0
	.section	.text._ZN7rocprim17ROCPRIM_400000_NS6detail17trampoline_kernelINS0_14default_configENS1_38merge_sort_block_merge_config_selectorIjyEEZZNS1_27merge_sort_block_merge_implIS3_PjPyjNS1_19radix_merge_compareILb0ELb1EjNS0_19identity_decomposerEEEEE10hipError_tT0_T1_T2_jT3_P12ihipStream_tbPNSt15iterator_traitsISD_E10value_typeEPNSJ_ISE_E10value_typeEPSF_NS1_7vsmem_tEENKUlT_SD_SE_SF_E_clIS7_S7_S8_S8_EESC_SS_SD_SE_SF_EUlSS_E1_NS1_11comp_targetILNS1_3genE9ELNS1_11target_archE1100ELNS1_3gpuE3ELNS1_3repE0EEENS1_36merge_oddeven_config_static_selectorELNS0_4arch9wavefront6targetE1EEEvSE_,"axG",@progbits,_ZN7rocprim17ROCPRIM_400000_NS6detail17trampoline_kernelINS0_14default_configENS1_38merge_sort_block_merge_config_selectorIjyEEZZNS1_27merge_sort_block_merge_implIS3_PjPyjNS1_19radix_merge_compareILb0ELb1EjNS0_19identity_decomposerEEEEE10hipError_tT0_T1_T2_jT3_P12ihipStream_tbPNSt15iterator_traitsISD_E10value_typeEPNSJ_ISE_E10value_typeEPSF_NS1_7vsmem_tEENKUlT_SD_SE_SF_E_clIS7_S7_S8_S8_EESC_SS_SD_SE_SF_EUlSS_E1_NS1_11comp_targetILNS1_3genE9ELNS1_11target_archE1100ELNS1_3gpuE3ELNS1_3repE0EEENS1_36merge_oddeven_config_static_selectorELNS0_4arch9wavefront6targetE1EEEvSE_,comdat
	.protected	_ZN7rocprim17ROCPRIM_400000_NS6detail17trampoline_kernelINS0_14default_configENS1_38merge_sort_block_merge_config_selectorIjyEEZZNS1_27merge_sort_block_merge_implIS3_PjPyjNS1_19radix_merge_compareILb0ELb1EjNS0_19identity_decomposerEEEEE10hipError_tT0_T1_T2_jT3_P12ihipStream_tbPNSt15iterator_traitsISD_E10value_typeEPNSJ_ISE_E10value_typeEPSF_NS1_7vsmem_tEENKUlT_SD_SE_SF_E_clIS7_S7_S8_S8_EESC_SS_SD_SE_SF_EUlSS_E1_NS1_11comp_targetILNS1_3genE9ELNS1_11target_archE1100ELNS1_3gpuE3ELNS1_3repE0EEENS1_36merge_oddeven_config_static_selectorELNS0_4arch9wavefront6targetE1EEEvSE_ ; -- Begin function _ZN7rocprim17ROCPRIM_400000_NS6detail17trampoline_kernelINS0_14default_configENS1_38merge_sort_block_merge_config_selectorIjyEEZZNS1_27merge_sort_block_merge_implIS3_PjPyjNS1_19radix_merge_compareILb0ELb1EjNS0_19identity_decomposerEEEEE10hipError_tT0_T1_T2_jT3_P12ihipStream_tbPNSt15iterator_traitsISD_E10value_typeEPNSJ_ISE_E10value_typeEPSF_NS1_7vsmem_tEENKUlT_SD_SE_SF_E_clIS7_S7_S8_S8_EESC_SS_SD_SE_SF_EUlSS_E1_NS1_11comp_targetILNS1_3genE9ELNS1_11target_archE1100ELNS1_3gpuE3ELNS1_3repE0EEENS1_36merge_oddeven_config_static_selectorELNS0_4arch9wavefront6targetE1EEEvSE_
	.globl	_ZN7rocprim17ROCPRIM_400000_NS6detail17trampoline_kernelINS0_14default_configENS1_38merge_sort_block_merge_config_selectorIjyEEZZNS1_27merge_sort_block_merge_implIS3_PjPyjNS1_19radix_merge_compareILb0ELb1EjNS0_19identity_decomposerEEEEE10hipError_tT0_T1_T2_jT3_P12ihipStream_tbPNSt15iterator_traitsISD_E10value_typeEPNSJ_ISE_E10value_typeEPSF_NS1_7vsmem_tEENKUlT_SD_SE_SF_E_clIS7_S7_S8_S8_EESC_SS_SD_SE_SF_EUlSS_E1_NS1_11comp_targetILNS1_3genE9ELNS1_11target_archE1100ELNS1_3gpuE3ELNS1_3repE0EEENS1_36merge_oddeven_config_static_selectorELNS0_4arch9wavefront6targetE1EEEvSE_
	.p2align	8
	.type	_ZN7rocprim17ROCPRIM_400000_NS6detail17trampoline_kernelINS0_14default_configENS1_38merge_sort_block_merge_config_selectorIjyEEZZNS1_27merge_sort_block_merge_implIS3_PjPyjNS1_19radix_merge_compareILb0ELb1EjNS0_19identity_decomposerEEEEE10hipError_tT0_T1_T2_jT3_P12ihipStream_tbPNSt15iterator_traitsISD_E10value_typeEPNSJ_ISE_E10value_typeEPSF_NS1_7vsmem_tEENKUlT_SD_SE_SF_E_clIS7_S7_S8_S8_EESC_SS_SD_SE_SF_EUlSS_E1_NS1_11comp_targetILNS1_3genE9ELNS1_11target_archE1100ELNS1_3gpuE3ELNS1_3repE0EEENS1_36merge_oddeven_config_static_selectorELNS0_4arch9wavefront6targetE1EEEvSE_,@function
_ZN7rocprim17ROCPRIM_400000_NS6detail17trampoline_kernelINS0_14default_configENS1_38merge_sort_block_merge_config_selectorIjyEEZZNS1_27merge_sort_block_merge_implIS3_PjPyjNS1_19radix_merge_compareILb0ELb1EjNS0_19identity_decomposerEEEEE10hipError_tT0_T1_T2_jT3_P12ihipStream_tbPNSt15iterator_traitsISD_E10value_typeEPNSJ_ISE_E10value_typeEPSF_NS1_7vsmem_tEENKUlT_SD_SE_SF_E_clIS7_S7_S8_S8_EESC_SS_SD_SE_SF_EUlSS_E1_NS1_11comp_targetILNS1_3genE9ELNS1_11target_archE1100ELNS1_3gpuE3ELNS1_3repE0EEENS1_36merge_oddeven_config_static_selectorELNS0_4arch9wavefront6targetE1EEEvSE_: ; @_ZN7rocprim17ROCPRIM_400000_NS6detail17trampoline_kernelINS0_14default_configENS1_38merge_sort_block_merge_config_selectorIjyEEZZNS1_27merge_sort_block_merge_implIS3_PjPyjNS1_19radix_merge_compareILb0ELb1EjNS0_19identity_decomposerEEEEE10hipError_tT0_T1_T2_jT3_P12ihipStream_tbPNSt15iterator_traitsISD_E10value_typeEPNSJ_ISE_E10value_typeEPSF_NS1_7vsmem_tEENKUlT_SD_SE_SF_E_clIS7_S7_S8_S8_EESC_SS_SD_SE_SF_EUlSS_E1_NS1_11comp_targetILNS1_3genE9ELNS1_11target_archE1100ELNS1_3gpuE3ELNS1_3repE0EEENS1_36merge_oddeven_config_static_selectorELNS0_4arch9wavefront6targetE1EEEvSE_
; %bb.0:
	.section	.rodata,"a",@progbits
	.p2align	6, 0x0
	.amdhsa_kernel _ZN7rocprim17ROCPRIM_400000_NS6detail17trampoline_kernelINS0_14default_configENS1_38merge_sort_block_merge_config_selectorIjyEEZZNS1_27merge_sort_block_merge_implIS3_PjPyjNS1_19radix_merge_compareILb0ELb1EjNS0_19identity_decomposerEEEEE10hipError_tT0_T1_T2_jT3_P12ihipStream_tbPNSt15iterator_traitsISD_E10value_typeEPNSJ_ISE_E10value_typeEPSF_NS1_7vsmem_tEENKUlT_SD_SE_SF_E_clIS7_S7_S8_S8_EESC_SS_SD_SE_SF_EUlSS_E1_NS1_11comp_targetILNS1_3genE9ELNS1_11target_archE1100ELNS1_3gpuE3ELNS1_3repE0EEENS1_36merge_oddeven_config_static_selectorELNS0_4arch9wavefront6targetE1EEEvSE_
		.amdhsa_group_segment_fixed_size 0
		.amdhsa_private_segment_fixed_size 0
		.amdhsa_kernarg_size 48
		.amdhsa_user_sgpr_count 6
		.amdhsa_user_sgpr_private_segment_buffer 1
		.amdhsa_user_sgpr_dispatch_ptr 0
		.amdhsa_user_sgpr_queue_ptr 0
		.amdhsa_user_sgpr_kernarg_segment_ptr 1
		.amdhsa_user_sgpr_dispatch_id 0
		.amdhsa_user_sgpr_flat_scratch_init 0
		.amdhsa_user_sgpr_kernarg_preload_length 0
		.amdhsa_user_sgpr_kernarg_preload_offset 0
		.amdhsa_user_sgpr_private_segment_size 0
		.amdhsa_uses_dynamic_stack 0
		.amdhsa_system_sgpr_private_segment_wavefront_offset 0
		.amdhsa_system_sgpr_workgroup_id_x 1
		.amdhsa_system_sgpr_workgroup_id_y 0
		.amdhsa_system_sgpr_workgroup_id_z 0
		.amdhsa_system_sgpr_workgroup_info 0
		.amdhsa_system_vgpr_workitem_id 0
		.amdhsa_next_free_vgpr 1
		.amdhsa_next_free_sgpr 0
		.amdhsa_accum_offset 4
		.amdhsa_reserve_vcc 0
		.amdhsa_reserve_flat_scratch 0
		.amdhsa_float_round_mode_32 0
		.amdhsa_float_round_mode_16_64 0
		.amdhsa_float_denorm_mode_32 3
		.amdhsa_float_denorm_mode_16_64 3
		.amdhsa_dx10_clamp 1
		.amdhsa_ieee_mode 1
		.amdhsa_fp16_overflow 0
		.amdhsa_tg_split 0
		.amdhsa_exception_fp_ieee_invalid_op 0
		.amdhsa_exception_fp_denorm_src 0
		.amdhsa_exception_fp_ieee_div_zero 0
		.amdhsa_exception_fp_ieee_overflow 0
		.amdhsa_exception_fp_ieee_underflow 0
		.amdhsa_exception_fp_ieee_inexact 0
		.amdhsa_exception_int_div_zero 0
	.end_amdhsa_kernel
	.section	.text._ZN7rocprim17ROCPRIM_400000_NS6detail17trampoline_kernelINS0_14default_configENS1_38merge_sort_block_merge_config_selectorIjyEEZZNS1_27merge_sort_block_merge_implIS3_PjPyjNS1_19radix_merge_compareILb0ELb1EjNS0_19identity_decomposerEEEEE10hipError_tT0_T1_T2_jT3_P12ihipStream_tbPNSt15iterator_traitsISD_E10value_typeEPNSJ_ISE_E10value_typeEPSF_NS1_7vsmem_tEENKUlT_SD_SE_SF_E_clIS7_S7_S8_S8_EESC_SS_SD_SE_SF_EUlSS_E1_NS1_11comp_targetILNS1_3genE9ELNS1_11target_archE1100ELNS1_3gpuE3ELNS1_3repE0EEENS1_36merge_oddeven_config_static_selectorELNS0_4arch9wavefront6targetE1EEEvSE_,"axG",@progbits,_ZN7rocprim17ROCPRIM_400000_NS6detail17trampoline_kernelINS0_14default_configENS1_38merge_sort_block_merge_config_selectorIjyEEZZNS1_27merge_sort_block_merge_implIS3_PjPyjNS1_19radix_merge_compareILb0ELb1EjNS0_19identity_decomposerEEEEE10hipError_tT0_T1_T2_jT3_P12ihipStream_tbPNSt15iterator_traitsISD_E10value_typeEPNSJ_ISE_E10value_typeEPSF_NS1_7vsmem_tEENKUlT_SD_SE_SF_E_clIS7_S7_S8_S8_EESC_SS_SD_SE_SF_EUlSS_E1_NS1_11comp_targetILNS1_3genE9ELNS1_11target_archE1100ELNS1_3gpuE3ELNS1_3repE0EEENS1_36merge_oddeven_config_static_selectorELNS0_4arch9wavefront6targetE1EEEvSE_,comdat
.Lfunc_end524:
	.size	_ZN7rocprim17ROCPRIM_400000_NS6detail17trampoline_kernelINS0_14default_configENS1_38merge_sort_block_merge_config_selectorIjyEEZZNS1_27merge_sort_block_merge_implIS3_PjPyjNS1_19radix_merge_compareILb0ELb1EjNS0_19identity_decomposerEEEEE10hipError_tT0_T1_T2_jT3_P12ihipStream_tbPNSt15iterator_traitsISD_E10value_typeEPNSJ_ISE_E10value_typeEPSF_NS1_7vsmem_tEENKUlT_SD_SE_SF_E_clIS7_S7_S8_S8_EESC_SS_SD_SE_SF_EUlSS_E1_NS1_11comp_targetILNS1_3genE9ELNS1_11target_archE1100ELNS1_3gpuE3ELNS1_3repE0EEENS1_36merge_oddeven_config_static_selectorELNS0_4arch9wavefront6targetE1EEEvSE_, .Lfunc_end524-_ZN7rocprim17ROCPRIM_400000_NS6detail17trampoline_kernelINS0_14default_configENS1_38merge_sort_block_merge_config_selectorIjyEEZZNS1_27merge_sort_block_merge_implIS3_PjPyjNS1_19radix_merge_compareILb0ELb1EjNS0_19identity_decomposerEEEEE10hipError_tT0_T1_T2_jT3_P12ihipStream_tbPNSt15iterator_traitsISD_E10value_typeEPNSJ_ISE_E10value_typeEPSF_NS1_7vsmem_tEENKUlT_SD_SE_SF_E_clIS7_S7_S8_S8_EESC_SS_SD_SE_SF_EUlSS_E1_NS1_11comp_targetILNS1_3genE9ELNS1_11target_archE1100ELNS1_3gpuE3ELNS1_3repE0EEENS1_36merge_oddeven_config_static_selectorELNS0_4arch9wavefront6targetE1EEEvSE_
                                        ; -- End function
	.section	.AMDGPU.csdata,"",@progbits
; Kernel info:
; codeLenInByte = 0
; NumSgprs: 4
; NumVgprs: 0
; NumAgprs: 0
; TotalNumVgprs: 0
; ScratchSize: 0
; MemoryBound: 0
; FloatMode: 240
; IeeeMode: 1
; LDSByteSize: 0 bytes/workgroup (compile time only)
; SGPRBlocks: 0
; VGPRBlocks: 0
; NumSGPRsForWavesPerEU: 4
; NumVGPRsForWavesPerEU: 1
; AccumOffset: 4
; Occupancy: 8
; WaveLimiterHint : 0
; COMPUTE_PGM_RSRC2:SCRATCH_EN: 0
; COMPUTE_PGM_RSRC2:USER_SGPR: 6
; COMPUTE_PGM_RSRC2:TRAP_HANDLER: 0
; COMPUTE_PGM_RSRC2:TGID_X_EN: 1
; COMPUTE_PGM_RSRC2:TGID_Y_EN: 0
; COMPUTE_PGM_RSRC2:TGID_Z_EN: 0
; COMPUTE_PGM_RSRC2:TIDIG_COMP_CNT: 0
; COMPUTE_PGM_RSRC3_GFX90A:ACCUM_OFFSET: 0
; COMPUTE_PGM_RSRC3_GFX90A:TG_SPLIT: 0
	.section	.text._ZN7rocprim17ROCPRIM_400000_NS6detail17trampoline_kernelINS0_14default_configENS1_38merge_sort_block_merge_config_selectorIjyEEZZNS1_27merge_sort_block_merge_implIS3_PjPyjNS1_19radix_merge_compareILb0ELb1EjNS0_19identity_decomposerEEEEE10hipError_tT0_T1_T2_jT3_P12ihipStream_tbPNSt15iterator_traitsISD_E10value_typeEPNSJ_ISE_E10value_typeEPSF_NS1_7vsmem_tEENKUlT_SD_SE_SF_E_clIS7_S7_S8_S8_EESC_SS_SD_SE_SF_EUlSS_E1_NS1_11comp_targetILNS1_3genE8ELNS1_11target_archE1030ELNS1_3gpuE2ELNS1_3repE0EEENS1_36merge_oddeven_config_static_selectorELNS0_4arch9wavefront6targetE1EEEvSE_,"axG",@progbits,_ZN7rocprim17ROCPRIM_400000_NS6detail17trampoline_kernelINS0_14default_configENS1_38merge_sort_block_merge_config_selectorIjyEEZZNS1_27merge_sort_block_merge_implIS3_PjPyjNS1_19radix_merge_compareILb0ELb1EjNS0_19identity_decomposerEEEEE10hipError_tT0_T1_T2_jT3_P12ihipStream_tbPNSt15iterator_traitsISD_E10value_typeEPNSJ_ISE_E10value_typeEPSF_NS1_7vsmem_tEENKUlT_SD_SE_SF_E_clIS7_S7_S8_S8_EESC_SS_SD_SE_SF_EUlSS_E1_NS1_11comp_targetILNS1_3genE8ELNS1_11target_archE1030ELNS1_3gpuE2ELNS1_3repE0EEENS1_36merge_oddeven_config_static_selectorELNS0_4arch9wavefront6targetE1EEEvSE_,comdat
	.protected	_ZN7rocprim17ROCPRIM_400000_NS6detail17trampoline_kernelINS0_14default_configENS1_38merge_sort_block_merge_config_selectorIjyEEZZNS1_27merge_sort_block_merge_implIS3_PjPyjNS1_19radix_merge_compareILb0ELb1EjNS0_19identity_decomposerEEEEE10hipError_tT0_T1_T2_jT3_P12ihipStream_tbPNSt15iterator_traitsISD_E10value_typeEPNSJ_ISE_E10value_typeEPSF_NS1_7vsmem_tEENKUlT_SD_SE_SF_E_clIS7_S7_S8_S8_EESC_SS_SD_SE_SF_EUlSS_E1_NS1_11comp_targetILNS1_3genE8ELNS1_11target_archE1030ELNS1_3gpuE2ELNS1_3repE0EEENS1_36merge_oddeven_config_static_selectorELNS0_4arch9wavefront6targetE1EEEvSE_ ; -- Begin function _ZN7rocprim17ROCPRIM_400000_NS6detail17trampoline_kernelINS0_14default_configENS1_38merge_sort_block_merge_config_selectorIjyEEZZNS1_27merge_sort_block_merge_implIS3_PjPyjNS1_19radix_merge_compareILb0ELb1EjNS0_19identity_decomposerEEEEE10hipError_tT0_T1_T2_jT3_P12ihipStream_tbPNSt15iterator_traitsISD_E10value_typeEPNSJ_ISE_E10value_typeEPSF_NS1_7vsmem_tEENKUlT_SD_SE_SF_E_clIS7_S7_S8_S8_EESC_SS_SD_SE_SF_EUlSS_E1_NS1_11comp_targetILNS1_3genE8ELNS1_11target_archE1030ELNS1_3gpuE2ELNS1_3repE0EEENS1_36merge_oddeven_config_static_selectorELNS0_4arch9wavefront6targetE1EEEvSE_
	.globl	_ZN7rocprim17ROCPRIM_400000_NS6detail17trampoline_kernelINS0_14default_configENS1_38merge_sort_block_merge_config_selectorIjyEEZZNS1_27merge_sort_block_merge_implIS3_PjPyjNS1_19radix_merge_compareILb0ELb1EjNS0_19identity_decomposerEEEEE10hipError_tT0_T1_T2_jT3_P12ihipStream_tbPNSt15iterator_traitsISD_E10value_typeEPNSJ_ISE_E10value_typeEPSF_NS1_7vsmem_tEENKUlT_SD_SE_SF_E_clIS7_S7_S8_S8_EESC_SS_SD_SE_SF_EUlSS_E1_NS1_11comp_targetILNS1_3genE8ELNS1_11target_archE1030ELNS1_3gpuE2ELNS1_3repE0EEENS1_36merge_oddeven_config_static_selectorELNS0_4arch9wavefront6targetE1EEEvSE_
	.p2align	8
	.type	_ZN7rocprim17ROCPRIM_400000_NS6detail17trampoline_kernelINS0_14default_configENS1_38merge_sort_block_merge_config_selectorIjyEEZZNS1_27merge_sort_block_merge_implIS3_PjPyjNS1_19radix_merge_compareILb0ELb1EjNS0_19identity_decomposerEEEEE10hipError_tT0_T1_T2_jT3_P12ihipStream_tbPNSt15iterator_traitsISD_E10value_typeEPNSJ_ISE_E10value_typeEPSF_NS1_7vsmem_tEENKUlT_SD_SE_SF_E_clIS7_S7_S8_S8_EESC_SS_SD_SE_SF_EUlSS_E1_NS1_11comp_targetILNS1_3genE8ELNS1_11target_archE1030ELNS1_3gpuE2ELNS1_3repE0EEENS1_36merge_oddeven_config_static_selectorELNS0_4arch9wavefront6targetE1EEEvSE_,@function
_ZN7rocprim17ROCPRIM_400000_NS6detail17trampoline_kernelINS0_14default_configENS1_38merge_sort_block_merge_config_selectorIjyEEZZNS1_27merge_sort_block_merge_implIS3_PjPyjNS1_19radix_merge_compareILb0ELb1EjNS0_19identity_decomposerEEEEE10hipError_tT0_T1_T2_jT3_P12ihipStream_tbPNSt15iterator_traitsISD_E10value_typeEPNSJ_ISE_E10value_typeEPSF_NS1_7vsmem_tEENKUlT_SD_SE_SF_E_clIS7_S7_S8_S8_EESC_SS_SD_SE_SF_EUlSS_E1_NS1_11comp_targetILNS1_3genE8ELNS1_11target_archE1030ELNS1_3gpuE2ELNS1_3repE0EEENS1_36merge_oddeven_config_static_selectorELNS0_4arch9wavefront6targetE1EEEvSE_: ; @_ZN7rocprim17ROCPRIM_400000_NS6detail17trampoline_kernelINS0_14default_configENS1_38merge_sort_block_merge_config_selectorIjyEEZZNS1_27merge_sort_block_merge_implIS3_PjPyjNS1_19radix_merge_compareILb0ELb1EjNS0_19identity_decomposerEEEEE10hipError_tT0_T1_T2_jT3_P12ihipStream_tbPNSt15iterator_traitsISD_E10value_typeEPNSJ_ISE_E10value_typeEPSF_NS1_7vsmem_tEENKUlT_SD_SE_SF_E_clIS7_S7_S8_S8_EESC_SS_SD_SE_SF_EUlSS_E1_NS1_11comp_targetILNS1_3genE8ELNS1_11target_archE1030ELNS1_3gpuE2ELNS1_3repE0EEENS1_36merge_oddeven_config_static_selectorELNS0_4arch9wavefront6targetE1EEEvSE_
; %bb.0:
	.section	.rodata,"a",@progbits
	.p2align	6, 0x0
	.amdhsa_kernel _ZN7rocprim17ROCPRIM_400000_NS6detail17trampoline_kernelINS0_14default_configENS1_38merge_sort_block_merge_config_selectorIjyEEZZNS1_27merge_sort_block_merge_implIS3_PjPyjNS1_19radix_merge_compareILb0ELb1EjNS0_19identity_decomposerEEEEE10hipError_tT0_T1_T2_jT3_P12ihipStream_tbPNSt15iterator_traitsISD_E10value_typeEPNSJ_ISE_E10value_typeEPSF_NS1_7vsmem_tEENKUlT_SD_SE_SF_E_clIS7_S7_S8_S8_EESC_SS_SD_SE_SF_EUlSS_E1_NS1_11comp_targetILNS1_3genE8ELNS1_11target_archE1030ELNS1_3gpuE2ELNS1_3repE0EEENS1_36merge_oddeven_config_static_selectorELNS0_4arch9wavefront6targetE1EEEvSE_
		.amdhsa_group_segment_fixed_size 0
		.amdhsa_private_segment_fixed_size 0
		.amdhsa_kernarg_size 48
		.amdhsa_user_sgpr_count 6
		.amdhsa_user_sgpr_private_segment_buffer 1
		.amdhsa_user_sgpr_dispatch_ptr 0
		.amdhsa_user_sgpr_queue_ptr 0
		.amdhsa_user_sgpr_kernarg_segment_ptr 1
		.amdhsa_user_sgpr_dispatch_id 0
		.amdhsa_user_sgpr_flat_scratch_init 0
		.amdhsa_user_sgpr_kernarg_preload_length 0
		.amdhsa_user_sgpr_kernarg_preload_offset 0
		.amdhsa_user_sgpr_private_segment_size 0
		.amdhsa_uses_dynamic_stack 0
		.amdhsa_system_sgpr_private_segment_wavefront_offset 0
		.amdhsa_system_sgpr_workgroup_id_x 1
		.amdhsa_system_sgpr_workgroup_id_y 0
		.amdhsa_system_sgpr_workgroup_id_z 0
		.amdhsa_system_sgpr_workgroup_info 0
		.amdhsa_system_vgpr_workitem_id 0
		.amdhsa_next_free_vgpr 1
		.amdhsa_next_free_sgpr 0
		.amdhsa_accum_offset 4
		.amdhsa_reserve_vcc 0
		.amdhsa_reserve_flat_scratch 0
		.amdhsa_float_round_mode_32 0
		.amdhsa_float_round_mode_16_64 0
		.amdhsa_float_denorm_mode_32 3
		.amdhsa_float_denorm_mode_16_64 3
		.amdhsa_dx10_clamp 1
		.amdhsa_ieee_mode 1
		.amdhsa_fp16_overflow 0
		.amdhsa_tg_split 0
		.amdhsa_exception_fp_ieee_invalid_op 0
		.amdhsa_exception_fp_denorm_src 0
		.amdhsa_exception_fp_ieee_div_zero 0
		.amdhsa_exception_fp_ieee_overflow 0
		.amdhsa_exception_fp_ieee_underflow 0
		.amdhsa_exception_fp_ieee_inexact 0
		.amdhsa_exception_int_div_zero 0
	.end_amdhsa_kernel
	.section	.text._ZN7rocprim17ROCPRIM_400000_NS6detail17trampoline_kernelINS0_14default_configENS1_38merge_sort_block_merge_config_selectorIjyEEZZNS1_27merge_sort_block_merge_implIS3_PjPyjNS1_19radix_merge_compareILb0ELb1EjNS0_19identity_decomposerEEEEE10hipError_tT0_T1_T2_jT3_P12ihipStream_tbPNSt15iterator_traitsISD_E10value_typeEPNSJ_ISE_E10value_typeEPSF_NS1_7vsmem_tEENKUlT_SD_SE_SF_E_clIS7_S7_S8_S8_EESC_SS_SD_SE_SF_EUlSS_E1_NS1_11comp_targetILNS1_3genE8ELNS1_11target_archE1030ELNS1_3gpuE2ELNS1_3repE0EEENS1_36merge_oddeven_config_static_selectorELNS0_4arch9wavefront6targetE1EEEvSE_,"axG",@progbits,_ZN7rocprim17ROCPRIM_400000_NS6detail17trampoline_kernelINS0_14default_configENS1_38merge_sort_block_merge_config_selectorIjyEEZZNS1_27merge_sort_block_merge_implIS3_PjPyjNS1_19radix_merge_compareILb0ELb1EjNS0_19identity_decomposerEEEEE10hipError_tT0_T1_T2_jT3_P12ihipStream_tbPNSt15iterator_traitsISD_E10value_typeEPNSJ_ISE_E10value_typeEPSF_NS1_7vsmem_tEENKUlT_SD_SE_SF_E_clIS7_S7_S8_S8_EESC_SS_SD_SE_SF_EUlSS_E1_NS1_11comp_targetILNS1_3genE8ELNS1_11target_archE1030ELNS1_3gpuE2ELNS1_3repE0EEENS1_36merge_oddeven_config_static_selectorELNS0_4arch9wavefront6targetE1EEEvSE_,comdat
.Lfunc_end525:
	.size	_ZN7rocprim17ROCPRIM_400000_NS6detail17trampoline_kernelINS0_14default_configENS1_38merge_sort_block_merge_config_selectorIjyEEZZNS1_27merge_sort_block_merge_implIS3_PjPyjNS1_19radix_merge_compareILb0ELb1EjNS0_19identity_decomposerEEEEE10hipError_tT0_T1_T2_jT3_P12ihipStream_tbPNSt15iterator_traitsISD_E10value_typeEPNSJ_ISE_E10value_typeEPSF_NS1_7vsmem_tEENKUlT_SD_SE_SF_E_clIS7_S7_S8_S8_EESC_SS_SD_SE_SF_EUlSS_E1_NS1_11comp_targetILNS1_3genE8ELNS1_11target_archE1030ELNS1_3gpuE2ELNS1_3repE0EEENS1_36merge_oddeven_config_static_selectorELNS0_4arch9wavefront6targetE1EEEvSE_, .Lfunc_end525-_ZN7rocprim17ROCPRIM_400000_NS6detail17trampoline_kernelINS0_14default_configENS1_38merge_sort_block_merge_config_selectorIjyEEZZNS1_27merge_sort_block_merge_implIS3_PjPyjNS1_19radix_merge_compareILb0ELb1EjNS0_19identity_decomposerEEEEE10hipError_tT0_T1_T2_jT3_P12ihipStream_tbPNSt15iterator_traitsISD_E10value_typeEPNSJ_ISE_E10value_typeEPSF_NS1_7vsmem_tEENKUlT_SD_SE_SF_E_clIS7_S7_S8_S8_EESC_SS_SD_SE_SF_EUlSS_E1_NS1_11comp_targetILNS1_3genE8ELNS1_11target_archE1030ELNS1_3gpuE2ELNS1_3repE0EEENS1_36merge_oddeven_config_static_selectorELNS0_4arch9wavefront6targetE1EEEvSE_
                                        ; -- End function
	.section	.AMDGPU.csdata,"",@progbits
; Kernel info:
; codeLenInByte = 0
; NumSgprs: 4
; NumVgprs: 0
; NumAgprs: 0
; TotalNumVgprs: 0
; ScratchSize: 0
; MemoryBound: 0
; FloatMode: 240
; IeeeMode: 1
; LDSByteSize: 0 bytes/workgroup (compile time only)
; SGPRBlocks: 0
; VGPRBlocks: 0
; NumSGPRsForWavesPerEU: 4
; NumVGPRsForWavesPerEU: 1
; AccumOffset: 4
; Occupancy: 8
; WaveLimiterHint : 0
; COMPUTE_PGM_RSRC2:SCRATCH_EN: 0
; COMPUTE_PGM_RSRC2:USER_SGPR: 6
; COMPUTE_PGM_RSRC2:TRAP_HANDLER: 0
; COMPUTE_PGM_RSRC2:TGID_X_EN: 1
; COMPUTE_PGM_RSRC2:TGID_Y_EN: 0
; COMPUTE_PGM_RSRC2:TGID_Z_EN: 0
; COMPUTE_PGM_RSRC2:TIDIG_COMP_CNT: 0
; COMPUTE_PGM_RSRC3_GFX90A:ACCUM_OFFSET: 0
; COMPUTE_PGM_RSRC3_GFX90A:TG_SPLIT: 0
	.section	.text._ZN7rocprim17ROCPRIM_400000_NS6detail17trampoline_kernelINS0_14default_configENS1_35radix_sort_onesweep_config_selectorIjyEEZNS1_34radix_sort_onesweep_global_offsetsIS3_Lb0EPjPyjNS0_19identity_decomposerEEE10hipError_tT1_T2_PT3_SD_jT4_jjP12ihipStream_tbEUlT_E_NS1_11comp_targetILNS1_3genE0ELNS1_11target_archE4294967295ELNS1_3gpuE0ELNS1_3repE0EEENS1_52radix_sort_onesweep_histogram_config_static_selectorELNS0_4arch9wavefront6targetE1EEEvSB_,"axG",@progbits,_ZN7rocprim17ROCPRIM_400000_NS6detail17trampoline_kernelINS0_14default_configENS1_35radix_sort_onesweep_config_selectorIjyEEZNS1_34radix_sort_onesweep_global_offsetsIS3_Lb0EPjPyjNS0_19identity_decomposerEEE10hipError_tT1_T2_PT3_SD_jT4_jjP12ihipStream_tbEUlT_E_NS1_11comp_targetILNS1_3genE0ELNS1_11target_archE4294967295ELNS1_3gpuE0ELNS1_3repE0EEENS1_52radix_sort_onesweep_histogram_config_static_selectorELNS0_4arch9wavefront6targetE1EEEvSB_,comdat
	.protected	_ZN7rocprim17ROCPRIM_400000_NS6detail17trampoline_kernelINS0_14default_configENS1_35radix_sort_onesweep_config_selectorIjyEEZNS1_34radix_sort_onesweep_global_offsetsIS3_Lb0EPjPyjNS0_19identity_decomposerEEE10hipError_tT1_T2_PT3_SD_jT4_jjP12ihipStream_tbEUlT_E_NS1_11comp_targetILNS1_3genE0ELNS1_11target_archE4294967295ELNS1_3gpuE0ELNS1_3repE0EEENS1_52radix_sort_onesweep_histogram_config_static_selectorELNS0_4arch9wavefront6targetE1EEEvSB_ ; -- Begin function _ZN7rocprim17ROCPRIM_400000_NS6detail17trampoline_kernelINS0_14default_configENS1_35radix_sort_onesweep_config_selectorIjyEEZNS1_34radix_sort_onesweep_global_offsetsIS3_Lb0EPjPyjNS0_19identity_decomposerEEE10hipError_tT1_T2_PT3_SD_jT4_jjP12ihipStream_tbEUlT_E_NS1_11comp_targetILNS1_3genE0ELNS1_11target_archE4294967295ELNS1_3gpuE0ELNS1_3repE0EEENS1_52radix_sort_onesweep_histogram_config_static_selectorELNS0_4arch9wavefront6targetE1EEEvSB_
	.globl	_ZN7rocprim17ROCPRIM_400000_NS6detail17trampoline_kernelINS0_14default_configENS1_35radix_sort_onesweep_config_selectorIjyEEZNS1_34radix_sort_onesweep_global_offsetsIS3_Lb0EPjPyjNS0_19identity_decomposerEEE10hipError_tT1_T2_PT3_SD_jT4_jjP12ihipStream_tbEUlT_E_NS1_11comp_targetILNS1_3genE0ELNS1_11target_archE4294967295ELNS1_3gpuE0ELNS1_3repE0EEENS1_52radix_sort_onesweep_histogram_config_static_selectorELNS0_4arch9wavefront6targetE1EEEvSB_
	.p2align	8
	.type	_ZN7rocprim17ROCPRIM_400000_NS6detail17trampoline_kernelINS0_14default_configENS1_35radix_sort_onesweep_config_selectorIjyEEZNS1_34radix_sort_onesweep_global_offsetsIS3_Lb0EPjPyjNS0_19identity_decomposerEEE10hipError_tT1_T2_PT3_SD_jT4_jjP12ihipStream_tbEUlT_E_NS1_11comp_targetILNS1_3genE0ELNS1_11target_archE4294967295ELNS1_3gpuE0ELNS1_3repE0EEENS1_52radix_sort_onesweep_histogram_config_static_selectorELNS0_4arch9wavefront6targetE1EEEvSB_,@function
_ZN7rocprim17ROCPRIM_400000_NS6detail17trampoline_kernelINS0_14default_configENS1_35radix_sort_onesweep_config_selectorIjyEEZNS1_34radix_sort_onesweep_global_offsetsIS3_Lb0EPjPyjNS0_19identity_decomposerEEE10hipError_tT1_T2_PT3_SD_jT4_jjP12ihipStream_tbEUlT_E_NS1_11comp_targetILNS1_3genE0ELNS1_11target_archE4294967295ELNS1_3gpuE0ELNS1_3repE0EEENS1_52radix_sort_onesweep_histogram_config_static_selectorELNS0_4arch9wavefront6targetE1EEEvSB_: ; @_ZN7rocprim17ROCPRIM_400000_NS6detail17trampoline_kernelINS0_14default_configENS1_35radix_sort_onesweep_config_selectorIjyEEZNS1_34radix_sort_onesweep_global_offsetsIS3_Lb0EPjPyjNS0_19identity_decomposerEEE10hipError_tT1_T2_PT3_SD_jT4_jjP12ihipStream_tbEUlT_E_NS1_11comp_targetILNS1_3genE0ELNS1_11target_archE4294967295ELNS1_3gpuE0ELNS1_3repE0EEENS1_52radix_sort_onesweep_histogram_config_static_selectorELNS0_4arch9wavefront6targetE1EEEvSB_
; %bb.0:
	.section	.rodata,"a",@progbits
	.p2align	6, 0x0
	.amdhsa_kernel _ZN7rocprim17ROCPRIM_400000_NS6detail17trampoline_kernelINS0_14default_configENS1_35radix_sort_onesweep_config_selectorIjyEEZNS1_34radix_sort_onesweep_global_offsetsIS3_Lb0EPjPyjNS0_19identity_decomposerEEE10hipError_tT1_T2_PT3_SD_jT4_jjP12ihipStream_tbEUlT_E_NS1_11comp_targetILNS1_3genE0ELNS1_11target_archE4294967295ELNS1_3gpuE0ELNS1_3repE0EEENS1_52radix_sort_onesweep_histogram_config_static_selectorELNS0_4arch9wavefront6targetE1EEEvSB_
		.amdhsa_group_segment_fixed_size 0
		.amdhsa_private_segment_fixed_size 0
		.amdhsa_kernarg_size 40
		.amdhsa_user_sgpr_count 6
		.amdhsa_user_sgpr_private_segment_buffer 1
		.amdhsa_user_sgpr_dispatch_ptr 0
		.amdhsa_user_sgpr_queue_ptr 0
		.amdhsa_user_sgpr_kernarg_segment_ptr 1
		.amdhsa_user_sgpr_dispatch_id 0
		.amdhsa_user_sgpr_flat_scratch_init 0
		.amdhsa_user_sgpr_kernarg_preload_length 0
		.amdhsa_user_sgpr_kernarg_preload_offset 0
		.amdhsa_user_sgpr_private_segment_size 0
		.amdhsa_uses_dynamic_stack 0
		.amdhsa_system_sgpr_private_segment_wavefront_offset 0
		.amdhsa_system_sgpr_workgroup_id_x 1
		.amdhsa_system_sgpr_workgroup_id_y 0
		.amdhsa_system_sgpr_workgroup_id_z 0
		.amdhsa_system_sgpr_workgroup_info 0
		.amdhsa_system_vgpr_workitem_id 0
		.amdhsa_next_free_vgpr 1
		.amdhsa_next_free_sgpr 0
		.amdhsa_accum_offset 4
		.amdhsa_reserve_vcc 0
		.amdhsa_reserve_flat_scratch 0
		.amdhsa_float_round_mode_32 0
		.amdhsa_float_round_mode_16_64 0
		.amdhsa_float_denorm_mode_32 3
		.amdhsa_float_denorm_mode_16_64 3
		.amdhsa_dx10_clamp 1
		.amdhsa_ieee_mode 1
		.amdhsa_fp16_overflow 0
		.amdhsa_tg_split 0
		.amdhsa_exception_fp_ieee_invalid_op 0
		.amdhsa_exception_fp_denorm_src 0
		.amdhsa_exception_fp_ieee_div_zero 0
		.amdhsa_exception_fp_ieee_overflow 0
		.amdhsa_exception_fp_ieee_underflow 0
		.amdhsa_exception_fp_ieee_inexact 0
		.amdhsa_exception_int_div_zero 0
	.end_amdhsa_kernel
	.section	.text._ZN7rocprim17ROCPRIM_400000_NS6detail17trampoline_kernelINS0_14default_configENS1_35radix_sort_onesweep_config_selectorIjyEEZNS1_34radix_sort_onesweep_global_offsetsIS3_Lb0EPjPyjNS0_19identity_decomposerEEE10hipError_tT1_T2_PT3_SD_jT4_jjP12ihipStream_tbEUlT_E_NS1_11comp_targetILNS1_3genE0ELNS1_11target_archE4294967295ELNS1_3gpuE0ELNS1_3repE0EEENS1_52radix_sort_onesweep_histogram_config_static_selectorELNS0_4arch9wavefront6targetE1EEEvSB_,"axG",@progbits,_ZN7rocprim17ROCPRIM_400000_NS6detail17trampoline_kernelINS0_14default_configENS1_35radix_sort_onesweep_config_selectorIjyEEZNS1_34radix_sort_onesweep_global_offsetsIS3_Lb0EPjPyjNS0_19identity_decomposerEEE10hipError_tT1_T2_PT3_SD_jT4_jjP12ihipStream_tbEUlT_E_NS1_11comp_targetILNS1_3genE0ELNS1_11target_archE4294967295ELNS1_3gpuE0ELNS1_3repE0EEENS1_52radix_sort_onesweep_histogram_config_static_selectorELNS0_4arch9wavefront6targetE1EEEvSB_,comdat
.Lfunc_end526:
	.size	_ZN7rocprim17ROCPRIM_400000_NS6detail17trampoline_kernelINS0_14default_configENS1_35radix_sort_onesweep_config_selectorIjyEEZNS1_34radix_sort_onesweep_global_offsetsIS3_Lb0EPjPyjNS0_19identity_decomposerEEE10hipError_tT1_T2_PT3_SD_jT4_jjP12ihipStream_tbEUlT_E_NS1_11comp_targetILNS1_3genE0ELNS1_11target_archE4294967295ELNS1_3gpuE0ELNS1_3repE0EEENS1_52radix_sort_onesweep_histogram_config_static_selectorELNS0_4arch9wavefront6targetE1EEEvSB_, .Lfunc_end526-_ZN7rocprim17ROCPRIM_400000_NS6detail17trampoline_kernelINS0_14default_configENS1_35radix_sort_onesweep_config_selectorIjyEEZNS1_34radix_sort_onesweep_global_offsetsIS3_Lb0EPjPyjNS0_19identity_decomposerEEE10hipError_tT1_T2_PT3_SD_jT4_jjP12ihipStream_tbEUlT_E_NS1_11comp_targetILNS1_3genE0ELNS1_11target_archE4294967295ELNS1_3gpuE0ELNS1_3repE0EEENS1_52radix_sort_onesweep_histogram_config_static_selectorELNS0_4arch9wavefront6targetE1EEEvSB_
                                        ; -- End function
	.section	.AMDGPU.csdata,"",@progbits
; Kernel info:
; codeLenInByte = 0
; NumSgprs: 4
; NumVgprs: 0
; NumAgprs: 0
; TotalNumVgprs: 0
; ScratchSize: 0
; MemoryBound: 0
; FloatMode: 240
; IeeeMode: 1
; LDSByteSize: 0 bytes/workgroup (compile time only)
; SGPRBlocks: 0
; VGPRBlocks: 0
; NumSGPRsForWavesPerEU: 4
; NumVGPRsForWavesPerEU: 1
; AccumOffset: 4
; Occupancy: 8
; WaveLimiterHint : 0
; COMPUTE_PGM_RSRC2:SCRATCH_EN: 0
; COMPUTE_PGM_RSRC2:USER_SGPR: 6
; COMPUTE_PGM_RSRC2:TRAP_HANDLER: 0
; COMPUTE_PGM_RSRC2:TGID_X_EN: 1
; COMPUTE_PGM_RSRC2:TGID_Y_EN: 0
; COMPUTE_PGM_RSRC2:TGID_Z_EN: 0
; COMPUTE_PGM_RSRC2:TIDIG_COMP_CNT: 0
; COMPUTE_PGM_RSRC3_GFX90A:ACCUM_OFFSET: 0
; COMPUTE_PGM_RSRC3_GFX90A:TG_SPLIT: 0
	.section	.text._ZN7rocprim17ROCPRIM_400000_NS6detail17trampoline_kernelINS0_14default_configENS1_35radix_sort_onesweep_config_selectorIjyEEZNS1_34radix_sort_onesweep_global_offsetsIS3_Lb0EPjPyjNS0_19identity_decomposerEEE10hipError_tT1_T2_PT3_SD_jT4_jjP12ihipStream_tbEUlT_E_NS1_11comp_targetILNS1_3genE6ELNS1_11target_archE950ELNS1_3gpuE13ELNS1_3repE0EEENS1_52radix_sort_onesweep_histogram_config_static_selectorELNS0_4arch9wavefront6targetE1EEEvSB_,"axG",@progbits,_ZN7rocprim17ROCPRIM_400000_NS6detail17trampoline_kernelINS0_14default_configENS1_35radix_sort_onesweep_config_selectorIjyEEZNS1_34radix_sort_onesweep_global_offsetsIS3_Lb0EPjPyjNS0_19identity_decomposerEEE10hipError_tT1_T2_PT3_SD_jT4_jjP12ihipStream_tbEUlT_E_NS1_11comp_targetILNS1_3genE6ELNS1_11target_archE950ELNS1_3gpuE13ELNS1_3repE0EEENS1_52radix_sort_onesweep_histogram_config_static_selectorELNS0_4arch9wavefront6targetE1EEEvSB_,comdat
	.protected	_ZN7rocprim17ROCPRIM_400000_NS6detail17trampoline_kernelINS0_14default_configENS1_35radix_sort_onesweep_config_selectorIjyEEZNS1_34radix_sort_onesweep_global_offsetsIS3_Lb0EPjPyjNS0_19identity_decomposerEEE10hipError_tT1_T2_PT3_SD_jT4_jjP12ihipStream_tbEUlT_E_NS1_11comp_targetILNS1_3genE6ELNS1_11target_archE950ELNS1_3gpuE13ELNS1_3repE0EEENS1_52radix_sort_onesweep_histogram_config_static_selectorELNS0_4arch9wavefront6targetE1EEEvSB_ ; -- Begin function _ZN7rocprim17ROCPRIM_400000_NS6detail17trampoline_kernelINS0_14default_configENS1_35radix_sort_onesweep_config_selectorIjyEEZNS1_34radix_sort_onesweep_global_offsetsIS3_Lb0EPjPyjNS0_19identity_decomposerEEE10hipError_tT1_T2_PT3_SD_jT4_jjP12ihipStream_tbEUlT_E_NS1_11comp_targetILNS1_3genE6ELNS1_11target_archE950ELNS1_3gpuE13ELNS1_3repE0EEENS1_52radix_sort_onesweep_histogram_config_static_selectorELNS0_4arch9wavefront6targetE1EEEvSB_
	.globl	_ZN7rocprim17ROCPRIM_400000_NS6detail17trampoline_kernelINS0_14default_configENS1_35radix_sort_onesweep_config_selectorIjyEEZNS1_34radix_sort_onesweep_global_offsetsIS3_Lb0EPjPyjNS0_19identity_decomposerEEE10hipError_tT1_T2_PT3_SD_jT4_jjP12ihipStream_tbEUlT_E_NS1_11comp_targetILNS1_3genE6ELNS1_11target_archE950ELNS1_3gpuE13ELNS1_3repE0EEENS1_52radix_sort_onesweep_histogram_config_static_selectorELNS0_4arch9wavefront6targetE1EEEvSB_
	.p2align	8
	.type	_ZN7rocprim17ROCPRIM_400000_NS6detail17trampoline_kernelINS0_14default_configENS1_35radix_sort_onesweep_config_selectorIjyEEZNS1_34radix_sort_onesweep_global_offsetsIS3_Lb0EPjPyjNS0_19identity_decomposerEEE10hipError_tT1_T2_PT3_SD_jT4_jjP12ihipStream_tbEUlT_E_NS1_11comp_targetILNS1_3genE6ELNS1_11target_archE950ELNS1_3gpuE13ELNS1_3repE0EEENS1_52radix_sort_onesweep_histogram_config_static_selectorELNS0_4arch9wavefront6targetE1EEEvSB_,@function
_ZN7rocprim17ROCPRIM_400000_NS6detail17trampoline_kernelINS0_14default_configENS1_35radix_sort_onesweep_config_selectorIjyEEZNS1_34radix_sort_onesweep_global_offsetsIS3_Lb0EPjPyjNS0_19identity_decomposerEEE10hipError_tT1_T2_PT3_SD_jT4_jjP12ihipStream_tbEUlT_E_NS1_11comp_targetILNS1_3genE6ELNS1_11target_archE950ELNS1_3gpuE13ELNS1_3repE0EEENS1_52radix_sort_onesweep_histogram_config_static_selectorELNS0_4arch9wavefront6targetE1EEEvSB_: ; @_ZN7rocprim17ROCPRIM_400000_NS6detail17trampoline_kernelINS0_14default_configENS1_35radix_sort_onesweep_config_selectorIjyEEZNS1_34radix_sort_onesweep_global_offsetsIS3_Lb0EPjPyjNS0_19identity_decomposerEEE10hipError_tT1_T2_PT3_SD_jT4_jjP12ihipStream_tbEUlT_E_NS1_11comp_targetILNS1_3genE6ELNS1_11target_archE950ELNS1_3gpuE13ELNS1_3repE0EEENS1_52radix_sort_onesweep_histogram_config_static_selectorELNS0_4arch9wavefront6targetE1EEEvSB_
; %bb.0:
	.section	.rodata,"a",@progbits
	.p2align	6, 0x0
	.amdhsa_kernel _ZN7rocprim17ROCPRIM_400000_NS6detail17trampoline_kernelINS0_14default_configENS1_35radix_sort_onesweep_config_selectorIjyEEZNS1_34radix_sort_onesweep_global_offsetsIS3_Lb0EPjPyjNS0_19identity_decomposerEEE10hipError_tT1_T2_PT3_SD_jT4_jjP12ihipStream_tbEUlT_E_NS1_11comp_targetILNS1_3genE6ELNS1_11target_archE950ELNS1_3gpuE13ELNS1_3repE0EEENS1_52radix_sort_onesweep_histogram_config_static_selectorELNS0_4arch9wavefront6targetE1EEEvSB_
		.amdhsa_group_segment_fixed_size 0
		.amdhsa_private_segment_fixed_size 0
		.amdhsa_kernarg_size 40
		.amdhsa_user_sgpr_count 6
		.amdhsa_user_sgpr_private_segment_buffer 1
		.amdhsa_user_sgpr_dispatch_ptr 0
		.amdhsa_user_sgpr_queue_ptr 0
		.amdhsa_user_sgpr_kernarg_segment_ptr 1
		.amdhsa_user_sgpr_dispatch_id 0
		.amdhsa_user_sgpr_flat_scratch_init 0
		.amdhsa_user_sgpr_kernarg_preload_length 0
		.amdhsa_user_sgpr_kernarg_preload_offset 0
		.amdhsa_user_sgpr_private_segment_size 0
		.amdhsa_uses_dynamic_stack 0
		.amdhsa_system_sgpr_private_segment_wavefront_offset 0
		.amdhsa_system_sgpr_workgroup_id_x 1
		.amdhsa_system_sgpr_workgroup_id_y 0
		.amdhsa_system_sgpr_workgroup_id_z 0
		.amdhsa_system_sgpr_workgroup_info 0
		.amdhsa_system_vgpr_workitem_id 0
		.amdhsa_next_free_vgpr 1
		.amdhsa_next_free_sgpr 0
		.amdhsa_accum_offset 4
		.amdhsa_reserve_vcc 0
		.amdhsa_reserve_flat_scratch 0
		.amdhsa_float_round_mode_32 0
		.amdhsa_float_round_mode_16_64 0
		.amdhsa_float_denorm_mode_32 3
		.amdhsa_float_denorm_mode_16_64 3
		.amdhsa_dx10_clamp 1
		.amdhsa_ieee_mode 1
		.amdhsa_fp16_overflow 0
		.amdhsa_tg_split 0
		.amdhsa_exception_fp_ieee_invalid_op 0
		.amdhsa_exception_fp_denorm_src 0
		.amdhsa_exception_fp_ieee_div_zero 0
		.amdhsa_exception_fp_ieee_overflow 0
		.amdhsa_exception_fp_ieee_underflow 0
		.amdhsa_exception_fp_ieee_inexact 0
		.amdhsa_exception_int_div_zero 0
	.end_amdhsa_kernel
	.section	.text._ZN7rocprim17ROCPRIM_400000_NS6detail17trampoline_kernelINS0_14default_configENS1_35radix_sort_onesweep_config_selectorIjyEEZNS1_34radix_sort_onesweep_global_offsetsIS3_Lb0EPjPyjNS0_19identity_decomposerEEE10hipError_tT1_T2_PT3_SD_jT4_jjP12ihipStream_tbEUlT_E_NS1_11comp_targetILNS1_3genE6ELNS1_11target_archE950ELNS1_3gpuE13ELNS1_3repE0EEENS1_52radix_sort_onesweep_histogram_config_static_selectorELNS0_4arch9wavefront6targetE1EEEvSB_,"axG",@progbits,_ZN7rocprim17ROCPRIM_400000_NS6detail17trampoline_kernelINS0_14default_configENS1_35radix_sort_onesweep_config_selectorIjyEEZNS1_34radix_sort_onesweep_global_offsetsIS3_Lb0EPjPyjNS0_19identity_decomposerEEE10hipError_tT1_T2_PT3_SD_jT4_jjP12ihipStream_tbEUlT_E_NS1_11comp_targetILNS1_3genE6ELNS1_11target_archE950ELNS1_3gpuE13ELNS1_3repE0EEENS1_52radix_sort_onesweep_histogram_config_static_selectorELNS0_4arch9wavefront6targetE1EEEvSB_,comdat
.Lfunc_end527:
	.size	_ZN7rocprim17ROCPRIM_400000_NS6detail17trampoline_kernelINS0_14default_configENS1_35radix_sort_onesweep_config_selectorIjyEEZNS1_34radix_sort_onesweep_global_offsetsIS3_Lb0EPjPyjNS0_19identity_decomposerEEE10hipError_tT1_T2_PT3_SD_jT4_jjP12ihipStream_tbEUlT_E_NS1_11comp_targetILNS1_3genE6ELNS1_11target_archE950ELNS1_3gpuE13ELNS1_3repE0EEENS1_52radix_sort_onesweep_histogram_config_static_selectorELNS0_4arch9wavefront6targetE1EEEvSB_, .Lfunc_end527-_ZN7rocprim17ROCPRIM_400000_NS6detail17trampoline_kernelINS0_14default_configENS1_35radix_sort_onesweep_config_selectorIjyEEZNS1_34radix_sort_onesweep_global_offsetsIS3_Lb0EPjPyjNS0_19identity_decomposerEEE10hipError_tT1_T2_PT3_SD_jT4_jjP12ihipStream_tbEUlT_E_NS1_11comp_targetILNS1_3genE6ELNS1_11target_archE950ELNS1_3gpuE13ELNS1_3repE0EEENS1_52radix_sort_onesweep_histogram_config_static_selectorELNS0_4arch9wavefront6targetE1EEEvSB_
                                        ; -- End function
	.section	.AMDGPU.csdata,"",@progbits
; Kernel info:
; codeLenInByte = 0
; NumSgprs: 4
; NumVgprs: 0
; NumAgprs: 0
; TotalNumVgprs: 0
; ScratchSize: 0
; MemoryBound: 0
; FloatMode: 240
; IeeeMode: 1
; LDSByteSize: 0 bytes/workgroup (compile time only)
; SGPRBlocks: 0
; VGPRBlocks: 0
; NumSGPRsForWavesPerEU: 4
; NumVGPRsForWavesPerEU: 1
; AccumOffset: 4
; Occupancy: 8
; WaveLimiterHint : 0
; COMPUTE_PGM_RSRC2:SCRATCH_EN: 0
; COMPUTE_PGM_RSRC2:USER_SGPR: 6
; COMPUTE_PGM_RSRC2:TRAP_HANDLER: 0
; COMPUTE_PGM_RSRC2:TGID_X_EN: 1
; COMPUTE_PGM_RSRC2:TGID_Y_EN: 0
; COMPUTE_PGM_RSRC2:TGID_Z_EN: 0
; COMPUTE_PGM_RSRC2:TIDIG_COMP_CNT: 0
; COMPUTE_PGM_RSRC3_GFX90A:ACCUM_OFFSET: 0
; COMPUTE_PGM_RSRC3_GFX90A:TG_SPLIT: 0
	.section	.text._ZN7rocprim17ROCPRIM_400000_NS6detail17trampoline_kernelINS0_14default_configENS1_35radix_sort_onesweep_config_selectorIjyEEZNS1_34radix_sort_onesweep_global_offsetsIS3_Lb0EPjPyjNS0_19identity_decomposerEEE10hipError_tT1_T2_PT3_SD_jT4_jjP12ihipStream_tbEUlT_E_NS1_11comp_targetILNS1_3genE5ELNS1_11target_archE942ELNS1_3gpuE9ELNS1_3repE0EEENS1_52radix_sort_onesweep_histogram_config_static_selectorELNS0_4arch9wavefront6targetE1EEEvSB_,"axG",@progbits,_ZN7rocprim17ROCPRIM_400000_NS6detail17trampoline_kernelINS0_14default_configENS1_35radix_sort_onesweep_config_selectorIjyEEZNS1_34radix_sort_onesweep_global_offsetsIS3_Lb0EPjPyjNS0_19identity_decomposerEEE10hipError_tT1_T2_PT3_SD_jT4_jjP12ihipStream_tbEUlT_E_NS1_11comp_targetILNS1_3genE5ELNS1_11target_archE942ELNS1_3gpuE9ELNS1_3repE0EEENS1_52radix_sort_onesweep_histogram_config_static_selectorELNS0_4arch9wavefront6targetE1EEEvSB_,comdat
	.protected	_ZN7rocprim17ROCPRIM_400000_NS6detail17trampoline_kernelINS0_14default_configENS1_35radix_sort_onesweep_config_selectorIjyEEZNS1_34radix_sort_onesweep_global_offsetsIS3_Lb0EPjPyjNS0_19identity_decomposerEEE10hipError_tT1_T2_PT3_SD_jT4_jjP12ihipStream_tbEUlT_E_NS1_11comp_targetILNS1_3genE5ELNS1_11target_archE942ELNS1_3gpuE9ELNS1_3repE0EEENS1_52radix_sort_onesweep_histogram_config_static_selectorELNS0_4arch9wavefront6targetE1EEEvSB_ ; -- Begin function _ZN7rocprim17ROCPRIM_400000_NS6detail17trampoline_kernelINS0_14default_configENS1_35radix_sort_onesweep_config_selectorIjyEEZNS1_34radix_sort_onesweep_global_offsetsIS3_Lb0EPjPyjNS0_19identity_decomposerEEE10hipError_tT1_T2_PT3_SD_jT4_jjP12ihipStream_tbEUlT_E_NS1_11comp_targetILNS1_3genE5ELNS1_11target_archE942ELNS1_3gpuE9ELNS1_3repE0EEENS1_52radix_sort_onesweep_histogram_config_static_selectorELNS0_4arch9wavefront6targetE1EEEvSB_
	.globl	_ZN7rocprim17ROCPRIM_400000_NS6detail17trampoline_kernelINS0_14default_configENS1_35radix_sort_onesweep_config_selectorIjyEEZNS1_34radix_sort_onesweep_global_offsetsIS3_Lb0EPjPyjNS0_19identity_decomposerEEE10hipError_tT1_T2_PT3_SD_jT4_jjP12ihipStream_tbEUlT_E_NS1_11comp_targetILNS1_3genE5ELNS1_11target_archE942ELNS1_3gpuE9ELNS1_3repE0EEENS1_52radix_sort_onesweep_histogram_config_static_selectorELNS0_4arch9wavefront6targetE1EEEvSB_
	.p2align	8
	.type	_ZN7rocprim17ROCPRIM_400000_NS6detail17trampoline_kernelINS0_14default_configENS1_35radix_sort_onesweep_config_selectorIjyEEZNS1_34radix_sort_onesweep_global_offsetsIS3_Lb0EPjPyjNS0_19identity_decomposerEEE10hipError_tT1_T2_PT3_SD_jT4_jjP12ihipStream_tbEUlT_E_NS1_11comp_targetILNS1_3genE5ELNS1_11target_archE942ELNS1_3gpuE9ELNS1_3repE0EEENS1_52radix_sort_onesweep_histogram_config_static_selectorELNS0_4arch9wavefront6targetE1EEEvSB_,@function
_ZN7rocprim17ROCPRIM_400000_NS6detail17trampoline_kernelINS0_14default_configENS1_35radix_sort_onesweep_config_selectorIjyEEZNS1_34radix_sort_onesweep_global_offsetsIS3_Lb0EPjPyjNS0_19identity_decomposerEEE10hipError_tT1_T2_PT3_SD_jT4_jjP12ihipStream_tbEUlT_E_NS1_11comp_targetILNS1_3genE5ELNS1_11target_archE942ELNS1_3gpuE9ELNS1_3repE0EEENS1_52radix_sort_onesweep_histogram_config_static_selectorELNS0_4arch9wavefront6targetE1EEEvSB_: ; @_ZN7rocprim17ROCPRIM_400000_NS6detail17trampoline_kernelINS0_14default_configENS1_35radix_sort_onesweep_config_selectorIjyEEZNS1_34radix_sort_onesweep_global_offsetsIS3_Lb0EPjPyjNS0_19identity_decomposerEEE10hipError_tT1_T2_PT3_SD_jT4_jjP12ihipStream_tbEUlT_E_NS1_11comp_targetILNS1_3genE5ELNS1_11target_archE942ELNS1_3gpuE9ELNS1_3repE0EEENS1_52radix_sort_onesweep_histogram_config_static_selectorELNS0_4arch9wavefront6targetE1EEEvSB_
; %bb.0:
	.section	.rodata,"a",@progbits
	.p2align	6, 0x0
	.amdhsa_kernel _ZN7rocprim17ROCPRIM_400000_NS6detail17trampoline_kernelINS0_14default_configENS1_35radix_sort_onesweep_config_selectorIjyEEZNS1_34radix_sort_onesweep_global_offsetsIS3_Lb0EPjPyjNS0_19identity_decomposerEEE10hipError_tT1_T2_PT3_SD_jT4_jjP12ihipStream_tbEUlT_E_NS1_11comp_targetILNS1_3genE5ELNS1_11target_archE942ELNS1_3gpuE9ELNS1_3repE0EEENS1_52radix_sort_onesweep_histogram_config_static_selectorELNS0_4arch9wavefront6targetE1EEEvSB_
		.amdhsa_group_segment_fixed_size 0
		.amdhsa_private_segment_fixed_size 0
		.amdhsa_kernarg_size 40
		.amdhsa_user_sgpr_count 6
		.amdhsa_user_sgpr_private_segment_buffer 1
		.amdhsa_user_sgpr_dispatch_ptr 0
		.amdhsa_user_sgpr_queue_ptr 0
		.amdhsa_user_sgpr_kernarg_segment_ptr 1
		.amdhsa_user_sgpr_dispatch_id 0
		.amdhsa_user_sgpr_flat_scratch_init 0
		.amdhsa_user_sgpr_kernarg_preload_length 0
		.amdhsa_user_sgpr_kernarg_preload_offset 0
		.amdhsa_user_sgpr_private_segment_size 0
		.amdhsa_uses_dynamic_stack 0
		.amdhsa_system_sgpr_private_segment_wavefront_offset 0
		.amdhsa_system_sgpr_workgroup_id_x 1
		.amdhsa_system_sgpr_workgroup_id_y 0
		.amdhsa_system_sgpr_workgroup_id_z 0
		.amdhsa_system_sgpr_workgroup_info 0
		.amdhsa_system_vgpr_workitem_id 0
		.amdhsa_next_free_vgpr 1
		.amdhsa_next_free_sgpr 0
		.amdhsa_accum_offset 4
		.amdhsa_reserve_vcc 0
		.amdhsa_reserve_flat_scratch 0
		.amdhsa_float_round_mode_32 0
		.amdhsa_float_round_mode_16_64 0
		.amdhsa_float_denorm_mode_32 3
		.amdhsa_float_denorm_mode_16_64 3
		.amdhsa_dx10_clamp 1
		.amdhsa_ieee_mode 1
		.amdhsa_fp16_overflow 0
		.amdhsa_tg_split 0
		.amdhsa_exception_fp_ieee_invalid_op 0
		.amdhsa_exception_fp_denorm_src 0
		.amdhsa_exception_fp_ieee_div_zero 0
		.amdhsa_exception_fp_ieee_overflow 0
		.amdhsa_exception_fp_ieee_underflow 0
		.amdhsa_exception_fp_ieee_inexact 0
		.amdhsa_exception_int_div_zero 0
	.end_amdhsa_kernel
	.section	.text._ZN7rocprim17ROCPRIM_400000_NS6detail17trampoline_kernelINS0_14default_configENS1_35radix_sort_onesweep_config_selectorIjyEEZNS1_34radix_sort_onesweep_global_offsetsIS3_Lb0EPjPyjNS0_19identity_decomposerEEE10hipError_tT1_T2_PT3_SD_jT4_jjP12ihipStream_tbEUlT_E_NS1_11comp_targetILNS1_3genE5ELNS1_11target_archE942ELNS1_3gpuE9ELNS1_3repE0EEENS1_52radix_sort_onesweep_histogram_config_static_selectorELNS0_4arch9wavefront6targetE1EEEvSB_,"axG",@progbits,_ZN7rocprim17ROCPRIM_400000_NS6detail17trampoline_kernelINS0_14default_configENS1_35radix_sort_onesweep_config_selectorIjyEEZNS1_34radix_sort_onesweep_global_offsetsIS3_Lb0EPjPyjNS0_19identity_decomposerEEE10hipError_tT1_T2_PT3_SD_jT4_jjP12ihipStream_tbEUlT_E_NS1_11comp_targetILNS1_3genE5ELNS1_11target_archE942ELNS1_3gpuE9ELNS1_3repE0EEENS1_52radix_sort_onesweep_histogram_config_static_selectorELNS0_4arch9wavefront6targetE1EEEvSB_,comdat
.Lfunc_end528:
	.size	_ZN7rocprim17ROCPRIM_400000_NS6detail17trampoline_kernelINS0_14default_configENS1_35radix_sort_onesweep_config_selectorIjyEEZNS1_34radix_sort_onesweep_global_offsetsIS3_Lb0EPjPyjNS0_19identity_decomposerEEE10hipError_tT1_T2_PT3_SD_jT4_jjP12ihipStream_tbEUlT_E_NS1_11comp_targetILNS1_3genE5ELNS1_11target_archE942ELNS1_3gpuE9ELNS1_3repE0EEENS1_52radix_sort_onesweep_histogram_config_static_selectorELNS0_4arch9wavefront6targetE1EEEvSB_, .Lfunc_end528-_ZN7rocprim17ROCPRIM_400000_NS6detail17trampoline_kernelINS0_14default_configENS1_35radix_sort_onesweep_config_selectorIjyEEZNS1_34radix_sort_onesweep_global_offsetsIS3_Lb0EPjPyjNS0_19identity_decomposerEEE10hipError_tT1_T2_PT3_SD_jT4_jjP12ihipStream_tbEUlT_E_NS1_11comp_targetILNS1_3genE5ELNS1_11target_archE942ELNS1_3gpuE9ELNS1_3repE0EEENS1_52radix_sort_onesweep_histogram_config_static_selectorELNS0_4arch9wavefront6targetE1EEEvSB_
                                        ; -- End function
	.section	.AMDGPU.csdata,"",@progbits
; Kernel info:
; codeLenInByte = 0
; NumSgprs: 4
; NumVgprs: 0
; NumAgprs: 0
; TotalNumVgprs: 0
; ScratchSize: 0
; MemoryBound: 0
; FloatMode: 240
; IeeeMode: 1
; LDSByteSize: 0 bytes/workgroup (compile time only)
; SGPRBlocks: 0
; VGPRBlocks: 0
; NumSGPRsForWavesPerEU: 4
; NumVGPRsForWavesPerEU: 1
; AccumOffset: 4
; Occupancy: 8
; WaveLimiterHint : 0
; COMPUTE_PGM_RSRC2:SCRATCH_EN: 0
; COMPUTE_PGM_RSRC2:USER_SGPR: 6
; COMPUTE_PGM_RSRC2:TRAP_HANDLER: 0
; COMPUTE_PGM_RSRC2:TGID_X_EN: 1
; COMPUTE_PGM_RSRC2:TGID_Y_EN: 0
; COMPUTE_PGM_RSRC2:TGID_Z_EN: 0
; COMPUTE_PGM_RSRC2:TIDIG_COMP_CNT: 0
; COMPUTE_PGM_RSRC3_GFX90A:ACCUM_OFFSET: 0
; COMPUTE_PGM_RSRC3_GFX90A:TG_SPLIT: 0
	.section	.text._ZN7rocprim17ROCPRIM_400000_NS6detail17trampoline_kernelINS0_14default_configENS1_35radix_sort_onesweep_config_selectorIjyEEZNS1_34radix_sort_onesweep_global_offsetsIS3_Lb0EPjPyjNS0_19identity_decomposerEEE10hipError_tT1_T2_PT3_SD_jT4_jjP12ihipStream_tbEUlT_E_NS1_11comp_targetILNS1_3genE2ELNS1_11target_archE906ELNS1_3gpuE6ELNS1_3repE0EEENS1_52radix_sort_onesweep_histogram_config_static_selectorELNS0_4arch9wavefront6targetE1EEEvSB_,"axG",@progbits,_ZN7rocprim17ROCPRIM_400000_NS6detail17trampoline_kernelINS0_14default_configENS1_35radix_sort_onesweep_config_selectorIjyEEZNS1_34radix_sort_onesweep_global_offsetsIS3_Lb0EPjPyjNS0_19identity_decomposerEEE10hipError_tT1_T2_PT3_SD_jT4_jjP12ihipStream_tbEUlT_E_NS1_11comp_targetILNS1_3genE2ELNS1_11target_archE906ELNS1_3gpuE6ELNS1_3repE0EEENS1_52radix_sort_onesweep_histogram_config_static_selectorELNS0_4arch9wavefront6targetE1EEEvSB_,comdat
	.protected	_ZN7rocprim17ROCPRIM_400000_NS6detail17trampoline_kernelINS0_14default_configENS1_35radix_sort_onesweep_config_selectorIjyEEZNS1_34radix_sort_onesweep_global_offsetsIS3_Lb0EPjPyjNS0_19identity_decomposerEEE10hipError_tT1_T2_PT3_SD_jT4_jjP12ihipStream_tbEUlT_E_NS1_11comp_targetILNS1_3genE2ELNS1_11target_archE906ELNS1_3gpuE6ELNS1_3repE0EEENS1_52radix_sort_onesweep_histogram_config_static_selectorELNS0_4arch9wavefront6targetE1EEEvSB_ ; -- Begin function _ZN7rocprim17ROCPRIM_400000_NS6detail17trampoline_kernelINS0_14default_configENS1_35radix_sort_onesweep_config_selectorIjyEEZNS1_34radix_sort_onesweep_global_offsetsIS3_Lb0EPjPyjNS0_19identity_decomposerEEE10hipError_tT1_T2_PT3_SD_jT4_jjP12ihipStream_tbEUlT_E_NS1_11comp_targetILNS1_3genE2ELNS1_11target_archE906ELNS1_3gpuE6ELNS1_3repE0EEENS1_52radix_sort_onesweep_histogram_config_static_selectorELNS0_4arch9wavefront6targetE1EEEvSB_
	.globl	_ZN7rocprim17ROCPRIM_400000_NS6detail17trampoline_kernelINS0_14default_configENS1_35radix_sort_onesweep_config_selectorIjyEEZNS1_34radix_sort_onesweep_global_offsetsIS3_Lb0EPjPyjNS0_19identity_decomposerEEE10hipError_tT1_T2_PT3_SD_jT4_jjP12ihipStream_tbEUlT_E_NS1_11comp_targetILNS1_3genE2ELNS1_11target_archE906ELNS1_3gpuE6ELNS1_3repE0EEENS1_52radix_sort_onesweep_histogram_config_static_selectorELNS0_4arch9wavefront6targetE1EEEvSB_
	.p2align	8
	.type	_ZN7rocprim17ROCPRIM_400000_NS6detail17trampoline_kernelINS0_14default_configENS1_35radix_sort_onesweep_config_selectorIjyEEZNS1_34radix_sort_onesweep_global_offsetsIS3_Lb0EPjPyjNS0_19identity_decomposerEEE10hipError_tT1_T2_PT3_SD_jT4_jjP12ihipStream_tbEUlT_E_NS1_11comp_targetILNS1_3genE2ELNS1_11target_archE906ELNS1_3gpuE6ELNS1_3repE0EEENS1_52radix_sort_onesweep_histogram_config_static_selectorELNS0_4arch9wavefront6targetE1EEEvSB_,@function
_ZN7rocprim17ROCPRIM_400000_NS6detail17trampoline_kernelINS0_14default_configENS1_35radix_sort_onesweep_config_selectorIjyEEZNS1_34radix_sort_onesweep_global_offsetsIS3_Lb0EPjPyjNS0_19identity_decomposerEEE10hipError_tT1_T2_PT3_SD_jT4_jjP12ihipStream_tbEUlT_E_NS1_11comp_targetILNS1_3genE2ELNS1_11target_archE906ELNS1_3gpuE6ELNS1_3repE0EEENS1_52radix_sort_onesweep_histogram_config_static_selectorELNS0_4arch9wavefront6targetE1EEEvSB_: ; @_ZN7rocprim17ROCPRIM_400000_NS6detail17trampoline_kernelINS0_14default_configENS1_35radix_sort_onesweep_config_selectorIjyEEZNS1_34radix_sort_onesweep_global_offsetsIS3_Lb0EPjPyjNS0_19identity_decomposerEEE10hipError_tT1_T2_PT3_SD_jT4_jjP12ihipStream_tbEUlT_E_NS1_11comp_targetILNS1_3genE2ELNS1_11target_archE906ELNS1_3gpuE6ELNS1_3repE0EEENS1_52radix_sort_onesweep_histogram_config_static_selectorELNS0_4arch9wavefront6targetE1EEEvSB_
; %bb.0:
	.section	.rodata,"a",@progbits
	.p2align	6, 0x0
	.amdhsa_kernel _ZN7rocprim17ROCPRIM_400000_NS6detail17trampoline_kernelINS0_14default_configENS1_35radix_sort_onesweep_config_selectorIjyEEZNS1_34radix_sort_onesweep_global_offsetsIS3_Lb0EPjPyjNS0_19identity_decomposerEEE10hipError_tT1_T2_PT3_SD_jT4_jjP12ihipStream_tbEUlT_E_NS1_11comp_targetILNS1_3genE2ELNS1_11target_archE906ELNS1_3gpuE6ELNS1_3repE0EEENS1_52radix_sort_onesweep_histogram_config_static_selectorELNS0_4arch9wavefront6targetE1EEEvSB_
		.amdhsa_group_segment_fixed_size 0
		.amdhsa_private_segment_fixed_size 0
		.amdhsa_kernarg_size 40
		.amdhsa_user_sgpr_count 6
		.amdhsa_user_sgpr_private_segment_buffer 1
		.amdhsa_user_sgpr_dispatch_ptr 0
		.amdhsa_user_sgpr_queue_ptr 0
		.amdhsa_user_sgpr_kernarg_segment_ptr 1
		.amdhsa_user_sgpr_dispatch_id 0
		.amdhsa_user_sgpr_flat_scratch_init 0
		.amdhsa_user_sgpr_kernarg_preload_length 0
		.amdhsa_user_sgpr_kernarg_preload_offset 0
		.amdhsa_user_sgpr_private_segment_size 0
		.amdhsa_uses_dynamic_stack 0
		.amdhsa_system_sgpr_private_segment_wavefront_offset 0
		.amdhsa_system_sgpr_workgroup_id_x 1
		.amdhsa_system_sgpr_workgroup_id_y 0
		.amdhsa_system_sgpr_workgroup_id_z 0
		.amdhsa_system_sgpr_workgroup_info 0
		.amdhsa_system_vgpr_workitem_id 0
		.amdhsa_next_free_vgpr 1
		.amdhsa_next_free_sgpr 0
		.amdhsa_accum_offset 4
		.amdhsa_reserve_vcc 0
		.amdhsa_reserve_flat_scratch 0
		.amdhsa_float_round_mode_32 0
		.amdhsa_float_round_mode_16_64 0
		.amdhsa_float_denorm_mode_32 3
		.amdhsa_float_denorm_mode_16_64 3
		.amdhsa_dx10_clamp 1
		.amdhsa_ieee_mode 1
		.amdhsa_fp16_overflow 0
		.amdhsa_tg_split 0
		.amdhsa_exception_fp_ieee_invalid_op 0
		.amdhsa_exception_fp_denorm_src 0
		.amdhsa_exception_fp_ieee_div_zero 0
		.amdhsa_exception_fp_ieee_overflow 0
		.amdhsa_exception_fp_ieee_underflow 0
		.amdhsa_exception_fp_ieee_inexact 0
		.amdhsa_exception_int_div_zero 0
	.end_amdhsa_kernel
	.section	.text._ZN7rocprim17ROCPRIM_400000_NS6detail17trampoline_kernelINS0_14default_configENS1_35radix_sort_onesweep_config_selectorIjyEEZNS1_34radix_sort_onesweep_global_offsetsIS3_Lb0EPjPyjNS0_19identity_decomposerEEE10hipError_tT1_T2_PT3_SD_jT4_jjP12ihipStream_tbEUlT_E_NS1_11comp_targetILNS1_3genE2ELNS1_11target_archE906ELNS1_3gpuE6ELNS1_3repE0EEENS1_52radix_sort_onesweep_histogram_config_static_selectorELNS0_4arch9wavefront6targetE1EEEvSB_,"axG",@progbits,_ZN7rocprim17ROCPRIM_400000_NS6detail17trampoline_kernelINS0_14default_configENS1_35radix_sort_onesweep_config_selectorIjyEEZNS1_34radix_sort_onesweep_global_offsetsIS3_Lb0EPjPyjNS0_19identity_decomposerEEE10hipError_tT1_T2_PT3_SD_jT4_jjP12ihipStream_tbEUlT_E_NS1_11comp_targetILNS1_3genE2ELNS1_11target_archE906ELNS1_3gpuE6ELNS1_3repE0EEENS1_52radix_sort_onesweep_histogram_config_static_selectorELNS0_4arch9wavefront6targetE1EEEvSB_,comdat
.Lfunc_end529:
	.size	_ZN7rocprim17ROCPRIM_400000_NS6detail17trampoline_kernelINS0_14default_configENS1_35radix_sort_onesweep_config_selectorIjyEEZNS1_34radix_sort_onesweep_global_offsetsIS3_Lb0EPjPyjNS0_19identity_decomposerEEE10hipError_tT1_T2_PT3_SD_jT4_jjP12ihipStream_tbEUlT_E_NS1_11comp_targetILNS1_3genE2ELNS1_11target_archE906ELNS1_3gpuE6ELNS1_3repE0EEENS1_52radix_sort_onesweep_histogram_config_static_selectorELNS0_4arch9wavefront6targetE1EEEvSB_, .Lfunc_end529-_ZN7rocprim17ROCPRIM_400000_NS6detail17trampoline_kernelINS0_14default_configENS1_35radix_sort_onesweep_config_selectorIjyEEZNS1_34radix_sort_onesweep_global_offsetsIS3_Lb0EPjPyjNS0_19identity_decomposerEEE10hipError_tT1_T2_PT3_SD_jT4_jjP12ihipStream_tbEUlT_E_NS1_11comp_targetILNS1_3genE2ELNS1_11target_archE906ELNS1_3gpuE6ELNS1_3repE0EEENS1_52radix_sort_onesweep_histogram_config_static_selectorELNS0_4arch9wavefront6targetE1EEEvSB_
                                        ; -- End function
	.section	.AMDGPU.csdata,"",@progbits
; Kernel info:
; codeLenInByte = 0
; NumSgprs: 4
; NumVgprs: 0
; NumAgprs: 0
; TotalNumVgprs: 0
; ScratchSize: 0
; MemoryBound: 0
; FloatMode: 240
; IeeeMode: 1
; LDSByteSize: 0 bytes/workgroup (compile time only)
; SGPRBlocks: 0
; VGPRBlocks: 0
; NumSGPRsForWavesPerEU: 4
; NumVGPRsForWavesPerEU: 1
; AccumOffset: 4
; Occupancy: 8
; WaveLimiterHint : 0
; COMPUTE_PGM_RSRC2:SCRATCH_EN: 0
; COMPUTE_PGM_RSRC2:USER_SGPR: 6
; COMPUTE_PGM_RSRC2:TRAP_HANDLER: 0
; COMPUTE_PGM_RSRC2:TGID_X_EN: 1
; COMPUTE_PGM_RSRC2:TGID_Y_EN: 0
; COMPUTE_PGM_RSRC2:TGID_Z_EN: 0
; COMPUTE_PGM_RSRC2:TIDIG_COMP_CNT: 0
; COMPUTE_PGM_RSRC3_GFX90A:ACCUM_OFFSET: 0
; COMPUTE_PGM_RSRC3_GFX90A:TG_SPLIT: 0
	.section	.text._ZN7rocprim17ROCPRIM_400000_NS6detail17trampoline_kernelINS0_14default_configENS1_35radix_sort_onesweep_config_selectorIjyEEZNS1_34radix_sort_onesweep_global_offsetsIS3_Lb0EPjPyjNS0_19identity_decomposerEEE10hipError_tT1_T2_PT3_SD_jT4_jjP12ihipStream_tbEUlT_E_NS1_11comp_targetILNS1_3genE4ELNS1_11target_archE910ELNS1_3gpuE8ELNS1_3repE0EEENS1_52radix_sort_onesweep_histogram_config_static_selectorELNS0_4arch9wavefront6targetE1EEEvSB_,"axG",@progbits,_ZN7rocprim17ROCPRIM_400000_NS6detail17trampoline_kernelINS0_14default_configENS1_35radix_sort_onesweep_config_selectorIjyEEZNS1_34radix_sort_onesweep_global_offsetsIS3_Lb0EPjPyjNS0_19identity_decomposerEEE10hipError_tT1_T2_PT3_SD_jT4_jjP12ihipStream_tbEUlT_E_NS1_11comp_targetILNS1_3genE4ELNS1_11target_archE910ELNS1_3gpuE8ELNS1_3repE0EEENS1_52radix_sort_onesweep_histogram_config_static_selectorELNS0_4arch9wavefront6targetE1EEEvSB_,comdat
	.protected	_ZN7rocprim17ROCPRIM_400000_NS6detail17trampoline_kernelINS0_14default_configENS1_35radix_sort_onesweep_config_selectorIjyEEZNS1_34radix_sort_onesweep_global_offsetsIS3_Lb0EPjPyjNS0_19identity_decomposerEEE10hipError_tT1_T2_PT3_SD_jT4_jjP12ihipStream_tbEUlT_E_NS1_11comp_targetILNS1_3genE4ELNS1_11target_archE910ELNS1_3gpuE8ELNS1_3repE0EEENS1_52radix_sort_onesweep_histogram_config_static_selectorELNS0_4arch9wavefront6targetE1EEEvSB_ ; -- Begin function _ZN7rocprim17ROCPRIM_400000_NS6detail17trampoline_kernelINS0_14default_configENS1_35radix_sort_onesweep_config_selectorIjyEEZNS1_34radix_sort_onesweep_global_offsetsIS3_Lb0EPjPyjNS0_19identity_decomposerEEE10hipError_tT1_T2_PT3_SD_jT4_jjP12ihipStream_tbEUlT_E_NS1_11comp_targetILNS1_3genE4ELNS1_11target_archE910ELNS1_3gpuE8ELNS1_3repE0EEENS1_52radix_sort_onesweep_histogram_config_static_selectorELNS0_4arch9wavefront6targetE1EEEvSB_
	.globl	_ZN7rocprim17ROCPRIM_400000_NS6detail17trampoline_kernelINS0_14default_configENS1_35radix_sort_onesweep_config_selectorIjyEEZNS1_34radix_sort_onesweep_global_offsetsIS3_Lb0EPjPyjNS0_19identity_decomposerEEE10hipError_tT1_T2_PT3_SD_jT4_jjP12ihipStream_tbEUlT_E_NS1_11comp_targetILNS1_3genE4ELNS1_11target_archE910ELNS1_3gpuE8ELNS1_3repE0EEENS1_52radix_sort_onesweep_histogram_config_static_selectorELNS0_4arch9wavefront6targetE1EEEvSB_
	.p2align	8
	.type	_ZN7rocprim17ROCPRIM_400000_NS6detail17trampoline_kernelINS0_14default_configENS1_35radix_sort_onesweep_config_selectorIjyEEZNS1_34radix_sort_onesweep_global_offsetsIS3_Lb0EPjPyjNS0_19identity_decomposerEEE10hipError_tT1_T2_PT3_SD_jT4_jjP12ihipStream_tbEUlT_E_NS1_11comp_targetILNS1_3genE4ELNS1_11target_archE910ELNS1_3gpuE8ELNS1_3repE0EEENS1_52radix_sort_onesweep_histogram_config_static_selectorELNS0_4arch9wavefront6targetE1EEEvSB_,@function
_ZN7rocprim17ROCPRIM_400000_NS6detail17trampoline_kernelINS0_14default_configENS1_35radix_sort_onesweep_config_selectorIjyEEZNS1_34radix_sort_onesweep_global_offsetsIS3_Lb0EPjPyjNS0_19identity_decomposerEEE10hipError_tT1_T2_PT3_SD_jT4_jjP12ihipStream_tbEUlT_E_NS1_11comp_targetILNS1_3genE4ELNS1_11target_archE910ELNS1_3gpuE8ELNS1_3repE0EEENS1_52radix_sort_onesweep_histogram_config_static_selectorELNS0_4arch9wavefront6targetE1EEEvSB_: ; @_ZN7rocprim17ROCPRIM_400000_NS6detail17trampoline_kernelINS0_14default_configENS1_35radix_sort_onesweep_config_selectorIjyEEZNS1_34radix_sort_onesweep_global_offsetsIS3_Lb0EPjPyjNS0_19identity_decomposerEEE10hipError_tT1_T2_PT3_SD_jT4_jjP12ihipStream_tbEUlT_E_NS1_11comp_targetILNS1_3genE4ELNS1_11target_archE910ELNS1_3gpuE8ELNS1_3repE0EEENS1_52radix_sort_onesweep_histogram_config_static_selectorELNS0_4arch9wavefront6targetE1EEEvSB_
; %bb.0:
	s_load_dword s7, s[4:5], 0x14
	s_load_dwordx4 s[8:11], s[4:5], 0x0
	s_load_dwordx2 s[2:3], s[4:5], 0x1c
	s_lshl_b32 s12, s6, 13
	s_mov_b64 s[0:1], -1
	s_waitcnt lgkmcnt(0)
	s_cmp_ge_u32 s6, s7
	s_cbranch_scc0 .LBB530_319
; %bb.1:
	s_load_dword s4, s[4:5], 0x10
	s_lshl_b32 s5, s7, 13
	s_mov_b32 s13, 0
	s_lshl_b64 s[0:1], s[12:13], 2
                                        ; implicit-def: $vgpr31
	s_waitcnt lgkmcnt(0)
	s_sub_i32 s13, s4, s5
	s_add_u32 s0, s8, s0
	s_addc_u32 s1, s9, s1
	v_cmp_gt_u32_e32 vcc, s13, v0
	s_and_saveexec_b64 s[4:5], vcc
	s_cbranch_execz .LBB530_3
; %bb.2:
	v_lshlrev_b32_e32 v1, 2, v0
	global_load_dword v31, v1, s[0:1]
.LBB530_3:
	s_or_b64 exec, exec, s[4:5]
	v_or_b32_e32 v32, 0x200, v0
	v_cmp_gt_u32_e32 vcc, s13, v32
                                        ; implicit-def: $vgpr30
	s_and_saveexec_b64 s[4:5], vcc
	s_cbranch_execz .LBB530_5
; %bb.4:
	v_lshlrev_b32_e32 v1, 2, v0
	global_load_dword v30, v1, s[0:1] offset:2048
.LBB530_5:
	s_or_b64 exec, exec, s[4:5]
	v_or_b32_e32 v29, 0x400, v0
	v_cmp_gt_u32_e32 vcc, s13, v29
                                        ; implicit-def: $vgpr28
	s_and_saveexec_b64 s[4:5], vcc
	s_cbranch_execz .LBB530_7
; %bb.6:
	v_lshlrev_b32_e32 v1, 2, v29
	global_load_dword v28, v1, s[0:1]
.LBB530_7:
	s_or_b64 exec, exec, s[4:5]
	v_or_b32_e32 v27, 0x600, v0
	v_cmp_gt_u32_e32 vcc, s13, v27
                                        ; implicit-def: $vgpr26
	s_and_saveexec_b64 s[4:5], vcc
	s_cbranch_execz .LBB530_9
; %bb.8:
	v_lshlrev_b32_e32 v1, 2, v27
	global_load_dword v26, v1, s[0:1]
.LBB530_9:
	s_or_b64 exec, exec, s[4:5]
	v_or_b32_e32 v25, 0x800, v0
	v_cmp_gt_u32_e32 vcc, s13, v25
                                        ; implicit-def: $vgpr24
	s_and_saveexec_b64 s[4:5], vcc
	s_cbranch_execz .LBB530_11
; %bb.10:
	v_lshlrev_b32_e32 v1, 2, v25
	global_load_dword v24, v1, s[0:1]
.LBB530_11:
	s_or_b64 exec, exec, s[4:5]
	v_or_b32_e32 v23, 0xa00, v0
	v_cmp_gt_u32_e32 vcc, s13, v23
                                        ; implicit-def: $vgpr22
	s_and_saveexec_b64 s[4:5], vcc
	s_cbranch_execz .LBB530_13
; %bb.12:
	v_lshlrev_b32_e32 v1, 2, v23
	global_load_dword v22, v1, s[0:1]
.LBB530_13:
	s_or_b64 exec, exec, s[4:5]
	v_or_b32_e32 v21, 0xc00, v0
	v_cmp_gt_u32_e32 vcc, s13, v21
                                        ; implicit-def: $vgpr20
	s_and_saveexec_b64 s[4:5], vcc
	s_cbranch_execz .LBB530_15
; %bb.14:
	v_lshlrev_b32_e32 v1, 2, v21
	global_load_dword v20, v1, s[0:1]
.LBB530_15:
	s_or_b64 exec, exec, s[4:5]
	v_or_b32_e32 v19, 0xe00, v0
	v_cmp_gt_u32_e32 vcc, s13, v19
                                        ; implicit-def: $vgpr18
	s_and_saveexec_b64 s[4:5], vcc
	s_cbranch_execz .LBB530_17
; %bb.16:
	v_lshlrev_b32_e32 v1, 2, v19
	global_load_dword v18, v1, s[0:1]
.LBB530_17:
	s_or_b64 exec, exec, s[4:5]
	v_or_b32_e32 v17, 0x1000, v0
	v_cmp_gt_u32_e32 vcc, s13, v17
                                        ; implicit-def: $vgpr16
	s_and_saveexec_b64 s[4:5], vcc
	s_cbranch_execz .LBB530_19
; %bb.18:
	v_lshlrev_b32_e32 v1, 2, v17
	global_load_dword v16, v1, s[0:1]
.LBB530_19:
	s_or_b64 exec, exec, s[4:5]
	v_or_b32_e32 v15, 0x1200, v0
	v_cmp_gt_u32_e32 vcc, s13, v15
                                        ; implicit-def: $vgpr14
	s_and_saveexec_b64 s[4:5], vcc
	s_cbranch_execz .LBB530_21
; %bb.20:
	v_lshlrev_b32_e32 v1, 2, v15
	global_load_dword v14, v1, s[0:1]
.LBB530_21:
	s_or_b64 exec, exec, s[4:5]
	v_or_b32_e32 v13, 0x1400, v0
	v_cmp_gt_u32_e32 vcc, s13, v13
                                        ; implicit-def: $vgpr12
	s_and_saveexec_b64 s[4:5], vcc
	s_cbranch_execz .LBB530_23
; %bb.22:
	v_lshlrev_b32_e32 v1, 2, v13
	global_load_dword v12, v1, s[0:1]
.LBB530_23:
	s_or_b64 exec, exec, s[4:5]
	v_or_b32_e32 v11, 0x1600, v0
	v_cmp_gt_u32_e32 vcc, s13, v11
                                        ; implicit-def: $vgpr10
	s_and_saveexec_b64 s[4:5], vcc
	s_cbranch_execz .LBB530_25
; %bb.24:
	v_lshlrev_b32_e32 v1, 2, v11
	global_load_dword v10, v1, s[0:1]
.LBB530_25:
	s_or_b64 exec, exec, s[4:5]
	v_or_b32_e32 v9, 0x1800, v0
	v_cmp_gt_u32_e32 vcc, s13, v9
                                        ; implicit-def: $vgpr8
	s_and_saveexec_b64 s[4:5], vcc
	s_cbranch_execz .LBB530_27
; %bb.26:
	v_lshlrev_b32_e32 v1, 2, v9
	global_load_dword v8, v1, s[0:1]
.LBB530_27:
	s_or_b64 exec, exec, s[4:5]
	v_or_b32_e32 v7, 0x1a00, v0
	v_cmp_gt_u32_e32 vcc, s13, v7
                                        ; implicit-def: $vgpr6
	s_and_saveexec_b64 s[4:5], vcc
	s_cbranch_execz .LBB530_29
; %bb.28:
	v_lshlrev_b32_e32 v1, 2, v7
	global_load_dword v6, v1, s[0:1]
.LBB530_29:
	s_or_b64 exec, exec, s[4:5]
	v_or_b32_e32 v5, 0x1c00, v0
	v_cmp_gt_u32_e32 vcc, s13, v5
                                        ; implicit-def: $vgpr4
	s_and_saveexec_b64 s[4:5], vcc
	s_cbranch_execz .LBB530_31
; %bb.30:
	v_lshlrev_b32_e32 v1, 2, v5
	global_load_dword v4, v1, s[0:1]
.LBB530_31:
	s_or_b64 exec, exec, s[4:5]
	v_or_b32_e32 v3, 0x1e00, v0
	v_cmp_gt_u32_e32 vcc, s13, v3
                                        ; implicit-def: $vgpr1
	s_and_saveexec_b64 s[4:5], vcc
	s_cbranch_execz .LBB530_33
; %bb.32:
	v_lshlrev_b32_e32 v1, 2, v3
	global_load_dword v1, v1, s[0:1]
.LBB530_33:
	s_or_b64 exec, exec, s[4:5]
	v_lshlrev_b32_e32 v2, 2, v0
	v_mov_b32_e32 v33, 0
	s_mov_b64 s[0:1], -1
	ds_write2st64_b32 v2, v33, v33 offset1:8
	ds_write2st64_b32 v2, v33, v33 offset0:16 offset1:24
	s_and_saveexec_b64 s[4:5], s[0:1]
	s_cbranch_execz .LBB530_35
; %bb.34:
	ds_write_b32 v2, v33 offset:8192
.LBB530_35:
	s_or_b64 exec, exec, s[4:5]
	s_and_saveexec_b64 s[4:5], s[0:1]
	s_cbranch_execz .LBB530_37
; %bb.36:
	v_mov_b32_e32 v33, 0
	ds_write_b32 v2, v33 offset:10240
.LBB530_37:
	s_or_b64 exec, exec, s[4:5]
	v_cmp_gt_u32_e64 s[0:1], 7, 6
	v_cmp_gt_u32_e64 s[6:7], 7, 5
	s_and_saveexec_b64 s[4:5], s[6:7]
	s_cbranch_execz .LBB530_39
; %bb.38:
	v_mov_b32_e32 v33, 0
	ds_write_b32 v2, v33 offset:12288
.LBB530_39:
	s_or_b64 exec, exec, s[4:5]
	s_and_saveexec_b64 s[4:5], s[0:1]
	s_cbranch_execz .LBB530_41
; %bb.40:
	v_mov_b32_e32 v33, 0
	ds_write_b32 v2, v33 offset:14336
.LBB530_41:
	s_or_b64 exec, exec, s[4:5]
	s_cmp_ge_u32 s2, s3
	s_cselect_b64 s[4:5], -1, 0
	v_cmp_le_u32_e32 vcc, s13, v0
	s_and_b64 s[0:1], s[4:5], exec
	s_cselect_b32 s18, 8, 10
	s_or_b64 s[0:1], s[4:5], vcc
	v_and_b32_e32 v2, 3, v0
	s_xor_b64 s[6:7], s[0:1], -1
	v_mov_b32_e32 v33, s18
	s_waitcnt lgkmcnt(0)
	s_barrier
	s_and_saveexec_b64 s[0:1], s[6:7]
	s_cbranch_execz .LBB530_43
; %bb.42:
	s_sub_i32 s6, s3, s2
	s_min_u32 s6, s6, 8
	s_waitcnt vmcnt(0)
	v_lshrrev_b32_e32 v33, s2, v31
	v_bfe_u32 v33, v33, 0, s6
	v_lshlrev_b32_e32 v34, 2, v2
	v_lshl_or_b32 v33, v33, 4, v34
	v_mov_b32_e32 v34, 1
	ds_add_u32 v33, v34
	v_mov_b32_e32 v33, 0
.LBB530_43:
	s_or_b64 exec, exec, s[0:1]
	v_cmp_gt_i32_e64 s[0:1], 10, v33
	s_mov_b64 s[14:15], -1
	s_and_saveexec_b64 s[6:7], s[0:1]
; %bb.44:
	v_cmp_eq_u32_e64 s[0:1], 0, v33
	s_orn2_b64 s[14:15], s[0:1], exec
; %bb.45:
	s_or_b64 exec, exec, s[6:7]
	s_and_saveexec_b64 s[6:7], s[14:15]
	s_cbranch_execz .LBB530_58
; %bb.46:
	s_add_i32 s14, s2, 8
	s_cmp_le_u32 s3, s14
	s_cselect_b64 s[0:1], -1, 0
	s_and_b64 s[16:17], s[0:1], exec
	s_cselect_b32 s15, 8, 10
	s_or_b64 s[0:1], s[0:1], vcc
	s_xor_b64 s[16:17], s[0:1], -1
	v_mov_b32_e32 v33, s15
	s_and_saveexec_b64 s[0:1], s[16:17]
	s_cbranch_execz .LBB530_48
; %bb.47:
	s_sub_i32 s15, s3, s14
	s_min_u32 s15, s15, 8
	s_waitcnt vmcnt(0)
	v_lshrrev_b32_e32 v33, s14, v31
	v_bfe_u32 v33, v33, 0, s15
	v_lshlrev_b32_e32 v34, 2, v2
	v_lshl_or_b32 v33, v33, 4, v34
	v_mov_b32_e32 v34, 1
	ds_add_u32 v33, v34 offset:4096
	v_mov_b32_e32 v33, 0
.LBB530_48:
	s_or_b64 exec, exec, s[0:1]
	v_cmp_gt_i32_e64 s[0:1], 10, v33
	s_mov_b64 s[14:15], -1
	s_and_saveexec_b64 s[16:17], s[0:1]
; %bb.49:
	v_cmp_eq_u32_e64 s[0:1], 0, v33
	s_orn2_b64 s[14:15], s[0:1], exec
; %bb.50:
	s_or_b64 exec, exec, s[16:17]
	s_and_b64 exec, exec, s[14:15]
	s_cbranch_execz .LBB530_58
; %bb.51:
	s_add_i32 s14, s2, 16
	s_cmp_le_u32 s3, s14
	s_cselect_b64 s[0:1], -1, 0
	s_and_b64 s[16:17], s[0:1], exec
	s_cselect_b32 s15, 8, 10
	s_or_b64 s[0:1], s[0:1], vcc
	s_xor_b64 s[16:17], s[0:1], -1
	v_mov_b32_e32 v33, s15
	s_and_saveexec_b64 s[0:1], s[16:17]
	s_cbranch_execz .LBB530_53
; %bb.52:
	s_sub_i32 s15, s3, s14
	s_min_u32 s15, s15, 8
	s_waitcnt vmcnt(0)
	v_lshrrev_b32_e32 v33, s14, v31
	v_bfe_u32 v33, v33, 0, s15
	v_lshlrev_b32_e32 v34, 2, v2
	v_lshl_or_b32 v33, v33, 4, v34
	v_mov_b32_e32 v34, 1
	ds_add_u32 v33, v34 offset:8192
	v_mov_b32_e32 v33, 0
.LBB530_53:
	s_or_b64 exec, exec, s[0:1]
	v_cmp_gt_i32_e64 s[0:1], 10, v33
	s_mov_b64 s[14:15], -1
	s_and_saveexec_b64 s[16:17], s[0:1]
; %bb.54:
	v_cmp_eq_u32_e64 s[0:1], 0, v33
	s_orn2_b64 s[14:15], s[0:1], exec
; %bb.55:
	s_or_b64 exec, exec, s[16:17]
	s_and_b64 exec, exec, s[14:15]
	s_cbranch_execz .LBB530_58
; %bb.56:
	s_add_i32 s0, s2, 24
	s_cmp_gt_u32 s3, s0
	s_cselect_b64 s[14:15], -1, 0
	s_xor_b64 s[16:17], vcc, -1
	s_and_b64 s[14:15], s[14:15], s[16:17]
	s_and_b64 exec, exec, s[14:15]
	s_cbranch_execz .LBB530_58
; %bb.57:
	s_sub_i32 s1, s3, s0
	s_min_u32 s1, s1, 8
	s_waitcnt vmcnt(0)
	v_lshrrev_b32_e32 v31, s0, v31
	v_bfe_u32 v31, v31, 0, s1
	v_lshlrev_b32_e32 v33, 2, v2
	v_lshl_or_b32 v31, v31, 4, v33
	v_mov_b32_e32 v33, 1
	ds_add_u32 v31, v33 offset:12288
.LBB530_58:
	s_or_b64 exec, exec, s[6:7]
	v_cmp_le_u32_e32 vcc, s13, v32
	s_or_b64 s[0:1], s[4:5], vcc
	s_xor_b64 s[6:7], s[0:1], -1
	s_waitcnt vmcnt(0)
	v_mov_b32_e32 v31, s18
	s_and_saveexec_b64 s[0:1], s[6:7]
	s_cbranch_execz .LBB530_60
; %bb.59:
	s_sub_i32 s6, s3, s2
	s_min_u32 s6, s6, 8
	v_lshrrev_b32_e32 v31, s2, v30
	v_bfe_u32 v31, v31, 0, s6
	v_lshlrev_b32_e32 v32, 2, v2
	v_lshl_or_b32 v31, v31, 4, v32
	v_mov_b32_e32 v32, 1
	ds_add_u32 v31, v32
	v_mov_b32_e32 v31, 0
.LBB530_60:
	s_or_b64 exec, exec, s[0:1]
	v_cmp_gt_i32_e64 s[0:1], 10, v31
	s_mov_b64 s[14:15], -1
	s_and_saveexec_b64 s[6:7], s[0:1]
; %bb.61:
	v_cmp_eq_u32_e64 s[0:1], 0, v31
	s_orn2_b64 s[14:15], s[0:1], exec
; %bb.62:
	s_or_b64 exec, exec, s[6:7]
	s_and_saveexec_b64 s[6:7], s[14:15]
	s_cbranch_execz .LBB530_75
; %bb.63:
	s_add_i32 s14, s2, 8
	s_cmp_le_u32 s3, s14
	s_cselect_b64 s[0:1], -1, 0
	s_and_b64 s[16:17], s[0:1], exec
	s_cselect_b32 s15, 8, 10
	s_or_b64 s[0:1], s[0:1], vcc
	s_xor_b64 s[16:17], s[0:1], -1
	v_mov_b32_e32 v31, s15
	s_and_saveexec_b64 s[0:1], s[16:17]
	s_cbranch_execz .LBB530_65
; %bb.64:
	s_sub_i32 s15, s3, s14
	s_min_u32 s15, s15, 8
	v_lshrrev_b32_e32 v31, s14, v30
	v_bfe_u32 v31, v31, 0, s15
	v_lshlrev_b32_e32 v32, 2, v2
	v_lshl_or_b32 v31, v31, 4, v32
	v_mov_b32_e32 v32, 1
	ds_add_u32 v31, v32 offset:4096
	v_mov_b32_e32 v31, 0
.LBB530_65:
	s_or_b64 exec, exec, s[0:1]
	v_cmp_gt_i32_e64 s[0:1], 10, v31
	s_mov_b64 s[14:15], -1
	s_and_saveexec_b64 s[16:17], s[0:1]
; %bb.66:
	v_cmp_eq_u32_e64 s[0:1], 0, v31
	s_orn2_b64 s[14:15], s[0:1], exec
; %bb.67:
	s_or_b64 exec, exec, s[16:17]
	s_and_b64 exec, exec, s[14:15]
	s_cbranch_execz .LBB530_75
; %bb.68:
	s_add_i32 s14, s2, 16
	s_cmp_le_u32 s3, s14
	s_cselect_b64 s[0:1], -1, 0
	s_and_b64 s[16:17], s[0:1], exec
	s_cselect_b32 s15, 8, 10
	s_or_b64 s[0:1], s[0:1], vcc
	s_xor_b64 s[16:17], s[0:1], -1
	v_mov_b32_e32 v31, s15
	s_and_saveexec_b64 s[0:1], s[16:17]
	s_cbranch_execz .LBB530_70
; %bb.69:
	s_sub_i32 s15, s3, s14
	s_min_u32 s15, s15, 8
	v_lshrrev_b32_e32 v31, s14, v30
	v_bfe_u32 v31, v31, 0, s15
	v_lshlrev_b32_e32 v32, 2, v2
	v_lshl_or_b32 v31, v31, 4, v32
	v_mov_b32_e32 v32, 1
	ds_add_u32 v31, v32 offset:8192
	v_mov_b32_e32 v31, 0
.LBB530_70:
	s_or_b64 exec, exec, s[0:1]
	v_cmp_gt_i32_e64 s[0:1], 10, v31
	s_mov_b64 s[14:15], -1
	s_and_saveexec_b64 s[16:17], s[0:1]
; %bb.71:
	v_cmp_eq_u32_e64 s[0:1], 0, v31
	s_orn2_b64 s[14:15], s[0:1], exec
; %bb.72:
	s_or_b64 exec, exec, s[16:17]
	s_and_b64 exec, exec, s[14:15]
	s_cbranch_execz .LBB530_75
; %bb.73:
	s_add_i32 s0, s2, 24
	s_cmp_gt_u32 s3, s0
	s_cselect_b64 s[14:15], -1, 0
	s_xor_b64 s[16:17], vcc, -1
	s_and_b64 s[14:15], s[14:15], s[16:17]
	s_and_b64 exec, exec, s[14:15]
	s_cbranch_execz .LBB530_75
; %bb.74:
	s_sub_i32 s1, s3, s0
	s_min_u32 s1, s1, 8
	v_lshrrev_b32_e32 v30, s0, v30
	v_bfe_u32 v30, v30, 0, s1
	v_lshlrev_b32_e32 v31, 2, v2
	v_lshl_or_b32 v30, v30, 4, v31
	v_mov_b32_e32 v31, 1
	ds_add_u32 v30, v31 offset:12288
.LBB530_75:
	s_or_b64 exec, exec, s[6:7]
	v_cmp_le_u32_e32 vcc, s13, v29
	s_or_b64 s[0:1], s[4:5], vcc
	s_xor_b64 s[6:7], s[0:1], -1
	v_mov_b32_e32 v29, s18
	s_and_saveexec_b64 s[0:1], s[6:7]
	s_cbranch_execz .LBB530_77
; %bb.76:
	s_sub_i32 s6, s3, s2
	s_min_u32 s6, s6, 8
	v_lshrrev_b32_e32 v29, s2, v28
	v_bfe_u32 v29, v29, 0, s6
	v_lshlrev_b32_e32 v30, 2, v2
	v_lshl_or_b32 v29, v29, 4, v30
	v_mov_b32_e32 v30, 1
	ds_add_u32 v29, v30
	v_mov_b32_e32 v29, 0
.LBB530_77:
	s_or_b64 exec, exec, s[0:1]
	v_cmp_gt_i32_e64 s[0:1], 10, v29
	s_mov_b64 s[14:15], -1
	s_and_saveexec_b64 s[6:7], s[0:1]
; %bb.78:
	v_cmp_eq_u32_e64 s[0:1], 0, v29
	s_orn2_b64 s[14:15], s[0:1], exec
; %bb.79:
	s_or_b64 exec, exec, s[6:7]
	s_and_saveexec_b64 s[6:7], s[14:15]
	s_cbranch_execz .LBB530_92
; %bb.80:
	s_add_i32 s14, s2, 8
	s_cmp_le_u32 s3, s14
	s_cselect_b64 s[0:1], -1, 0
	s_and_b64 s[16:17], s[0:1], exec
	s_cselect_b32 s15, 8, 10
	s_or_b64 s[0:1], s[0:1], vcc
	s_xor_b64 s[16:17], s[0:1], -1
	v_mov_b32_e32 v29, s15
	s_and_saveexec_b64 s[0:1], s[16:17]
	s_cbranch_execz .LBB530_82
; %bb.81:
	s_sub_i32 s15, s3, s14
	s_min_u32 s15, s15, 8
	v_lshrrev_b32_e32 v29, s14, v28
	v_bfe_u32 v29, v29, 0, s15
	v_lshlrev_b32_e32 v30, 2, v2
	v_lshl_or_b32 v29, v29, 4, v30
	v_mov_b32_e32 v30, 1
	ds_add_u32 v29, v30 offset:4096
	v_mov_b32_e32 v29, 0
.LBB530_82:
	s_or_b64 exec, exec, s[0:1]
	v_cmp_gt_i32_e64 s[0:1], 10, v29
	s_mov_b64 s[14:15], -1
	s_and_saveexec_b64 s[16:17], s[0:1]
; %bb.83:
	v_cmp_eq_u32_e64 s[0:1], 0, v29
	s_orn2_b64 s[14:15], s[0:1], exec
; %bb.84:
	s_or_b64 exec, exec, s[16:17]
	s_and_b64 exec, exec, s[14:15]
	s_cbranch_execz .LBB530_92
; %bb.85:
	s_add_i32 s14, s2, 16
	s_cmp_le_u32 s3, s14
	s_cselect_b64 s[0:1], -1, 0
	s_and_b64 s[16:17], s[0:1], exec
	s_cselect_b32 s15, 8, 10
	s_or_b64 s[0:1], s[0:1], vcc
	s_xor_b64 s[16:17], s[0:1], -1
	v_mov_b32_e32 v29, s15
	s_and_saveexec_b64 s[0:1], s[16:17]
	s_cbranch_execz .LBB530_87
; %bb.86:
	s_sub_i32 s15, s3, s14
	s_min_u32 s15, s15, 8
	v_lshrrev_b32_e32 v29, s14, v28
	v_bfe_u32 v29, v29, 0, s15
	v_lshlrev_b32_e32 v30, 2, v2
	v_lshl_or_b32 v29, v29, 4, v30
	v_mov_b32_e32 v30, 1
	ds_add_u32 v29, v30 offset:8192
	v_mov_b32_e32 v29, 0
.LBB530_87:
	s_or_b64 exec, exec, s[0:1]
	v_cmp_gt_i32_e64 s[0:1], 10, v29
	s_mov_b64 s[14:15], -1
	s_and_saveexec_b64 s[16:17], s[0:1]
; %bb.88:
	v_cmp_eq_u32_e64 s[0:1], 0, v29
	s_orn2_b64 s[14:15], s[0:1], exec
; %bb.89:
	s_or_b64 exec, exec, s[16:17]
	s_and_b64 exec, exec, s[14:15]
	s_cbranch_execz .LBB530_92
; %bb.90:
	s_add_i32 s0, s2, 24
	s_cmp_gt_u32 s3, s0
	s_cselect_b64 s[14:15], -1, 0
	s_xor_b64 s[16:17], vcc, -1
	s_and_b64 s[14:15], s[14:15], s[16:17]
	s_and_b64 exec, exec, s[14:15]
	s_cbranch_execz .LBB530_92
; %bb.91:
	s_sub_i32 s1, s3, s0
	s_min_u32 s1, s1, 8
	v_lshrrev_b32_e32 v28, s0, v28
	v_bfe_u32 v28, v28, 0, s1
	v_lshlrev_b32_e32 v29, 2, v2
	v_lshl_or_b32 v28, v28, 4, v29
	v_mov_b32_e32 v29, 1
	ds_add_u32 v28, v29 offset:12288
.LBB530_92:
	s_or_b64 exec, exec, s[6:7]
	v_cmp_le_u32_e32 vcc, s13, v27
	s_or_b64 s[0:1], s[4:5], vcc
	s_xor_b64 s[6:7], s[0:1], -1
	v_mov_b32_e32 v27, s18
	s_and_saveexec_b64 s[0:1], s[6:7]
	s_cbranch_execz .LBB530_94
; %bb.93:
	s_sub_i32 s6, s3, s2
	s_min_u32 s6, s6, 8
	v_lshrrev_b32_e32 v27, s2, v26
	v_bfe_u32 v27, v27, 0, s6
	v_lshlrev_b32_e32 v28, 2, v2
	v_lshl_or_b32 v27, v27, 4, v28
	v_mov_b32_e32 v28, 1
	ds_add_u32 v27, v28
	v_mov_b32_e32 v27, 0
.LBB530_94:
	s_or_b64 exec, exec, s[0:1]
	v_cmp_gt_i32_e64 s[0:1], 10, v27
	s_mov_b64 s[14:15], -1
	s_and_saveexec_b64 s[6:7], s[0:1]
; %bb.95:
	v_cmp_eq_u32_e64 s[0:1], 0, v27
	s_orn2_b64 s[14:15], s[0:1], exec
; %bb.96:
	s_or_b64 exec, exec, s[6:7]
	s_and_saveexec_b64 s[6:7], s[14:15]
	s_cbranch_execz .LBB530_109
; %bb.97:
	s_add_i32 s14, s2, 8
	s_cmp_le_u32 s3, s14
	s_cselect_b64 s[0:1], -1, 0
	s_and_b64 s[16:17], s[0:1], exec
	s_cselect_b32 s15, 8, 10
	s_or_b64 s[0:1], s[0:1], vcc
	s_xor_b64 s[16:17], s[0:1], -1
	v_mov_b32_e32 v27, s15
	s_and_saveexec_b64 s[0:1], s[16:17]
	s_cbranch_execz .LBB530_99
; %bb.98:
	s_sub_i32 s15, s3, s14
	s_min_u32 s15, s15, 8
	v_lshrrev_b32_e32 v27, s14, v26
	v_bfe_u32 v27, v27, 0, s15
	v_lshlrev_b32_e32 v28, 2, v2
	v_lshl_or_b32 v27, v27, 4, v28
	v_mov_b32_e32 v28, 1
	ds_add_u32 v27, v28 offset:4096
	v_mov_b32_e32 v27, 0
.LBB530_99:
	s_or_b64 exec, exec, s[0:1]
	v_cmp_gt_i32_e64 s[0:1], 10, v27
	s_mov_b64 s[14:15], -1
	s_and_saveexec_b64 s[16:17], s[0:1]
; %bb.100:
	v_cmp_eq_u32_e64 s[0:1], 0, v27
	s_orn2_b64 s[14:15], s[0:1], exec
; %bb.101:
	s_or_b64 exec, exec, s[16:17]
	s_and_b64 exec, exec, s[14:15]
	s_cbranch_execz .LBB530_109
; %bb.102:
	s_add_i32 s14, s2, 16
	s_cmp_le_u32 s3, s14
	s_cselect_b64 s[0:1], -1, 0
	s_and_b64 s[16:17], s[0:1], exec
	s_cselect_b32 s15, 8, 10
	s_or_b64 s[0:1], s[0:1], vcc
	s_xor_b64 s[16:17], s[0:1], -1
	v_mov_b32_e32 v27, s15
	s_and_saveexec_b64 s[0:1], s[16:17]
	s_cbranch_execz .LBB530_104
; %bb.103:
	s_sub_i32 s15, s3, s14
	s_min_u32 s15, s15, 8
	v_lshrrev_b32_e32 v27, s14, v26
	v_bfe_u32 v27, v27, 0, s15
	v_lshlrev_b32_e32 v28, 2, v2
	v_lshl_or_b32 v27, v27, 4, v28
	v_mov_b32_e32 v28, 1
	ds_add_u32 v27, v28 offset:8192
	v_mov_b32_e32 v27, 0
.LBB530_104:
	s_or_b64 exec, exec, s[0:1]
	v_cmp_gt_i32_e64 s[0:1], 10, v27
	s_mov_b64 s[14:15], -1
	s_and_saveexec_b64 s[16:17], s[0:1]
; %bb.105:
	v_cmp_eq_u32_e64 s[0:1], 0, v27
	s_orn2_b64 s[14:15], s[0:1], exec
; %bb.106:
	s_or_b64 exec, exec, s[16:17]
	s_and_b64 exec, exec, s[14:15]
	s_cbranch_execz .LBB530_109
; %bb.107:
	s_add_i32 s0, s2, 24
	s_cmp_gt_u32 s3, s0
	s_cselect_b64 s[14:15], -1, 0
	s_xor_b64 s[16:17], vcc, -1
	s_and_b64 s[14:15], s[14:15], s[16:17]
	s_and_b64 exec, exec, s[14:15]
	s_cbranch_execz .LBB530_109
; %bb.108:
	s_sub_i32 s1, s3, s0
	s_min_u32 s1, s1, 8
	v_lshrrev_b32_e32 v26, s0, v26
	v_bfe_u32 v26, v26, 0, s1
	v_lshlrev_b32_e32 v27, 2, v2
	v_lshl_or_b32 v26, v26, 4, v27
	v_mov_b32_e32 v27, 1
	ds_add_u32 v26, v27 offset:12288
.LBB530_109:
	s_or_b64 exec, exec, s[6:7]
	v_cmp_le_u32_e32 vcc, s13, v25
	s_or_b64 s[0:1], s[4:5], vcc
	s_xor_b64 s[6:7], s[0:1], -1
	v_mov_b32_e32 v25, s18
	s_and_saveexec_b64 s[0:1], s[6:7]
	s_cbranch_execz .LBB530_111
; %bb.110:
	s_sub_i32 s6, s3, s2
	s_min_u32 s6, s6, 8
	v_lshrrev_b32_e32 v25, s2, v24
	v_bfe_u32 v25, v25, 0, s6
	v_lshlrev_b32_e32 v26, 2, v2
	v_lshl_or_b32 v25, v25, 4, v26
	v_mov_b32_e32 v26, 1
	ds_add_u32 v25, v26
	v_mov_b32_e32 v25, 0
.LBB530_111:
	s_or_b64 exec, exec, s[0:1]
	v_cmp_gt_i32_e64 s[0:1], 10, v25
	s_mov_b64 s[14:15], -1
	s_and_saveexec_b64 s[6:7], s[0:1]
; %bb.112:
	v_cmp_eq_u32_e64 s[0:1], 0, v25
	s_orn2_b64 s[14:15], s[0:1], exec
; %bb.113:
	s_or_b64 exec, exec, s[6:7]
	s_and_saveexec_b64 s[6:7], s[14:15]
	s_cbranch_execz .LBB530_126
; %bb.114:
	s_add_i32 s14, s2, 8
	s_cmp_le_u32 s3, s14
	s_cselect_b64 s[0:1], -1, 0
	s_and_b64 s[16:17], s[0:1], exec
	s_cselect_b32 s15, 8, 10
	s_or_b64 s[0:1], s[0:1], vcc
	s_xor_b64 s[16:17], s[0:1], -1
	v_mov_b32_e32 v25, s15
	s_and_saveexec_b64 s[0:1], s[16:17]
	s_cbranch_execz .LBB530_116
; %bb.115:
	s_sub_i32 s15, s3, s14
	s_min_u32 s15, s15, 8
	v_lshrrev_b32_e32 v25, s14, v24
	v_bfe_u32 v25, v25, 0, s15
	v_lshlrev_b32_e32 v26, 2, v2
	v_lshl_or_b32 v25, v25, 4, v26
	v_mov_b32_e32 v26, 1
	ds_add_u32 v25, v26 offset:4096
	v_mov_b32_e32 v25, 0
.LBB530_116:
	s_or_b64 exec, exec, s[0:1]
	v_cmp_gt_i32_e64 s[0:1], 10, v25
	s_mov_b64 s[14:15], -1
	s_and_saveexec_b64 s[16:17], s[0:1]
; %bb.117:
	v_cmp_eq_u32_e64 s[0:1], 0, v25
	s_orn2_b64 s[14:15], s[0:1], exec
; %bb.118:
	s_or_b64 exec, exec, s[16:17]
	s_and_b64 exec, exec, s[14:15]
	s_cbranch_execz .LBB530_126
; %bb.119:
	s_add_i32 s14, s2, 16
	s_cmp_le_u32 s3, s14
	s_cselect_b64 s[0:1], -1, 0
	s_and_b64 s[16:17], s[0:1], exec
	s_cselect_b32 s15, 8, 10
	s_or_b64 s[0:1], s[0:1], vcc
	s_xor_b64 s[16:17], s[0:1], -1
	v_mov_b32_e32 v25, s15
	s_and_saveexec_b64 s[0:1], s[16:17]
	s_cbranch_execz .LBB530_121
; %bb.120:
	s_sub_i32 s15, s3, s14
	s_min_u32 s15, s15, 8
	v_lshrrev_b32_e32 v25, s14, v24
	v_bfe_u32 v25, v25, 0, s15
	v_lshlrev_b32_e32 v26, 2, v2
	v_lshl_or_b32 v25, v25, 4, v26
	v_mov_b32_e32 v26, 1
	ds_add_u32 v25, v26 offset:8192
	v_mov_b32_e32 v25, 0
.LBB530_121:
	s_or_b64 exec, exec, s[0:1]
	v_cmp_gt_i32_e64 s[0:1], 10, v25
	s_mov_b64 s[14:15], -1
	s_and_saveexec_b64 s[16:17], s[0:1]
; %bb.122:
	v_cmp_eq_u32_e64 s[0:1], 0, v25
	s_orn2_b64 s[14:15], s[0:1], exec
; %bb.123:
	s_or_b64 exec, exec, s[16:17]
	s_and_b64 exec, exec, s[14:15]
	s_cbranch_execz .LBB530_126
; %bb.124:
	s_add_i32 s0, s2, 24
	s_cmp_gt_u32 s3, s0
	s_cselect_b64 s[14:15], -1, 0
	s_xor_b64 s[16:17], vcc, -1
	s_and_b64 s[14:15], s[14:15], s[16:17]
	s_and_b64 exec, exec, s[14:15]
	s_cbranch_execz .LBB530_126
; %bb.125:
	s_sub_i32 s1, s3, s0
	s_min_u32 s1, s1, 8
	v_lshrrev_b32_e32 v24, s0, v24
	v_bfe_u32 v24, v24, 0, s1
	v_lshlrev_b32_e32 v25, 2, v2
	v_lshl_or_b32 v24, v24, 4, v25
	v_mov_b32_e32 v25, 1
	ds_add_u32 v24, v25 offset:12288
.LBB530_126:
	s_or_b64 exec, exec, s[6:7]
	v_cmp_le_u32_e32 vcc, s13, v23
	s_or_b64 s[0:1], s[4:5], vcc
	s_xor_b64 s[6:7], s[0:1], -1
	v_mov_b32_e32 v23, s18
	s_and_saveexec_b64 s[0:1], s[6:7]
	s_cbranch_execz .LBB530_128
; %bb.127:
	s_sub_i32 s6, s3, s2
	s_min_u32 s6, s6, 8
	v_lshrrev_b32_e32 v23, s2, v22
	v_bfe_u32 v23, v23, 0, s6
	v_lshlrev_b32_e32 v24, 2, v2
	v_lshl_or_b32 v23, v23, 4, v24
	v_mov_b32_e32 v24, 1
	ds_add_u32 v23, v24
	v_mov_b32_e32 v23, 0
.LBB530_128:
	s_or_b64 exec, exec, s[0:1]
	v_cmp_gt_i32_e64 s[0:1], 10, v23
	s_mov_b64 s[14:15], -1
	s_and_saveexec_b64 s[6:7], s[0:1]
; %bb.129:
	v_cmp_eq_u32_e64 s[0:1], 0, v23
	s_orn2_b64 s[14:15], s[0:1], exec
; %bb.130:
	s_or_b64 exec, exec, s[6:7]
	s_and_saveexec_b64 s[6:7], s[14:15]
	s_cbranch_execz .LBB530_143
; %bb.131:
	s_add_i32 s14, s2, 8
	s_cmp_le_u32 s3, s14
	s_cselect_b64 s[0:1], -1, 0
	s_and_b64 s[16:17], s[0:1], exec
	s_cselect_b32 s15, 8, 10
	s_or_b64 s[0:1], s[0:1], vcc
	s_xor_b64 s[16:17], s[0:1], -1
	v_mov_b32_e32 v23, s15
	s_and_saveexec_b64 s[0:1], s[16:17]
	s_cbranch_execz .LBB530_133
; %bb.132:
	s_sub_i32 s15, s3, s14
	s_min_u32 s15, s15, 8
	v_lshrrev_b32_e32 v23, s14, v22
	v_bfe_u32 v23, v23, 0, s15
	v_lshlrev_b32_e32 v24, 2, v2
	v_lshl_or_b32 v23, v23, 4, v24
	v_mov_b32_e32 v24, 1
	ds_add_u32 v23, v24 offset:4096
	v_mov_b32_e32 v23, 0
.LBB530_133:
	s_or_b64 exec, exec, s[0:1]
	v_cmp_gt_i32_e64 s[0:1], 10, v23
	s_mov_b64 s[14:15], -1
	s_and_saveexec_b64 s[16:17], s[0:1]
; %bb.134:
	v_cmp_eq_u32_e64 s[0:1], 0, v23
	s_orn2_b64 s[14:15], s[0:1], exec
; %bb.135:
	s_or_b64 exec, exec, s[16:17]
	s_and_b64 exec, exec, s[14:15]
	s_cbranch_execz .LBB530_143
; %bb.136:
	s_add_i32 s14, s2, 16
	s_cmp_le_u32 s3, s14
	s_cselect_b64 s[0:1], -1, 0
	s_and_b64 s[16:17], s[0:1], exec
	s_cselect_b32 s15, 8, 10
	s_or_b64 s[0:1], s[0:1], vcc
	s_xor_b64 s[16:17], s[0:1], -1
	v_mov_b32_e32 v23, s15
	s_and_saveexec_b64 s[0:1], s[16:17]
	s_cbranch_execz .LBB530_138
; %bb.137:
	s_sub_i32 s15, s3, s14
	s_min_u32 s15, s15, 8
	v_lshrrev_b32_e32 v23, s14, v22
	v_bfe_u32 v23, v23, 0, s15
	v_lshlrev_b32_e32 v24, 2, v2
	v_lshl_or_b32 v23, v23, 4, v24
	v_mov_b32_e32 v24, 1
	ds_add_u32 v23, v24 offset:8192
	v_mov_b32_e32 v23, 0
.LBB530_138:
	s_or_b64 exec, exec, s[0:1]
	v_cmp_gt_i32_e64 s[0:1], 10, v23
	s_mov_b64 s[14:15], -1
	s_and_saveexec_b64 s[16:17], s[0:1]
; %bb.139:
	v_cmp_eq_u32_e64 s[0:1], 0, v23
	s_orn2_b64 s[14:15], s[0:1], exec
; %bb.140:
	s_or_b64 exec, exec, s[16:17]
	s_and_b64 exec, exec, s[14:15]
	s_cbranch_execz .LBB530_143
; %bb.141:
	s_add_i32 s0, s2, 24
	s_cmp_gt_u32 s3, s0
	s_cselect_b64 s[14:15], -1, 0
	s_xor_b64 s[16:17], vcc, -1
	s_and_b64 s[14:15], s[14:15], s[16:17]
	s_and_b64 exec, exec, s[14:15]
	s_cbranch_execz .LBB530_143
; %bb.142:
	s_sub_i32 s1, s3, s0
	s_min_u32 s1, s1, 8
	v_lshrrev_b32_e32 v22, s0, v22
	v_bfe_u32 v22, v22, 0, s1
	v_lshlrev_b32_e32 v23, 2, v2
	v_lshl_or_b32 v22, v22, 4, v23
	v_mov_b32_e32 v23, 1
	ds_add_u32 v22, v23 offset:12288
.LBB530_143:
	s_or_b64 exec, exec, s[6:7]
	v_cmp_le_u32_e32 vcc, s13, v21
	s_or_b64 s[0:1], s[4:5], vcc
	s_xor_b64 s[6:7], s[0:1], -1
	v_mov_b32_e32 v21, s18
	s_and_saveexec_b64 s[0:1], s[6:7]
	s_cbranch_execz .LBB530_145
; %bb.144:
	s_sub_i32 s6, s3, s2
	s_min_u32 s6, s6, 8
	v_lshrrev_b32_e32 v21, s2, v20
	v_bfe_u32 v21, v21, 0, s6
	v_lshlrev_b32_e32 v22, 2, v2
	v_lshl_or_b32 v21, v21, 4, v22
	v_mov_b32_e32 v22, 1
	ds_add_u32 v21, v22
	v_mov_b32_e32 v21, 0
.LBB530_145:
	s_or_b64 exec, exec, s[0:1]
	v_cmp_gt_i32_e64 s[0:1], 10, v21
	s_mov_b64 s[14:15], -1
	s_and_saveexec_b64 s[6:7], s[0:1]
; %bb.146:
	v_cmp_eq_u32_e64 s[0:1], 0, v21
	s_orn2_b64 s[14:15], s[0:1], exec
; %bb.147:
	s_or_b64 exec, exec, s[6:7]
	s_and_saveexec_b64 s[6:7], s[14:15]
	s_cbranch_execz .LBB530_160
; %bb.148:
	s_add_i32 s14, s2, 8
	s_cmp_le_u32 s3, s14
	s_cselect_b64 s[0:1], -1, 0
	s_and_b64 s[16:17], s[0:1], exec
	s_cselect_b32 s15, 8, 10
	s_or_b64 s[0:1], s[0:1], vcc
	s_xor_b64 s[16:17], s[0:1], -1
	v_mov_b32_e32 v21, s15
	s_and_saveexec_b64 s[0:1], s[16:17]
	s_cbranch_execz .LBB530_150
; %bb.149:
	s_sub_i32 s15, s3, s14
	s_min_u32 s15, s15, 8
	v_lshrrev_b32_e32 v21, s14, v20
	v_bfe_u32 v21, v21, 0, s15
	v_lshlrev_b32_e32 v22, 2, v2
	v_lshl_or_b32 v21, v21, 4, v22
	v_mov_b32_e32 v22, 1
	ds_add_u32 v21, v22 offset:4096
	v_mov_b32_e32 v21, 0
.LBB530_150:
	s_or_b64 exec, exec, s[0:1]
	v_cmp_gt_i32_e64 s[0:1], 10, v21
	s_mov_b64 s[14:15], -1
	s_and_saveexec_b64 s[16:17], s[0:1]
; %bb.151:
	v_cmp_eq_u32_e64 s[0:1], 0, v21
	s_orn2_b64 s[14:15], s[0:1], exec
; %bb.152:
	s_or_b64 exec, exec, s[16:17]
	s_and_b64 exec, exec, s[14:15]
	s_cbranch_execz .LBB530_160
; %bb.153:
	s_add_i32 s14, s2, 16
	s_cmp_le_u32 s3, s14
	s_cselect_b64 s[0:1], -1, 0
	s_and_b64 s[16:17], s[0:1], exec
	s_cselect_b32 s15, 8, 10
	s_or_b64 s[0:1], s[0:1], vcc
	s_xor_b64 s[16:17], s[0:1], -1
	v_mov_b32_e32 v21, s15
	s_and_saveexec_b64 s[0:1], s[16:17]
	s_cbranch_execz .LBB530_155
; %bb.154:
	s_sub_i32 s15, s3, s14
	s_min_u32 s15, s15, 8
	v_lshrrev_b32_e32 v21, s14, v20
	v_bfe_u32 v21, v21, 0, s15
	v_lshlrev_b32_e32 v22, 2, v2
	v_lshl_or_b32 v21, v21, 4, v22
	v_mov_b32_e32 v22, 1
	ds_add_u32 v21, v22 offset:8192
	v_mov_b32_e32 v21, 0
.LBB530_155:
	s_or_b64 exec, exec, s[0:1]
	v_cmp_gt_i32_e64 s[0:1], 10, v21
	s_mov_b64 s[14:15], -1
	s_and_saveexec_b64 s[16:17], s[0:1]
; %bb.156:
	v_cmp_eq_u32_e64 s[0:1], 0, v21
	s_orn2_b64 s[14:15], s[0:1], exec
; %bb.157:
	s_or_b64 exec, exec, s[16:17]
	s_and_b64 exec, exec, s[14:15]
	s_cbranch_execz .LBB530_160
; %bb.158:
	s_add_i32 s0, s2, 24
	s_cmp_gt_u32 s3, s0
	s_cselect_b64 s[14:15], -1, 0
	s_xor_b64 s[16:17], vcc, -1
	s_and_b64 s[14:15], s[14:15], s[16:17]
	s_and_b64 exec, exec, s[14:15]
	s_cbranch_execz .LBB530_160
; %bb.159:
	s_sub_i32 s1, s3, s0
	s_min_u32 s1, s1, 8
	v_lshrrev_b32_e32 v20, s0, v20
	v_bfe_u32 v20, v20, 0, s1
	v_lshlrev_b32_e32 v21, 2, v2
	v_lshl_or_b32 v20, v20, 4, v21
	v_mov_b32_e32 v21, 1
	ds_add_u32 v20, v21 offset:12288
.LBB530_160:
	s_or_b64 exec, exec, s[6:7]
	v_cmp_le_u32_e32 vcc, s13, v19
	s_or_b64 s[0:1], s[4:5], vcc
	s_xor_b64 s[6:7], s[0:1], -1
	v_mov_b32_e32 v19, s18
	s_and_saveexec_b64 s[0:1], s[6:7]
	s_cbranch_execz .LBB530_162
; %bb.161:
	s_sub_i32 s6, s3, s2
	s_min_u32 s6, s6, 8
	v_lshrrev_b32_e32 v19, s2, v18
	v_bfe_u32 v19, v19, 0, s6
	v_lshlrev_b32_e32 v20, 2, v2
	v_lshl_or_b32 v19, v19, 4, v20
	v_mov_b32_e32 v20, 1
	ds_add_u32 v19, v20
	v_mov_b32_e32 v19, 0
.LBB530_162:
	s_or_b64 exec, exec, s[0:1]
	v_cmp_gt_i32_e64 s[0:1], 10, v19
	s_mov_b64 s[14:15], -1
	s_and_saveexec_b64 s[6:7], s[0:1]
; %bb.163:
	v_cmp_eq_u32_e64 s[0:1], 0, v19
	s_orn2_b64 s[14:15], s[0:1], exec
; %bb.164:
	s_or_b64 exec, exec, s[6:7]
	s_and_saveexec_b64 s[6:7], s[14:15]
	s_cbranch_execz .LBB530_177
; %bb.165:
	s_add_i32 s14, s2, 8
	s_cmp_le_u32 s3, s14
	s_cselect_b64 s[0:1], -1, 0
	s_and_b64 s[16:17], s[0:1], exec
	s_cselect_b32 s15, 8, 10
	s_or_b64 s[0:1], s[0:1], vcc
	s_xor_b64 s[16:17], s[0:1], -1
	v_mov_b32_e32 v19, s15
	s_and_saveexec_b64 s[0:1], s[16:17]
	s_cbranch_execz .LBB530_167
; %bb.166:
	s_sub_i32 s15, s3, s14
	s_min_u32 s15, s15, 8
	v_lshrrev_b32_e32 v19, s14, v18
	v_bfe_u32 v19, v19, 0, s15
	v_lshlrev_b32_e32 v20, 2, v2
	v_lshl_or_b32 v19, v19, 4, v20
	v_mov_b32_e32 v20, 1
	ds_add_u32 v19, v20 offset:4096
	v_mov_b32_e32 v19, 0
.LBB530_167:
	s_or_b64 exec, exec, s[0:1]
	v_cmp_gt_i32_e64 s[0:1], 10, v19
	s_mov_b64 s[14:15], -1
	s_and_saveexec_b64 s[16:17], s[0:1]
; %bb.168:
	v_cmp_eq_u32_e64 s[0:1], 0, v19
	s_orn2_b64 s[14:15], s[0:1], exec
; %bb.169:
	s_or_b64 exec, exec, s[16:17]
	s_and_b64 exec, exec, s[14:15]
	s_cbranch_execz .LBB530_177
; %bb.170:
	s_add_i32 s14, s2, 16
	s_cmp_le_u32 s3, s14
	s_cselect_b64 s[0:1], -1, 0
	s_and_b64 s[16:17], s[0:1], exec
	s_cselect_b32 s15, 8, 10
	s_or_b64 s[0:1], s[0:1], vcc
	s_xor_b64 s[16:17], s[0:1], -1
	v_mov_b32_e32 v19, s15
	s_and_saveexec_b64 s[0:1], s[16:17]
	s_cbranch_execz .LBB530_172
; %bb.171:
	s_sub_i32 s15, s3, s14
	s_min_u32 s15, s15, 8
	v_lshrrev_b32_e32 v19, s14, v18
	v_bfe_u32 v19, v19, 0, s15
	v_lshlrev_b32_e32 v20, 2, v2
	v_lshl_or_b32 v19, v19, 4, v20
	v_mov_b32_e32 v20, 1
	ds_add_u32 v19, v20 offset:8192
	v_mov_b32_e32 v19, 0
.LBB530_172:
	s_or_b64 exec, exec, s[0:1]
	v_cmp_gt_i32_e64 s[0:1], 10, v19
	s_mov_b64 s[14:15], -1
	s_and_saveexec_b64 s[16:17], s[0:1]
; %bb.173:
	v_cmp_eq_u32_e64 s[0:1], 0, v19
	s_orn2_b64 s[14:15], s[0:1], exec
; %bb.174:
	s_or_b64 exec, exec, s[16:17]
	s_and_b64 exec, exec, s[14:15]
	s_cbranch_execz .LBB530_177
; %bb.175:
	s_add_i32 s0, s2, 24
	s_cmp_gt_u32 s3, s0
	s_cselect_b64 s[14:15], -1, 0
	s_xor_b64 s[16:17], vcc, -1
	s_and_b64 s[14:15], s[14:15], s[16:17]
	s_and_b64 exec, exec, s[14:15]
	s_cbranch_execz .LBB530_177
; %bb.176:
	s_sub_i32 s1, s3, s0
	s_min_u32 s1, s1, 8
	v_lshrrev_b32_e32 v18, s0, v18
	v_bfe_u32 v18, v18, 0, s1
	v_lshlrev_b32_e32 v19, 2, v2
	v_lshl_or_b32 v18, v18, 4, v19
	v_mov_b32_e32 v19, 1
	ds_add_u32 v18, v19 offset:12288
.LBB530_177:
	s_or_b64 exec, exec, s[6:7]
	v_cmp_le_u32_e32 vcc, s13, v17
	s_or_b64 s[0:1], s[4:5], vcc
	s_xor_b64 s[6:7], s[0:1], -1
	v_mov_b32_e32 v17, s18
	s_and_saveexec_b64 s[0:1], s[6:7]
	s_cbranch_execz .LBB530_179
; %bb.178:
	s_sub_i32 s6, s3, s2
	s_min_u32 s6, s6, 8
	v_lshrrev_b32_e32 v17, s2, v16
	v_bfe_u32 v17, v17, 0, s6
	v_lshlrev_b32_e32 v18, 2, v2
	v_lshl_or_b32 v17, v17, 4, v18
	v_mov_b32_e32 v18, 1
	ds_add_u32 v17, v18
	v_mov_b32_e32 v17, 0
.LBB530_179:
	s_or_b64 exec, exec, s[0:1]
	v_cmp_gt_i32_e64 s[0:1], 10, v17
	s_mov_b64 s[14:15], -1
	s_and_saveexec_b64 s[6:7], s[0:1]
; %bb.180:
	v_cmp_eq_u32_e64 s[0:1], 0, v17
	s_orn2_b64 s[14:15], s[0:1], exec
; %bb.181:
	s_or_b64 exec, exec, s[6:7]
	s_and_saveexec_b64 s[6:7], s[14:15]
	s_cbranch_execz .LBB530_194
; %bb.182:
	s_add_i32 s14, s2, 8
	s_cmp_le_u32 s3, s14
	s_cselect_b64 s[0:1], -1, 0
	s_and_b64 s[16:17], s[0:1], exec
	s_cselect_b32 s15, 8, 10
	s_or_b64 s[0:1], s[0:1], vcc
	s_xor_b64 s[16:17], s[0:1], -1
	v_mov_b32_e32 v17, s15
	s_and_saveexec_b64 s[0:1], s[16:17]
	s_cbranch_execz .LBB530_184
; %bb.183:
	s_sub_i32 s15, s3, s14
	s_min_u32 s15, s15, 8
	v_lshrrev_b32_e32 v17, s14, v16
	v_bfe_u32 v17, v17, 0, s15
	v_lshlrev_b32_e32 v18, 2, v2
	v_lshl_or_b32 v17, v17, 4, v18
	v_mov_b32_e32 v18, 1
	ds_add_u32 v17, v18 offset:4096
	v_mov_b32_e32 v17, 0
.LBB530_184:
	s_or_b64 exec, exec, s[0:1]
	v_cmp_gt_i32_e64 s[0:1], 10, v17
	s_mov_b64 s[14:15], -1
	s_and_saveexec_b64 s[16:17], s[0:1]
; %bb.185:
	v_cmp_eq_u32_e64 s[0:1], 0, v17
	s_orn2_b64 s[14:15], s[0:1], exec
; %bb.186:
	s_or_b64 exec, exec, s[16:17]
	s_and_b64 exec, exec, s[14:15]
	s_cbranch_execz .LBB530_194
; %bb.187:
	s_add_i32 s14, s2, 16
	s_cmp_le_u32 s3, s14
	s_cselect_b64 s[0:1], -1, 0
	s_and_b64 s[16:17], s[0:1], exec
	s_cselect_b32 s15, 8, 10
	s_or_b64 s[0:1], s[0:1], vcc
	s_xor_b64 s[16:17], s[0:1], -1
	v_mov_b32_e32 v17, s15
	s_and_saveexec_b64 s[0:1], s[16:17]
	s_cbranch_execz .LBB530_189
; %bb.188:
	s_sub_i32 s15, s3, s14
	s_min_u32 s15, s15, 8
	v_lshrrev_b32_e32 v17, s14, v16
	v_bfe_u32 v17, v17, 0, s15
	v_lshlrev_b32_e32 v18, 2, v2
	v_lshl_or_b32 v17, v17, 4, v18
	v_mov_b32_e32 v18, 1
	ds_add_u32 v17, v18 offset:8192
	v_mov_b32_e32 v17, 0
.LBB530_189:
	s_or_b64 exec, exec, s[0:1]
	v_cmp_gt_i32_e64 s[0:1], 10, v17
	s_mov_b64 s[14:15], -1
	s_and_saveexec_b64 s[16:17], s[0:1]
; %bb.190:
	v_cmp_eq_u32_e64 s[0:1], 0, v17
	s_orn2_b64 s[14:15], s[0:1], exec
; %bb.191:
	s_or_b64 exec, exec, s[16:17]
	s_and_b64 exec, exec, s[14:15]
	s_cbranch_execz .LBB530_194
; %bb.192:
	s_add_i32 s0, s2, 24
	s_cmp_gt_u32 s3, s0
	s_cselect_b64 s[14:15], -1, 0
	s_xor_b64 s[16:17], vcc, -1
	s_and_b64 s[14:15], s[14:15], s[16:17]
	s_and_b64 exec, exec, s[14:15]
	s_cbranch_execz .LBB530_194
; %bb.193:
	s_sub_i32 s1, s3, s0
	s_min_u32 s1, s1, 8
	v_lshrrev_b32_e32 v16, s0, v16
	v_bfe_u32 v16, v16, 0, s1
	v_lshlrev_b32_e32 v17, 2, v2
	v_lshl_or_b32 v16, v16, 4, v17
	v_mov_b32_e32 v17, 1
	ds_add_u32 v16, v17 offset:12288
.LBB530_194:
	s_or_b64 exec, exec, s[6:7]
	v_cmp_le_u32_e32 vcc, s13, v15
	s_or_b64 s[0:1], s[4:5], vcc
	s_xor_b64 s[6:7], s[0:1], -1
	v_mov_b32_e32 v15, s18
	s_and_saveexec_b64 s[0:1], s[6:7]
	s_cbranch_execz .LBB530_196
; %bb.195:
	s_sub_i32 s6, s3, s2
	s_min_u32 s6, s6, 8
	v_lshrrev_b32_e32 v15, s2, v14
	v_bfe_u32 v15, v15, 0, s6
	v_lshlrev_b32_e32 v16, 2, v2
	v_lshl_or_b32 v15, v15, 4, v16
	v_mov_b32_e32 v16, 1
	ds_add_u32 v15, v16
	v_mov_b32_e32 v15, 0
.LBB530_196:
	s_or_b64 exec, exec, s[0:1]
	v_cmp_gt_i32_e64 s[0:1], 10, v15
	s_mov_b64 s[14:15], -1
	s_and_saveexec_b64 s[6:7], s[0:1]
; %bb.197:
	v_cmp_eq_u32_e64 s[0:1], 0, v15
	s_orn2_b64 s[14:15], s[0:1], exec
; %bb.198:
	s_or_b64 exec, exec, s[6:7]
	s_and_saveexec_b64 s[6:7], s[14:15]
	s_cbranch_execz .LBB530_211
; %bb.199:
	s_add_i32 s14, s2, 8
	s_cmp_le_u32 s3, s14
	s_cselect_b64 s[0:1], -1, 0
	s_and_b64 s[16:17], s[0:1], exec
	s_cselect_b32 s15, 8, 10
	s_or_b64 s[0:1], s[0:1], vcc
	s_xor_b64 s[16:17], s[0:1], -1
	v_mov_b32_e32 v15, s15
	s_and_saveexec_b64 s[0:1], s[16:17]
	s_cbranch_execz .LBB530_201
; %bb.200:
	s_sub_i32 s15, s3, s14
	s_min_u32 s15, s15, 8
	v_lshrrev_b32_e32 v15, s14, v14
	v_bfe_u32 v15, v15, 0, s15
	v_lshlrev_b32_e32 v16, 2, v2
	v_lshl_or_b32 v15, v15, 4, v16
	v_mov_b32_e32 v16, 1
	ds_add_u32 v15, v16 offset:4096
	v_mov_b32_e32 v15, 0
.LBB530_201:
	s_or_b64 exec, exec, s[0:1]
	v_cmp_gt_i32_e64 s[0:1], 10, v15
	s_mov_b64 s[14:15], -1
	s_and_saveexec_b64 s[16:17], s[0:1]
; %bb.202:
	v_cmp_eq_u32_e64 s[0:1], 0, v15
	s_orn2_b64 s[14:15], s[0:1], exec
; %bb.203:
	s_or_b64 exec, exec, s[16:17]
	s_and_b64 exec, exec, s[14:15]
	s_cbranch_execz .LBB530_211
; %bb.204:
	s_add_i32 s14, s2, 16
	s_cmp_le_u32 s3, s14
	s_cselect_b64 s[0:1], -1, 0
	s_and_b64 s[16:17], s[0:1], exec
	s_cselect_b32 s15, 8, 10
	s_or_b64 s[0:1], s[0:1], vcc
	s_xor_b64 s[16:17], s[0:1], -1
	v_mov_b32_e32 v15, s15
	s_and_saveexec_b64 s[0:1], s[16:17]
	s_cbranch_execz .LBB530_206
; %bb.205:
	s_sub_i32 s15, s3, s14
	s_min_u32 s15, s15, 8
	v_lshrrev_b32_e32 v15, s14, v14
	v_bfe_u32 v15, v15, 0, s15
	v_lshlrev_b32_e32 v16, 2, v2
	v_lshl_or_b32 v15, v15, 4, v16
	v_mov_b32_e32 v16, 1
	ds_add_u32 v15, v16 offset:8192
	v_mov_b32_e32 v15, 0
.LBB530_206:
	s_or_b64 exec, exec, s[0:1]
	v_cmp_gt_i32_e64 s[0:1], 10, v15
	s_mov_b64 s[14:15], -1
	s_and_saveexec_b64 s[16:17], s[0:1]
; %bb.207:
	v_cmp_eq_u32_e64 s[0:1], 0, v15
	s_orn2_b64 s[14:15], s[0:1], exec
; %bb.208:
	s_or_b64 exec, exec, s[16:17]
	s_and_b64 exec, exec, s[14:15]
	s_cbranch_execz .LBB530_211
; %bb.209:
	s_add_i32 s0, s2, 24
	s_cmp_gt_u32 s3, s0
	s_cselect_b64 s[14:15], -1, 0
	s_xor_b64 s[16:17], vcc, -1
	s_and_b64 s[14:15], s[14:15], s[16:17]
	s_and_b64 exec, exec, s[14:15]
	s_cbranch_execz .LBB530_211
; %bb.210:
	s_sub_i32 s1, s3, s0
	s_min_u32 s1, s1, 8
	v_lshrrev_b32_e32 v14, s0, v14
	v_bfe_u32 v14, v14, 0, s1
	v_lshlrev_b32_e32 v15, 2, v2
	v_lshl_or_b32 v14, v14, 4, v15
	v_mov_b32_e32 v15, 1
	ds_add_u32 v14, v15 offset:12288
.LBB530_211:
	s_or_b64 exec, exec, s[6:7]
	v_cmp_le_u32_e32 vcc, s13, v13
	s_or_b64 s[0:1], s[4:5], vcc
	s_xor_b64 s[6:7], s[0:1], -1
	v_mov_b32_e32 v13, s18
	s_and_saveexec_b64 s[0:1], s[6:7]
	s_cbranch_execz .LBB530_213
; %bb.212:
	s_sub_i32 s6, s3, s2
	s_min_u32 s6, s6, 8
	v_lshrrev_b32_e32 v13, s2, v12
	v_bfe_u32 v13, v13, 0, s6
	v_lshlrev_b32_e32 v14, 2, v2
	v_lshl_or_b32 v13, v13, 4, v14
	v_mov_b32_e32 v14, 1
	ds_add_u32 v13, v14
	v_mov_b32_e32 v13, 0
.LBB530_213:
	s_or_b64 exec, exec, s[0:1]
	v_cmp_gt_i32_e64 s[0:1], 10, v13
	s_mov_b64 s[14:15], -1
	s_and_saveexec_b64 s[6:7], s[0:1]
; %bb.214:
	v_cmp_eq_u32_e64 s[0:1], 0, v13
	s_orn2_b64 s[14:15], s[0:1], exec
; %bb.215:
	s_or_b64 exec, exec, s[6:7]
	s_and_saveexec_b64 s[6:7], s[14:15]
	s_cbranch_execz .LBB530_228
; %bb.216:
	s_add_i32 s14, s2, 8
	s_cmp_le_u32 s3, s14
	s_cselect_b64 s[0:1], -1, 0
	s_and_b64 s[16:17], s[0:1], exec
	s_cselect_b32 s15, 8, 10
	s_or_b64 s[0:1], s[0:1], vcc
	s_xor_b64 s[16:17], s[0:1], -1
	v_mov_b32_e32 v13, s15
	s_and_saveexec_b64 s[0:1], s[16:17]
	s_cbranch_execz .LBB530_218
; %bb.217:
	s_sub_i32 s15, s3, s14
	s_min_u32 s15, s15, 8
	v_lshrrev_b32_e32 v13, s14, v12
	v_bfe_u32 v13, v13, 0, s15
	v_lshlrev_b32_e32 v14, 2, v2
	v_lshl_or_b32 v13, v13, 4, v14
	v_mov_b32_e32 v14, 1
	ds_add_u32 v13, v14 offset:4096
	v_mov_b32_e32 v13, 0
.LBB530_218:
	s_or_b64 exec, exec, s[0:1]
	v_cmp_gt_i32_e64 s[0:1], 10, v13
	s_mov_b64 s[14:15], -1
	s_and_saveexec_b64 s[16:17], s[0:1]
; %bb.219:
	v_cmp_eq_u32_e64 s[0:1], 0, v13
	s_orn2_b64 s[14:15], s[0:1], exec
; %bb.220:
	s_or_b64 exec, exec, s[16:17]
	s_and_b64 exec, exec, s[14:15]
	s_cbranch_execz .LBB530_228
; %bb.221:
	s_add_i32 s14, s2, 16
	s_cmp_le_u32 s3, s14
	s_cselect_b64 s[0:1], -1, 0
	s_and_b64 s[16:17], s[0:1], exec
	s_cselect_b32 s15, 8, 10
	s_or_b64 s[0:1], s[0:1], vcc
	s_xor_b64 s[16:17], s[0:1], -1
	v_mov_b32_e32 v13, s15
	s_and_saveexec_b64 s[0:1], s[16:17]
	s_cbranch_execz .LBB530_223
; %bb.222:
	s_sub_i32 s15, s3, s14
	s_min_u32 s15, s15, 8
	v_lshrrev_b32_e32 v13, s14, v12
	v_bfe_u32 v13, v13, 0, s15
	v_lshlrev_b32_e32 v14, 2, v2
	v_lshl_or_b32 v13, v13, 4, v14
	v_mov_b32_e32 v14, 1
	ds_add_u32 v13, v14 offset:8192
	v_mov_b32_e32 v13, 0
.LBB530_223:
	s_or_b64 exec, exec, s[0:1]
	v_cmp_gt_i32_e64 s[0:1], 10, v13
	s_mov_b64 s[14:15], -1
	s_and_saveexec_b64 s[16:17], s[0:1]
; %bb.224:
	v_cmp_eq_u32_e64 s[0:1], 0, v13
	s_orn2_b64 s[14:15], s[0:1], exec
; %bb.225:
	s_or_b64 exec, exec, s[16:17]
	s_and_b64 exec, exec, s[14:15]
	s_cbranch_execz .LBB530_228
; %bb.226:
	s_add_i32 s0, s2, 24
	s_cmp_gt_u32 s3, s0
	s_cselect_b64 s[14:15], -1, 0
	s_xor_b64 s[16:17], vcc, -1
	s_and_b64 s[14:15], s[14:15], s[16:17]
	s_and_b64 exec, exec, s[14:15]
	s_cbranch_execz .LBB530_228
; %bb.227:
	s_sub_i32 s1, s3, s0
	s_min_u32 s1, s1, 8
	v_lshrrev_b32_e32 v12, s0, v12
	v_bfe_u32 v12, v12, 0, s1
	v_lshlrev_b32_e32 v13, 2, v2
	v_lshl_or_b32 v12, v12, 4, v13
	v_mov_b32_e32 v13, 1
	ds_add_u32 v12, v13 offset:12288
.LBB530_228:
	s_or_b64 exec, exec, s[6:7]
	v_cmp_le_u32_e32 vcc, s13, v11
	s_or_b64 s[0:1], s[4:5], vcc
	s_xor_b64 s[6:7], s[0:1], -1
	v_mov_b32_e32 v11, s18
	s_and_saveexec_b64 s[0:1], s[6:7]
	s_cbranch_execz .LBB530_230
; %bb.229:
	s_sub_i32 s6, s3, s2
	s_min_u32 s6, s6, 8
	v_lshrrev_b32_e32 v11, s2, v10
	v_bfe_u32 v11, v11, 0, s6
	v_lshlrev_b32_e32 v12, 2, v2
	v_lshl_or_b32 v11, v11, 4, v12
	v_mov_b32_e32 v12, 1
	ds_add_u32 v11, v12
	v_mov_b32_e32 v11, 0
.LBB530_230:
	s_or_b64 exec, exec, s[0:1]
	v_cmp_gt_i32_e64 s[0:1], 10, v11
	s_mov_b64 s[14:15], -1
	s_and_saveexec_b64 s[6:7], s[0:1]
; %bb.231:
	v_cmp_eq_u32_e64 s[0:1], 0, v11
	s_orn2_b64 s[14:15], s[0:1], exec
; %bb.232:
	s_or_b64 exec, exec, s[6:7]
	s_and_saveexec_b64 s[6:7], s[14:15]
	s_cbranch_execz .LBB530_245
; %bb.233:
	s_add_i32 s14, s2, 8
	s_cmp_le_u32 s3, s14
	s_cselect_b64 s[0:1], -1, 0
	s_and_b64 s[16:17], s[0:1], exec
	s_cselect_b32 s15, 8, 10
	s_or_b64 s[0:1], s[0:1], vcc
	s_xor_b64 s[16:17], s[0:1], -1
	v_mov_b32_e32 v11, s15
	s_and_saveexec_b64 s[0:1], s[16:17]
	s_cbranch_execz .LBB530_235
; %bb.234:
	s_sub_i32 s15, s3, s14
	s_min_u32 s15, s15, 8
	v_lshrrev_b32_e32 v11, s14, v10
	v_bfe_u32 v11, v11, 0, s15
	v_lshlrev_b32_e32 v12, 2, v2
	v_lshl_or_b32 v11, v11, 4, v12
	v_mov_b32_e32 v12, 1
	ds_add_u32 v11, v12 offset:4096
	v_mov_b32_e32 v11, 0
.LBB530_235:
	s_or_b64 exec, exec, s[0:1]
	v_cmp_gt_i32_e64 s[0:1], 10, v11
	s_mov_b64 s[14:15], -1
	s_and_saveexec_b64 s[16:17], s[0:1]
; %bb.236:
	v_cmp_eq_u32_e64 s[0:1], 0, v11
	s_orn2_b64 s[14:15], s[0:1], exec
; %bb.237:
	s_or_b64 exec, exec, s[16:17]
	s_and_b64 exec, exec, s[14:15]
	s_cbranch_execz .LBB530_245
; %bb.238:
	s_add_i32 s14, s2, 16
	s_cmp_le_u32 s3, s14
	s_cselect_b64 s[0:1], -1, 0
	s_and_b64 s[16:17], s[0:1], exec
	s_cselect_b32 s15, 8, 10
	s_or_b64 s[0:1], s[0:1], vcc
	s_xor_b64 s[16:17], s[0:1], -1
	v_mov_b32_e32 v11, s15
	s_and_saveexec_b64 s[0:1], s[16:17]
	s_cbranch_execz .LBB530_240
; %bb.239:
	s_sub_i32 s15, s3, s14
	s_min_u32 s15, s15, 8
	v_lshrrev_b32_e32 v11, s14, v10
	v_bfe_u32 v11, v11, 0, s15
	v_lshlrev_b32_e32 v12, 2, v2
	v_lshl_or_b32 v11, v11, 4, v12
	v_mov_b32_e32 v12, 1
	ds_add_u32 v11, v12 offset:8192
	v_mov_b32_e32 v11, 0
.LBB530_240:
	s_or_b64 exec, exec, s[0:1]
	v_cmp_gt_i32_e64 s[0:1], 10, v11
	s_mov_b64 s[14:15], -1
	s_and_saveexec_b64 s[16:17], s[0:1]
; %bb.241:
	v_cmp_eq_u32_e64 s[0:1], 0, v11
	s_orn2_b64 s[14:15], s[0:1], exec
; %bb.242:
	s_or_b64 exec, exec, s[16:17]
	s_and_b64 exec, exec, s[14:15]
	s_cbranch_execz .LBB530_245
; %bb.243:
	s_add_i32 s0, s2, 24
	s_cmp_gt_u32 s3, s0
	s_cselect_b64 s[14:15], -1, 0
	s_xor_b64 s[16:17], vcc, -1
	s_and_b64 s[14:15], s[14:15], s[16:17]
	s_and_b64 exec, exec, s[14:15]
	s_cbranch_execz .LBB530_245
; %bb.244:
	s_sub_i32 s1, s3, s0
	s_min_u32 s1, s1, 8
	v_lshrrev_b32_e32 v10, s0, v10
	v_bfe_u32 v10, v10, 0, s1
	v_lshlrev_b32_e32 v11, 2, v2
	v_lshl_or_b32 v10, v10, 4, v11
	v_mov_b32_e32 v11, 1
	ds_add_u32 v10, v11 offset:12288
.LBB530_245:
	s_or_b64 exec, exec, s[6:7]
	v_cmp_le_u32_e32 vcc, s13, v9
	s_or_b64 s[0:1], s[4:5], vcc
	s_xor_b64 s[6:7], s[0:1], -1
	v_mov_b32_e32 v9, s18
	s_and_saveexec_b64 s[0:1], s[6:7]
	s_cbranch_execz .LBB530_247
; %bb.246:
	s_sub_i32 s6, s3, s2
	s_min_u32 s6, s6, 8
	v_lshrrev_b32_e32 v9, s2, v8
	v_bfe_u32 v9, v9, 0, s6
	v_lshlrev_b32_e32 v10, 2, v2
	v_lshl_or_b32 v9, v9, 4, v10
	v_mov_b32_e32 v10, 1
	ds_add_u32 v9, v10
	v_mov_b32_e32 v9, 0
.LBB530_247:
	s_or_b64 exec, exec, s[0:1]
	v_cmp_gt_i32_e64 s[0:1], 10, v9
	s_mov_b64 s[14:15], -1
	s_and_saveexec_b64 s[6:7], s[0:1]
; %bb.248:
	v_cmp_eq_u32_e64 s[0:1], 0, v9
	s_orn2_b64 s[14:15], s[0:1], exec
; %bb.249:
	s_or_b64 exec, exec, s[6:7]
	s_and_saveexec_b64 s[6:7], s[14:15]
	s_cbranch_execz .LBB530_262
; %bb.250:
	s_add_i32 s14, s2, 8
	s_cmp_le_u32 s3, s14
	s_cselect_b64 s[0:1], -1, 0
	s_and_b64 s[16:17], s[0:1], exec
	s_cselect_b32 s15, 8, 10
	s_or_b64 s[0:1], s[0:1], vcc
	s_xor_b64 s[16:17], s[0:1], -1
	v_mov_b32_e32 v9, s15
	s_and_saveexec_b64 s[0:1], s[16:17]
	s_cbranch_execz .LBB530_252
; %bb.251:
	s_sub_i32 s15, s3, s14
	s_min_u32 s15, s15, 8
	v_lshrrev_b32_e32 v9, s14, v8
	v_bfe_u32 v9, v9, 0, s15
	v_lshlrev_b32_e32 v10, 2, v2
	v_lshl_or_b32 v9, v9, 4, v10
	v_mov_b32_e32 v10, 1
	ds_add_u32 v9, v10 offset:4096
	v_mov_b32_e32 v9, 0
.LBB530_252:
	s_or_b64 exec, exec, s[0:1]
	v_cmp_gt_i32_e64 s[0:1], 10, v9
	s_mov_b64 s[14:15], -1
	s_and_saveexec_b64 s[16:17], s[0:1]
; %bb.253:
	v_cmp_eq_u32_e64 s[0:1], 0, v9
	s_orn2_b64 s[14:15], s[0:1], exec
; %bb.254:
	s_or_b64 exec, exec, s[16:17]
	s_and_b64 exec, exec, s[14:15]
	s_cbranch_execz .LBB530_262
; %bb.255:
	s_add_i32 s14, s2, 16
	s_cmp_le_u32 s3, s14
	s_cselect_b64 s[0:1], -1, 0
	s_and_b64 s[16:17], s[0:1], exec
	s_cselect_b32 s15, 8, 10
	s_or_b64 s[0:1], s[0:1], vcc
	s_xor_b64 s[16:17], s[0:1], -1
	v_mov_b32_e32 v9, s15
	s_and_saveexec_b64 s[0:1], s[16:17]
	s_cbranch_execz .LBB530_257
; %bb.256:
	s_sub_i32 s15, s3, s14
	s_min_u32 s15, s15, 8
	v_lshrrev_b32_e32 v9, s14, v8
	v_bfe_u32 v9, v9, 0, s15
	v_lshlrev_b32_e32 v10, 2, v2
	v_lshl_or_b32 v9, v9, 4, v10
	v_mov_b32_e32 v10, 1
	ds_add_u32 v9, v10 offset:8192
	v_mov_b32_e32 v9, 0
.LBB530_257:
	s_or_b64 exec, exec, s[0:1]
	v_cmp_gt_i32_e64 s[0:1], 10, v9
	s_mov_b64 s[14:15], -1
	s_and_saveexec_b64 s[16:17], s[0:1]
; %bb.258:
	v_cmp_eq_u32_e64 s[0:1], 0, v9
	s_orn2_b64 s[14:15], s[0:1], exec
; %bb.259:
	s_or_b64 exec, exec, s[16:17]
	s_and_b64 exec, exec, s[14:15]
	s_cbranch_execz .LBB530_262
; %bb.260:
	s_add_i32 s0, s2, 24
	s_cmp_gt_u32 s3, s0
	s_cselect_b64 s[14:15], -1, 0
	s_xor_b64 s[16:17], vcc, -1
	s_and_b64 s[14:15], s[14:15], s[16:17]
	s_and_b64 exec, exec, s[14:15]
	s_cbranch_execz .LBB530_262
; %bb.261:
	s_sub_i32 s1, s3, s0
	s_min_u32 s1, s1, 8
	v_lshrrev_b32_e32 v8, s0, v8
	v_bfe_u32 v8, v8, 0, s1
	v_lshlrev_b32_e32 v9, 2, v2
	v_lshl_or_b32 v8, v8, 4, v9
	v_mov_b32_e32 v9, 1
	ds_add_u32 v8, v9 offset:12288
.LBB530_262:
	s_or_b64 exec, exec, s[6:7]
	v_cmp_le_u32_e32 vcc, s13, v7
	s_or_b64 s[0:1], s[4:5], vcc
	s_xor_b64 s[6:7], s[0:1], -1
	v_mov_b32_e32 v7, s18
	s_and_saveexec_b64 s[0:1], s[6:7]
	s_cbranch_execz .LBB530_264
; %bb.263:
	s_sub_i32 s6, s3, s2
	s_min_u32 s6, s6, 8
	v_lshrrev_b32_e32 v7, s2, v6
	v_bfe_u32 v7, v7, 0, s6
	v_lshlrev_b32_e32 v8, 2, v2
	v_lshl_or_b32 v7, v7, 4, v8
	v_mov_b32_e32 v8, 1
	ds_add_u32 v7, v8
	v_mov_b32_e32 v7, 0
.LBB530_264:
	s_or_b64 exec, exec, s[0:1]
	v_cmp_gt_i32_e64 s[0:1], 10, v7
	s_mov_b64 s[14:15], -1
	s_and_saveexec_b64 s[6:7], s[0:1]
; %bb.265:
	v_cmp_eq_u32_e64 s[0:1], 0, v7
	s_orn2_b64 s[14:15], s[0:1], exec
; %bb.266:
	s_or_b64 exec, exec, s[6:7]
	s_and_saveexec_b64 s[6:7], s[14:15]
	s_cbranch_execz .LBB530_279
; %bb.267:
	s_add_i32 s14, s2, 8
	s_cmp_le_u32 s3, s14
	s_cselect_b64 s[0:1], -1, 0
	s_and_b64 s[16:17], s[0:1], exec
	s_cselect_b32 s15, 8, 10
	s_or_b64 s[0:1], s[0:1], vcc
	s_xor_b64 s[16:17], s[0:1], -1
	v_mov_b32_e32 v7, s15
	s_and_saveexec_b64 s[0:1], s[16:17]
	s_cbranch_execz .LBB530_269
; %bb.268:
	s_sub_i32 s15, s3, s14
	s_min_u32 s15, s15, 8
	v_lshrrev_b32_e32 v7, s14, v6
	v_bfe_u32 v7, v7, 0, s15
	v_lshlrev_b32_e32 v8, 2, v2
	v_lshl_or_b32 v7, v7, 4, v8
	v_mov_b32_e32 v8, 1
	ds_add_u32 v7, v8 offset:4096
	v_mov_b32_e32 v7, 0
.LBB530_269:
	s_or_b64 exec, exec, s[0:1]
	v_cmp_gt_i32_e64 s[0:1], 10, v7
	s_mov_b64 s[14:15], -1
	s_and_saveexec_b64 s[16:17], s[0:1]
; %bb.270:
	v_cmp_eq_u32_e64 s[0:1], 0, v7
	s_orn2_b64 s[14:15], s[0:1], exec
; %bb.271:
	s_or_b64 exec, exec, s[16:17]
	s_and_b64 exec, exec, s[14:15]
	s_cbranch_execz .LBB530_279
; %bb.272:
	s_add_i32 s14, s2, 16
	s_cmp_le_u32 s3, s14
	s_cselect_b64 s[0:1], -1, 0
	s_and_b64 s[16:17], s[0:1], exec
	s_cselect_b32 s15, 8, 10
	s_or_b64 s[0:1], s[0:1], vcc
	s_xor_b64 s[16:17], s[0:1], -1
	v_mov_b32_e32 v7, s15
	s_and_saveexec_b64 s[0:1], s[16:17]
	s_cbranch_execz .LBB530_274
; %bb.273:
	s_sub_i32 s15, s3, s14
	s_min_u32 s15, s15, 8
	v_lshrrev_b32_e32 v7, s14, v6
	v_bfe_u32 v7, v7, 0, s15
	v_lshlrev_b32_e32 v8, 2, v2
	v_lshl_or_b32 v7, v7, 4, v8
	v_mov_b32_e32 v8, 1
	ds_add_u32 v7, v8 offset:8192
	v_mov_b32_e32 v7, 0
.LBB530_274:
	s_or_b64 exec, exec, s[0:1]
	v_cmp_gt_i32_e64 s[0:1], 10, v7
	s_mov_b64 s[14:15], -1
	s_and_saveexec_b64 s[16:17], s[0:1]
; %bb.275:
	v_cmp_eq_u32_e64 s[0:1], 0, v7
	s_orn2_b64 s[14:15], s[0:1], exec
; %bb.276:
	s_or_b64 exec, exec, s[16:17]
	s_and_b64 exec, exec, s[14:15]
	s_cbranch_execz .LBB530_279
; %bb.277:
	s_add_i32 s0, s2, 24
	s_cmp_gt_u32 s3, s0
	s_cselect_b64 s[14:15], -1, 0
	s_xor_b64 s[16:17], vcc, -1
	s_and_b64 s[14:15], s[14:15], s[16:17]
	s_and_b64 exec, exec, s[14:15]
	s_cbranch_execz .LBB530_279
; %bb.278:
	s_sub_i32 s1, s3, s0
	s_min_u32 s1, s1, 8
	v_lshrrev_b32_e32 v6, s0, v6
	v_bfe_u32 v6, v6, 0, s1
	v_lshlrev_b32_e32 v7, 2, v2
	v_lshl_or_b32 v6, v6, 4, v7
	v_mov_b32_e32 v7, 1
	ds_add_u32 v6, v7 offset:12288
.LBB530_279:
	s_or_b64 exec, exec, s[6:7]
	v_cmp_le_u32_e32 vcc, s13, v5
	s_or_b64 s[0:1], s[4:5], vcc
	s_xor_b64 s[6:7], s[0:1], -1
	v_mov_b32_e32 v5, s18
	s_and_saveexec_b64 s[0:1], s[6:7]
	s_cbranch_execz .LBB530_281
; %bb.280:
	s_sub_i32 s6, s3, s2
	s_min_u32 s6, s6, 8
	v_lshrrev_b32_e32 v5, s2, v4
	v_bfe_u32 v5, v5, 0, s6
	v_lshlrev_b32_e32 v6, 2, v2
	v_lshl_or_b32 v5, v5, 4, v6
	v_mov_b32_e32 v6, 1
	ds_add_u32 v5, v6
	v_mov_b32_e32 v5, 0
.LBB530_281:
	s_or_b64 exec, exec, s[0:1]
	v_cmp_gt_i32_e64 s[0:1], 10, v5
	s_mov_b64 s[14:15], -1
	s_and_saveexec_b64 s[6:7], s[0:1]
; %bb.282:
	v_cmp_eq_u32_e64 s[0:1], 0, v5
	s_orn2_b64 s[14:15], s[0:1], exec
; %bb.283:
	s_or_b64 exec, exec, s[6:7]
	s_and_saveexec_b64 s[6:7], s[14:15]
	s_cbranch_execz .LBB530_296
; %bb.284:
	s_add_i32 s14, s2, 8
	s_cmp_le_u32 s3, s14
	s_cselect_b64 s[0:1], -1, 0
	s_and_b64 s[16:17], s[0:1], exec
	s_cselect_b32 s15, 8, 10
	s_or_b64 s[0:1], s[0:1], vcc
	s_xor_b64 s[16:17], s[0:1], -1
	v_mov_b32_e32 v5, s15
	s_and_saveexec_b64 s[0:1], s[16:17]
	s_cbranch_execz .LBB530_286
; %bb.285:
	s_sub_i32 s15, s3, s14
	s_min_u32 s15, s15, 8
	v_lshrrev_b32_e32 v5, s14, v4
	v_bfe_u32 v5, v5, 0, s15
	v_lshlrev_b32_e32 v6, 2, v2
	v_lshl_or_b32 v5, v5, 4, v6
	v_mov_b32_e32 v6, 1
	ds_add_u32 v5, v6 offset:4096
	v_mov_b32_e32 v5, 0
.LBB530_286:
	s_or_b64 exec, exec, s[0:1]
	v_cmp_gt_i32_e64 s[0:1], 10, v5
	s_mov_b64 s[14:15], -1
	s_and_saveexec_b64 s[16:17], s[0:1]
; %bb.287:
	v_cmp_eq_u32_e64 s[0:1], 0, v5
	s_orn2_b64 s[14:15], s[0:1], exec
; %bb.288:
	s_or_b64 exec, exec, s[16:17]
	s_and_b64 exec, exec, s[14:15]
	s_cbranch_execz .LBB530_296
; %bb.289:
	s_add_i32 s14, s2, 16
	s_cmp_le_u32 s3, s14
	s_cselect_b64 s[0:1], -1, 0
	s_and_b64 s[16:17], s[0:1], exec
	s_cselect_b32 s15, 8, 10
	s_or_b64 s[0:1], s[0:1], vcc
	s_xor_b64 s[16:17], s[0:1], -1
	v_mov_b32_e32 v5, s15
	s_and_saveexec_b64 s[0:1], s[16:17]
	s_cbranch_execz .LBB530_291
; %bb.290:
	s_sub_i32 s15, s3, s14
	s_min_u32 s15, s15, 8
	v_lshrrev_b32_e32 v5, s14, v4
	v_bfe_u32 v5, v5, 0, s15
	v_lshlrev_b32_e32 v6, 2, v2
	v_lshl_or_b32 v5, v5, 4, v6
	v_mov_b32_e32 v6, 1
	ds_add_u32 v5, v6 offset:8192
	v_mov_b32_e32 v5, 0
.LBB530_291:
	s_or_b64 exec, exec, s[0:1]
	v_cmp_gt_i32_e64 s[0:1], 10, v5
	s_mov_b64 s[14:15], -1
	s_and_saveexec_b64 s[16:17], s[0:1]
; %bb.292:
	v_cmp_eq_u32_e64 s[0:1], 0, v5
	s_orn2_b64 s[14:15], s[0:1], exec
; %bb.293:
	s_or_b64 exec, exec, s[16:17]
	s_and_b64 exec, exec, s[14:15]
	s_cbranch_execz .LBB530_296
; %bb.294:
	s_add_i32 s0, s2, 24
	s_cmp_gt_u32 s3, s0
	s_cselect_b64 s[14:15], -1, 0
	s_xor_b64 s[16:17], vcc, -1
	s_and_b64 s[14:15], s[14:15], s[16:17]
	s_and_b64 exec, exec, s[14:15]
	s_cbranch_execz .LBB530_296
; %bb.295:
	s_sub_i32 s1, s3, s0
	s_min_u32 s1, s1, 8
	v_lshrrev_b32_e32 v4, s0, v4
	v_bfe_u32 v4, v4, 0, s1
	v_lshlrev_b32_e32 v5, 2, v2
	v_lshl_or_b32 v4, v4, 4, v5
	v_mov_b32_e32 v5, 1
	ds_add_u32 v4, v5 offset:12288
.LBB530_296:
	s_or_b64 exec, exec, s[6:7]
	v_cmp_le_u32_e32 vcc, s13, v3
	s_or_b64 s[0:1], s[4:5], vcc
	s_xor_b64 s[4:5], s[0:1], -1
	v_mov_b32_e32 v3, s18
	s_and_saveexec_b64 s[0:1], s[4:5]
	s_cbranch_execz .LBB530_298
; %bb.297:
	s_sub_i32 s4, s3, s2
	s_min_u32 s4, s4, 8
	v_lshrrev_b32_e32 v3, s2, v1
	v_bfe_u32 v3, v3, 0, s4
	v_lshlrev_b32_e32 v4, 2, v2
	v_lshl_or_b32 v3, v3, 4, v4
	v_mov_b32_e32 v4, 1
	ds_add_u32 v3, v4
	v_mov_b32_e32 v3, 0
.LBB530_298:
	s_or_b64 exec, exec, s[0:1]
	v_cmp_gt_i32_e64 s[0:1], 10, v3
	s_mov_b64 s[6:7], -1
	s_and_saveexec_b64 s[4:5], s[0:1]
; %bb.299:
	v_cmp_eq_u32_e64 s[0:1], 0, v3
	s_orn2_b64 s[6:7], s[0:1], exec
; %bb.300:
	s_or_b64 exec, exec, s[4:5]
	s_and_saveexec_b64 s[4:5], s[6:7]
	s_cbranch_execz .LBB530_313
; %bb.301:
	s_add_i32 s6, s2, 8
	s_cmp_le_u32 s3, s6
	s_cselect_b64 s[0:1], -1, 0
	s_and_b64 s[14:15], s[0:1], exec
	s_cselect_b32 s7, 8, 10
	s_or_b64 s[0:1], s[0:1], vcc
	s_xor_b64 s[14:15], s[0:1], -1
	v_mov_b32_e32 v3, s7
	s_and_saveexec_b64 s[0:1], s[14:15]
	s_cbranch_execz .LBB530_303
; %bb.302:
	s_sub_i32 s7, s3, s6
	s_min_u32 s7, s7, 8
	v_lshrrev_b32_e32 v3, s6, v1
	v_bfe_u32 v3, v3, 0, s7
	v_lshlrev_b32_e32 v4, 2, v2
	v_lshl_or_b32 v3, v3, 4, v4
	v_mov_b32_e32 v4, 1
	ds_add_u32 v3, v4 offset:4096
	v_mov_b32_e32 v3, 0
.LBB530_303:
	s_or_b64 exec, exec, s[0:1]
	v_cmp_gt_i32_e64 s[0:1], 10, v3
	s_mov_b64 s[6:7], -1
	s_and_saveexec_b64 s[14:15], s[0:1]
; %bb.304:
	v_cmp_eq_u32_e64 s[0:1], 0, v3
	s_orn2_b64 s[6:7], s[0:1], exec
; %bb.305:
	s_or_b64 exec, exec, s[14:15]
	s_and_b64 exec, exec, s[6:7]
	s_cbranch_execz .LBB530_313
; %bb.306:
	s_add_i32 s6, s2, 16
	s_cmp_le_u32 s3, s6
	s_cselect_b64 s[0:1], -1, 0
	s_and_b64 s[14:15], s[0:1], exec
	s_cselect_b32 s7, 8, 10
	s_or_b64 s[0:1], s[0:1], vcc
	s_xor_b64 s[14:15], s[0:1], -1
	v_mov_b32_e32 v3, s7
	s_and_saveexec_b64 s[0:1], s[14:15]
	s_cbranch_execz .LBB530_308
; %bb.307:
	s_sub_i32 s7, s3, s6
	s_min_u32 s7, s7, 8
	v_lshrrev_b32_e32 v3, s6, v1
	v_bfe_u32 v3, v3, 0, s7
	v_lshlrev_b32_e32 v4, 2, v2
	v_lshl_or_b32 v3, v3, 4, v4
	v_mov_b32_e32 v4, 1
	ds_add_u32 v3, v4 offset:8192
	v_mov_b32_e32 v3, 0
.LBB530_308:
	s_or_b64 exec, exec, s[0:1]
	v_cmp_gt_i32_e64 s[0:1], 10, v3
	s_mov_b64 s[6:7], -1
	s_and_saveexec_b64 s[14:15], s[0:1]
; %bb.309:
	v_cmp_eq_u32_e64 s[0:1], 0, v3
	s_orn2_b64 s[6:7], s[0:1], exec
; %bb.310:
	s_or_b64 exec, exec, s[14:15]
	s_and_b64 exec, exec, s[6:7]
	s_cbranch_execz .LBB530_313
; %bb.311:
	s_add_i32 s0, s2, 24
	s_cmp_gt_u32 s3, s0
	s_cselect_b64 s[6:7], -1, 0
	s_xor_b64 s[14:15], vcc, -1
	s_and_b64 s[6:7], s[6:7], s[14:15]
	s_and_b64 exec, exec, s[6:7]
	s_cbranch_execz .LBB530_313
; %bb.312:
	s_sub_i32 s1, s3, s0
	s_min_u32 s1, s1, 8
	v_lshrrev_b32_e32 v1, s0, v1
	v_bfe_u32 v1, v1, 0, s1
	v_lshlrev_b32_e32 v2, 2, v2
	v_lshl_or_b32 v1, v1, 4, v2
	v_mov_b32_e32 v2, 1
	ds_add_u32 v1, v2 offset:12288
.LBB530_313:
	s_or_b64 exec, exec, s[4:5]
	s_cmp_lt_u32 s2, s3
	s_waitcnt lgkmcnt(0)
	s_barrier
	s_cbranch_scc0 .LBB530_318
; %bb.314:
	s_movk_i32 s0, 0x100
	v_cmp_gt_u32_e32 vcc, s0, v0
	v_lshlrev_b32_e32 v1, 4, v0
	v_mov_b32_e32 v3, 0
	v_mov_b32_e32 v2, v0
	s_mov_b32 s6, s2
	s_branch .LBB530_316
.LBB530_315:                            ;   in Loop: Header=BB530_316 Depth=1
	s_or_b64 exec, exec, s[4:5]
	s_add_i32 s6, s6, 8
	v_add_u32_e32 v2, 0x100, v2
	s_cmp_lt_u32 s6, s3
	v_add_u32_e32 v1, 0x1000, v1
	s_cbranch_scc0 .LBB530_318
.LBB530_316:                            ; =>This Inner Loop Header: Depth=1
	s_and_saveexec_b64 s[4:5], vcc
	s_cbranch_execz .LBB530_315
; %bb.317:                              ;   in Loop: Header=BB530_316 Depth=1
	ds_read2_b32 v[4:5], v1 offset1:1
	ds_read2_b32 v[6:7], v1 offset0:2 offset1:3
	v_lshlrev_b64 v[8:9], 2, v[2:3]
	v_mov_b32_e32 v10, s11
	s_waitcnt lgkmcnt(1)
	v_add_u32_e32 v4, v5, v4
	s_waitcnt lgkmcnt(0)
	v_add3_u32 v6, v4, v6, v7
	v_add_co_u32_e64 v4, s[0:1], s10, v8
	v_addc_co_u32_e64 v5, s[0:1], v10, v9, s[0:1]
	global_atomic_add v[4:5], v6, off
	s_branch .LBB530_315
.LBB530_318:
	s_mov_b64 s[0:1], 0
.LBB530_319:
	s_and_b64 vcc, exec, s[0:1]
	s_cbranch_vccz .LBB530_443
; %bb.320:
	s_cmp_eq_u32 s2, 0
	s_cselect_b64 s[0:1], -1, 0
	s_cmp_eq_u32 s3, 32
	s_mov_b32 s13, 0
	s_cselect_b64 s[4:5], -1, 0
	s_and_b64 s[0:1], s[0:1], s[4:5]
	s_lshl_b64 s[4:5], s[12:13], 2
	s_add_u32 s4, s8, s4
	s_addc_u32 s5, s9, s5
	v_lshlrev_b32_e32 v1, 2, v0
	v_mov_b32_e32 v2, s5
	v_add_co_u32_e32 v18, vcc, s4, v1
	v_addc_co_u32_e32 v26, vcc, 0, v2, vcc
	s_movk_i32 s6, 0x1000
	v_add_co_u32_e32 v2, vcc, s6, v18
	v_addc_co_u32_e32 v3, vcc, 0, v26, vcc
	s_movk_i32 s6, 0x2000
	v_add_co_u32_e32 v20, vcc, s6, v18
	v_addc_co_u32_e32 v21, vcc, 0, v26, vcc
	s_movk_i32 s6, 0x3000
	v_add_co_u32_e32 v4, vcc, s6, v18
	v_addc_co_u32_e32 v5, vcc, 0, v26, vcc
	s_movk_i32 s6, 0x4000
	v_add_co_u32_e32 v6, vcc, s6, v18
	v_addc_co_u32_e32 v7, vcc, 0, v26, vcc
	s_movk_i32 s6, 0x5000
	v_add_co_u32_e32 v22, vcc, s6, v18
	v_addc_co_u32_e32 v23, vcc, 0, v26, vcc
	v_add_co_u32_e32 v24, vcc, 0x6000, v18
	global_load_dword v15, v[20:21], off
	global_load_dword v14, v[20:21], off offset:2048
	global_load_dword v12, v[6:7], off offset:-4096
	global_load_dword v11, v[6:7], off
	global_load_dword v9, v[6:7], off offset:2048
	v_addc_co_u32_e32 v25, vcc, 0, v26, vcc
	global_load_dword v19, v1, s[4:5]
	global_load_dword v17, v1, s[4:5] offset:2048
	global_load_dword v16, v[2:3], off offset:2048
	global_load_dword v13, v[4:5], off offset:2048
	global_load_dword v10, v[22:23], off
	global_load_dword v8, v[22:23], off offset:2048
	global_load_dword v7, v[24:25], off
	global_load_dword v6, v[24:25], off offset:2048
	v_add_co_u32_e32 v2, vcc, 0x7000, v18
	v_addc_co_u32_e32 v3, vcc, 0, v26, vcc
	global_load_dword v5, v[2:3], off
	global_load_dword v18, v[20:21], off offset:-4096
	global_load_dword v4, v[2:3], off offset:2048
	s_mov_b64 s[4:5], -1
	s_and_b64 vcc, exec, s[0:1]
	v_cmp_gt_u32_e64 s[0:1], 7, 4
	v_cmp_gt_u32_e64 s[6:7], 7, 3
	s_cbranch_vccnz .LBB530_432
; %bb.321:
	v_mov_b32_e32 v2, 0
	ds_write2st64_b32 v1, v2, v2 offset1:8
	ds_write2st64_b32 v1, v2, v2 offset0:16 offset1:24
	s_and_saveexec_b64 s[4:5], s[6:7]
	s_cbranch_execz .LBB530_323
; %bb.322:
	ds_write_b32 v1, v2 offset:8192
.LBB530_323:
	s_or_b64 exec, exec, s[4:5]
	s_and_saveexec_b64 s[4:5], s[0:1]
	s_cbranch_execz .LBB530_325
; %bb.324:
	v_mov_b32_e32 v2, 0
	ds_write_b32 v1, v2 offset:10240
.LBB530_325:
	s_or_b64 exec, exec, s[4:5]
	v_cmp_gt_u32_e64 s[0:1], 7, 6
	v_cmp_gt_u32_e64 s[6:7], 7, 5
	s_and_saveexec_b64 s[4:5], s[6:7]
	s_cbranch_execz .LBB530_327
; %bb.326:
	v_mov_b32_e32 v2, 0
	ds_write_b32 v1, v2 offset:12288
.LBB530_327:
	s_or_b64 exec, exec, s[4:5]
	s_and_saveexec_b64 s[4:5], s[0:1]
	s_cbranch_execz .LBB530_329
; %bb.328:
	v_mov_b32_e32 v2, 0
	ds_write_b32 v1, v2 offset:14336
.LBB530_329:
	s_or_b64 exec, exec, s[4:5]
	s_cmp_lt_u32 s2, s3
	s_cselect_b64 s[0:1], -1, 0
	s_and_b64 vcc, exec, s[0:1]
	s_waitcnt lgkmcnt(0)
	s_barrier
	s_cbranch_vccz .LBB530_426
; %bb.330:
	s_sub_i32 s4, s3, s2
	s_min_u32 s4, s4, 8
	s_lshl_b32 s4, -1, s4
	v_and_b32_e32 v2, 3, v0
	s_not_b32 s13, s4
	s_waitcnt vmcnt(10)
	v_lshrrev_b32_e32 v3, s2, v19
	v_and_b32_e32 v20, s13, v3
	v_lshlrev_b32_e32 v3, 2, v2
	v_lshl_or_b32 v20, v20, 4, v3
	v_mov_b32_e32 v21, 1
	ds_add_u32 v20, v21
	s_add_i32 s12, s2, 8
	s_cmp_le_u32 s3, s12
	s_cselect_b64 s[4:5], -1, 0
	s_waitcnt vmcnt(9)
	v_lshrrev_b32_e32 v20, s2, v17
	s_and_b64 vcc, exec, s[4:5]
	v_and_b32_e32 v20, s13, v20
	s_cbranch_vccz .LBB530_332
; %bb.331:
	v_lshl_or_b32 v21, v20, 2, v2
	s_mov_b64 s[6:7], -1
	s_cbranch_execz .LBB530_333
	s_branch .LBB530_340
.LBB530_332:
	s_mov_b64 s[6:7], 0
                                        ; implicit-def: $vgpr21
.LBB530_333:
	s_sub_i32 s8, s3, s12
	s_min_u32 s8, s8, 8
	s_lshl_b32 s8, -1, s8
	s_not_b32 s15, s8
	v_lshrrev_b32_e32 v21, s12, v19
	v_and_b32_e32 v21, s15, v21
	v_lshl_or_b32 v22, v21, 4, v3
	v_mov_b32_e32 v21, 1
	ds_add_u32 v22, v21 offset:4096
	s_add_i32 s14, s2, 16
	s_cmp_gt_u32 s3, s14
	s_cselect_b64 s[8:9], -1, 0
	s_cmp_le_u32 s3, s14
	s_cbranch_scc1 .LBB530_336
; %bb.334:
	s_sub_i32 s16, s3, s14
	s_min_u32 s16, s16, 8
	v_lshrrev_b32_e32 v22, s14, v19
	v_bfe_u32 v22, v22, 0, s16
	v_lshl_or_b32 v22, v22, 4, v3
	ds_add_u32 v22, v21 offset:8192
	s_add_i32 s16, s2, 24
	s_cmp_le_u32 s3, s16
	s_cbranch_scc1 .LBB530_336
; %bb.335:
	s_sub_i32 s17, s3, s16
	s_min_u32 s17, s17, 8
	v_lshrrev_b32_e32 v22, s16, v19
	v_bfe_u32 v22, v22, 0, s17
	v_lshl_or_b32 v22, v22, 4, v3
	v_mov_b32_e32 v23, 1
	ds_add_u32 v22, v23 offset:12288
.LBB530_336:
	v_lshl_or_b32 v20, v20, 4, v3
	ds_add_u32 v20, v21
	v_lshrrev_b32_e32 v20, s12, v17
	v_and_b32_e32 v20, s15, v20
	v_lshl_or_b32 v20, v20, 4, v3
	ds_add_u32 v20, v21 offset:4096
	s_andn2_b64 vcc, exec, s[8:9]
	s_cbranch_vccnz .LBB530_339
; %bb.337:
	s_sub_i32 s8, s3, s14
	s_min_u32 s8, s8, 8
	v_lshrrev_b32_e32 v20, s14, v17
	v_bfe_u32 v20, v20, 0, s8
	v_lshl_or_b32 v20, v20, 4, v3
	v_mov_b32_e32 v21, 1
	ds_add_u32 v20, v21 offset:8192
	s_add_i32 s8, s2, 24
	s_cmp_gt_u32 s3, s8
	s_cbranch_scc0 .LBB530_339
; %bb.338:
	s_sub_i32 s6, s3, s8
	s_min_u32 s6, s6, 8
	v_lshrrev_b32_e32 v20, s8, v17
	v_bfe_u32 v20, v20, 0, s6
	v_lshl_or_b32 v20, v20, 2, v2
	v_add_u32_e32 v21, 0xc00, v20
	s_mov_b64 s[6:7], -1
	s_branch .LBB530_340
.LBB530_339:
                                        ; implicit-def: $vgpr21
.LBB530_340:
	s_and_b64 vcc, exec, s[6:7]
	s_cbranch_vccz .LBB530_342
; %bb.341:
	v_lshlrev_b32_e32 v20, 2, v21
	v_mov_b32_e32 v21, 1
	ds_add_u32 v20, v21
.LBB530_342:
	s_waitcnt vmcnt(1)
	v_lshrrev_b32_e32 v20, s2, v18
	v_and_b32_e32 v20, s13, v20
	v_lshl_or_b32 v20, v20, 4, v3
	v_mov_b32_e32 v21, 1
	ds_add_u32 v20, v21
	v_lshrrev_b32_e32 v20, s2, v16
	s_and_b64 vcc, exec, s[4:5]
	v_and_b32_e32 v20, s13, v20
	s_cbranch_vccz .LBB530_344
; %bb.343:
	v_lshl_or_b32 v21, v20, 2, v2
	s_mov_b64 s[6:7], -1
	s_cbranch_execz .LBB530_345
	s_branch .LBB530_352
.LBB530_344:
	s_mov_b64 s[6:7], 0
                                        ; implicit-def: $vgpr21
.LBB530_345:
	s_sub_i32 s8, s3, s12
	s_min_u32 s8, s8, 8
	s_lshl_b32 s8, -1, s8
	s_not_b32 s15, s8
	v_lshrrev_b32_e32 v21, s12, v18
	v_and_b32_e32 v21, s15, v21
	v_lshl_or_b32 v22, v21, 4, v3
	v_mov_b32_e32 v21, 1
	ds_add_u32 v22, v21 offset:4096
	s_add_i32 s14, s2, 16
	s_cmp_gt_u32 s3, s14
	s_cselect_b64 s[8:9], -1, 0
	s_cmp_le_u32 s3, s14
	s_cbranch_scc1 .LBB530_348
; %bb.346:
	s_sub_i32 s16, s3, s14
	s_min_u32 s16, s16, 8
	v_lshrrev_b32_e32 v22, s14, v18
	v_bfe_u32 v22, v22, 0, s16
	v_lshl_or_b32 v22, v22, 4, v3
	ds_add_u32 v22, v21 offset:8192
	s_add_i32 s16, s2, 24
	s_cmp_le_u32 s3, s16
	s_cbranch_scc1 .LBB530_348
; %bb.347:
	s_sub_i32 s17, s3, s16
	s_min_u32 s17, s17, 8
	v_lshrrev_b32_e32 v22, s16, v18
	v_bfe_u32 v22, v22, 0, s17
	v_lshl_or_b32 v22, v22, 4, v3
	v_mov_b32_e32 v23, 1
	ds_add_u32 v22, v23 offset:12288
.LBB530_348:
	v_lshl_or_b32 v20, v20, 4, v3
	ds_add_u32 v20, v21
	v_lshrrev_b32_e32 v20, s12, v16
	v_and_b32_e32 v20, s15, v20
	v_lshl_or_b32 v20, v20, 4, v3
	ds_add_u32 v20, v21 offset:4096
	s_andn2_b64 vcc, exec, s[8:9]
	s_cbranch_vccnz .LBB530_351
; %bb.349:
	s_sub_i32 s8, s3, s14
	s_min_u32 s8, s8, 8
	v_lshrrev_b32_e32 v20, s14, v16
	v_bfe_u32 v20, v20, 0, s8
	v_lshl_or_b32 v20, v20, 4, v3
	v_mov_b32_e32 v21, 1
	ds_add_u32 v20, v21 offset:8192
	s_add_i32 s8, s2, 24
	s_cmp_gt_u32 s3, s8
	s_cbranch_scc0 .LBB530_351
; %bb.350:
	s_sub_i32 s6, s3, s8
	s_min_u32 s6, s6, 8
	v_lshrrev_b32_e32 v20, s8, v16
	v_bfe_u32 v20, v20, 0, s6
	v_lshl_or_b32 v20, v20, 2, v2
	v_add_u32_e32 v21, 0xc00, v20
	s_mov_b64 s[6:7], -1
	s_branch .LBB530_352
.LBB530_351:
                                        ; implicit-def: $vgpr21
.LBB530_352:
	s_and_b64 vcc, exec, s[6:7]
	s_cbranch_vccz .LBB530_354
; %bb.353:
	v_lshlrev_b32_e32 v20, 2, v21
	v_mov_b32_e32 v21, 1
	ds_add_u32 v20, v21
.LBB530_354:
	v_lshrrev_b32_e32 v20, s2, v15
	v_and_b32_e32 v20, s13, v20
	v_lshl_or_b32 v20, v20, 4, v3
	v_mov_b32_e32 v21, 1
	ds_add_u32 v20, v21
	v_lshrrev_b32_e32 v20, s2, v14
	s_and_b64 vcc, exec, s[4:5]
	v_and_b32_e32 v20, s13, v20
	s_cbranch_vccz .LBB530_356
; %bb.355:
	v_lshl_or_b32 v21, v20, 2, v2
	s_mov_b64 s[6:7], -1
	s_cbranch_execz .LBB530_357
	s_branch .LBB530_364
.LBB530_356:
	s_mov_b64 s[6:7], 0
                                        ; implicit-def: $vgpr21
.LBB530_357:
	s_sub_i32 s8, s3, s12
	s_min_u32 s8, s8, 8
	s_lshl_b32 s8, -1, s8
	s_not_b32 s15, s8
	v_lshrrev_b32_e32 v21, s12, v15
	v_and_b32_e32 v21, s15, v21
	v_lshl_or_b32 v22, v21, 4, v3
	v_mov_b32_e32 v21, 1
	ds_add_u32 v22, v21 offset:4096
	s_add_i32 s14, s2, 16
	s_cmp_gt_u32 s3, s14
	s_cselect_b64 s[8:9], -1, 0
	s_cmp_le_u32 s3, s14
	s_cbranch_scc1 .LBB530_360
; %bb.358:
	s_sub_i32 s16, s3, s14
	s_min_u32 s16, s16, 8
	v_lshrrev_b32_e32 v22, s14, v15
	v_bfe_u32 v22, v22, 0, s16
	v_lshl_or_b32 v22, v22, 4, v3
	ds_add_u32 v22, v21 offset:8192
	s_add_i32 s16, s2, 24
	s_cmp_le_u32 s3, s16
	s_cbranch_scc1 .LBB530_360
; %bb.359:
	s_sub_i32 s17, s3, s16
	s_min_u32 s17, s17, 8
	v_lshrrev_b32_e32 v22, s16, v15
	v_bfe_u32 v22, v22, 0, s17
	v_lshl_or_b32 v22, v22, 4, v3
	v_mov_b32_e32 v23, 1
	ds_add_u32 v22, v23 offset:12288
.LBB530_360:
	v_lshl_or_b32 v20, v20, 4, v3
	ds_add_u32 v20, v21
	v_lshrrev_b32_e32 v20, s12, v14
	v_and_b32_e32 v20, s15, v20
	v_lshl_or_b32 v20, v20, 4, v3
	ds_add_u32 v20, v21 offset:4096
	s_andn2_b64 vcc, exec, s[8:9]
	s_cbranch_vccnz .LBB530_363
; %bb.361:
	s_sub_i32 s8, s3, s14
	s_min_u32 s8, s8, 8
	v_lshrrev_b32_e32 v20, s14, v14
	v_bfe_u32 v20, v20, 0, s8
	v_lshl_or_b32 v20, v20, 4, v3
	v_mov_b32_e32 v21, 1
	ds_add_u32 v20, v21 offset:8192
	s_add_i32 s8, s2, 24
	s_cmp_gt_u32 s3, s8
	s_cbranch_scc0 .LBB530_363
; %bb.362:
	s_sub_i32 s6, s3, s8
	s_min_u32 s6, s6, 8
	v_lshrrev_b32_e32 v20, s8, v14
	v_bfe_u32 v20, v20, 0, s6
	v_lshl_or_b32 v20, v20, 2, v2
	v_add_u32_e32 v21, 0xc00, v20
	s_mov_b64 s[6:7], -1
	s_branch .LBB530_364
.LBB530_363:
                                        ; implicit-def: $vgpr21
.LBB530_364:
	s_and_b64 vcc, exec, s[6:7]
	s_cbranch_vccz .LBB530_366
; %bb.365:
	v_lshlrev_b32_e32 v20, 2, v21
	v_mov_b32_e32 v21, 1
	ds_add_u32 v20, v21
.LBB530_366:
	v_lshrrev_b32_e32 v20, s2, v12
	v_and_b32_e32 v20, s13, v20
	v_lshl_or_b32 v20, v20, 4, v3
	v_mov_b32_e32 v21, 1
	ds_add_u32 v20, v21
	v_lshrrev_b32_e32 v20, s2, v13
	s_and_b64 vcc, exec, s[4:5]
	v_and_b32_e32 v20, s13, v20
	s_cbranch_vccz .LBB530_368
; %bb.367:
	v_lshl_or_b32 v21, v20, 2, v2
	s_mov_b64 s[6:7], -1
	s_cbranch_execz .LBB530_369
	s_branch .LBB530_376
.LBB530_368:
	s_mov_b64 s[6:7], 0
                                        ; implicit-def: $vgpr21
.LBB530_369:
	s_sub_i32 s8, s3, s12
	s_min_u32 s8, s8, 8
	s_lshl_b32 s8, -1, s8
	s_not_b32 s15, s8
	v_lshrrev_b32_e32 v21, s12, v12
	v_and_b32_e32 v21, s15, v21
	v_lshl_or_b32 v22, v21, 4, v3
	v_mov_b32_e32 v21, 1
	ds_add_u32 v22, v21 offset:4096
	s_add_i32 s14, s2, 16
	s_cmp_gt_u32 s3, s14
	s_cselect_b64 s[8:9], -1, 0
	s_cmp_le_u32 s3, s14
	s_cbranch_scc1 .LBB530_372
; %bb.370:
	s_sub_i32 s16, s3, s14
	s_min_u32 s16, s16, 8
	v_lshrrev_b32_e32 v22, s14, v12
	v_bfe_u32 v22, v22, 0, s16
	v_lshl_or_b32 v22, v22, 4, v3
	ds_add_u32 v22, v21 offset:8192
	s_add_i32 s16, s2, 24
	s_cmp_le_u32 s3, s16
	s_cbranch_scc1 .LBB530_372
; %bb.371:
	s_sub_i32 s17, s3, s16
	s_min_u32 s17, s17, 8
	v_lshrrev_b32_e32 v22, s16, v12
	v_bfe_u32 v22, v22, 0, s17
	v_lshl_or_b32 v22, v22, 4, v3
	v_mov_b32_e32 v23, 1
	ds_add_u32 v22, v23 offset:12288
.LBB530_372:
	v_lshl_or_b32 v20, v20, 4, v3
	ds_add_u32 v20, v21
	v_lshrrev_b32_e32 v20, s12, v13
	v_and_b32_e32 v20, s15, v20
	v_lshl_or_b32 v20, v20, 4, v3
	ds_add_u32 v20, v21 offset:4096
	s_andn2_b64 vcc, exec, s[8:9]
	s_cbranch_vccnz .LBB530_375
; %bb.373:
	s_sub_i32 s8, s3, s14
	s_min_u32 s8, s8, 8
	v_lshrrev_b32_e32 v20, s14, v13
	v_bfe_u32 v20, v20, 0, s8
	v_lshl_or_b32 v20, v20, 4, v3
	v_mov_b32_e32 v21, 1
	ds_add_u32 v20, v21 offset:8192
	s_add_i32 s8, s2, 24
	s_cmp_gt_u32 s3, s8
	s_cbranch_scc0 .LBB530_375
; %bb.374:
	s_sub_i32 s6, s3, s8
	s_min_u32 s6, s6, 8
	v_lshrrev_b32_e32 v20, s8, v13
	v_bfe_u32 v20, v20, 0, s6
	v_lshl_or_b32 v20, v20, 2, v2
	v_add_u32_e32 v21, 0xc00, v20
	s_mov_b64 s[6:7], -1
	s_branch .LBB530_376
.LBB530_375:
                                        ; implicit-def: $vgpr21
.LBB530_376:
	s_and_b64 vcc, exec, s[6:7]
	s_cbranch_vccz .LBB530_378
; %bb.377:
	v_lshlrev_b32_e32 v20, 2, v21
	v_mov_b32_e32 v21, 1
	ds_add_u32 v20, v21
.LBB530_378:
	v_lshrrev_b32_e32 v20, s2, v11
	v_and_b32_e32 v20, s13, v20
	v_lshl_or_b32 v20, v20, 4, v3
	v_mov_b32_e32 v21, 1
	ds_add_u32 v20, v21
	v_lshrrev_b32_e32 v20, s2, v9
	s_and_b64 vcc, exec, s[4:5]
	v_and_b32_e32 v20, s13, v20
	s_cbranch_vccz .LBB530_380
; %bb.379:
	v_lshl_or_b32 v21, v20, 2, v2
	s_mov_b64 s[6:7], -1
	s_cbranch_execz .LBB530_381
	s_branch .LBB530_388
.LBB530_380:
	s_mov_b64 s[6:7], 0
                                        ; implicit-def: $vgpr21
.LBB530_381:
	s_sub_i32 s8, s3, s12
	s_min_u32 s8, s8, 8
	s_lshl_b32 s8, -1, s8
	s_not_b32 s15, s8
	v_lshrrev_b32_e32 v21, s12, v11
	v_and_b32_e32 v21, s15, v21
	v_lshl_or_b32 v22, v21, 4, v3
	v_mov_b32_e32 v21, 1
	ds_add_u32 v22, v21 offset:4096
	s_add_i32 s14, s2, 16
	s_cmp_gt_u32 s3, s14
	s_cselect_b64 s[8:9], -1, 0
	s_cmp_le_u32 s3, s14
	s_cbranch_scc1 .LBB530_384
; %bb.382:
	s_sub_i32 s16, s3, s14
	s_min_u32 s16, s16, 8
	v_lshrrev_b32_e32 v22, s14, v11
	v_bfe_u32 v22, v22, 0, s16
	v_lshl_or_b32 v22, v22, 4, v3
	ds_add_u32 v22, v21 offset:8192
	s_add_i32 s16, s2, 24
	s_cmp_le_u32 s3, s16
	s_cbranch_scc1 .LBB530_384
; %bb.383:
	s_sub_i32 s17, s3, s16
	s_min_u32 s17, s17, 8
	v_lshrrev_b32_e32 v22, s16, v11
	v_bfe_u32 v22, v22, 0, s17
	v_lshl_or_b32 v22, v22, 4, v3
	v_mov_b32_e32 v23, 1
	ds_add_u32 v22, v23 offset:12288
.LBB530_384:
	v_lshl_or_b32 v20, v20, 4, v3
	ds_add_u32 v20, v21
	v_lshrrev_b32_e32 v20, s12, v9
	v_and_b32_e32 v20, s15, v20
	v_lshl_or_b32 v20, v20, 4, v3
	ds_add_u32 v20, v21 offset:4096
	s_andn2_b64 vcc, exec, s[8:9]
	s_cbranch_vccnz .LBB530_387
; %bb.385:
	s_sub_i32 s8, s3, s14
	s_min_u32 s8, s8, 8
	v_lshrrev_b32_e32 v20, s14, v9
	v_bfe_u32 v20, v20, 0, s8
	v_lshl_or_b32 v20, v20, 4, v3
	v_mov_b32_e32 v21, 1
	ds_add_u32 v20, v21 offset:8192
	s_add_i32 s8, s2, 24
	s_cmp_gt_u32 s3, s8
	s_cbranch_scc0 .LBB530_387
; %bb.386:
	s_sub_i32 s6, s3, s8
	s_min_u32 s6, s6, 8
	v_lshrrev_b32_e32 v20, s8, v9
	v_bfe_u32 v20, v20, 0, s6
	v_lshl_or_b32 v20, v20, 2, v2
	v_add_u32_e32 v21, 0xc00, v20
	s_mov_b64 s[6:7], -1
	s_branch .LBB530_388
.LBB530_387:
                                        ; implicit-def: $vgpr21
.LBB530_388:
	s_and_b64 vcc, exec, s[6:7]
	s_cbranch_vccz .LBB530_390
; %bb.389:
	v_lshlrev_b32_e32 v20, 2, v21
	v_mov_b32_e32 v21, 1
	ds_add_u32 v20, v21
.LBB530_390:
	v_lshrrev_b32_e32 v20, s2, v10
	v_and_b32_e32 v20, s13, v20
	v_lshl_or_b32 v20, v20, 4, v3
	v_mov_b32_e32 v21, 1
	ds_add_u32 v20, v21
	v_lshrrev_b32_e32 v20, s2, v8
	s_and_b64 vcc, exec, s[4:5]
	v_and_b32_e32 v20, s13, v20
	s_cbranch_vccz .LBB530_392
; %bb.391:
	v_lshl_or_b32 v21, v20, 2, v2
	s_mov_b64 s[6:7], -1
	s_cbranch_execz .LBB530_393
	s_branch .LBB530_400
.LBB530_392:
	s_mov_b64 s[6:7], 0
                                        ; implicit-def: $vgpr21
.LBB530_393:
	s_sub_i32 s8, s3, s12
	s_min_u32 s8, s8, 8
	s_lshl_b32 s8, -1, s8
	s_not_b32 s15, s8
	v_lshrrev_b32_e32 v21, s12, v10
	v_and_b32_e32 v21, s15, v21
	v_lshl_or_b32 v22, v21, 4, v3
	v_mov_b32_e32 v21, 1
	ds_add_u32 v22, v21 offset:4096
	s_add_i32 s14, s2, 16
	s_cmp_gt_u32 s3, s14
	s_cselect_b64 s[8:9], -1, 0
	s_cmp_le_u32 s3, s14
	s_cbranch_scc1 .LBB530_396
; %bb.394:
	s_sub_i32 s16, s3, s14
	s_min_u32 s16, s16, 8
	v_lshrrev_b32_e32 v22, s14, v10
	v_bfe_u32 v22, v22, 0, s16
	v_lshl_or_b32 v22, v22, 4, v3
	ds_add_u32 v22, v21 offset:8192
	s_add_i32 s16, s2, 24
	s_cmp_le_u32 s3, s16
	s_cbranch_scc1 .LBB530_396
; %bb.395:
	v_lshrrev_b32_e32 v22, s16, v10
	s_sub_i32 s16, s3, s16
	s_min_u32 s16, s16, 8
	v_bfe_u32 v22, v22, 0, s16
	v_lshl_or_b32 v22, v22, 4, v3
	v_mov_b32_e32 v23, 1
	ds_add_u32 v22, v23 offset:12288
.LBB530_396:
	v_lshl_or_b32 v20, v20, 4, v3
	ds_add_u32 v20, v21
	v_lshrrev_b32_e32 v20, s12, v8
	v_and_b32_e32 v20, s15, v20
	v_lshl_or_b32 v20, v20, 4, v3
	ds_add_u32 v20, v21 offset:4096
	s_andn2_b64 vcc, exec, s[8:9]
	s_cbranch_vccnz .LBB530_399
; %bb.397:
	s_sub_i32 s8, s3, s14
	s_min_u32 s8, s8, 8
	v_lshrrev_b32_e32 v20, s14, v8
	v_bfe_u32 v20, v20, 0, s8
	v_lshl_or_b32 v20, v20, 4, v3
	v_mov_b32_e32 v21, 1
	ds_add_u32 v20, v21 offset:8192
	s_add_i32 s8, s2, 24
	s_cmp_gt_u32 s3, s8
	s_cbranch_scc0 .LBB530_399
; %bb.398:
	s_sub_i32 s6, s3, s8
	s_min_u32 s6, s6, 8
	v_lshrrev_b32_e32 v20, s8, v8
	v_bfe_u32 v20, v20, 0, s6
	v_lshl_or_b32 v20, v20, 2, v2
	v_add_u32_e32 v21, 0xc00, v20
	s_mov_b64 s[6:7], -1
	s_branch .LBB530_400
.LBB530_399:
                                        ; implicit-def: $vgpr21
.LBB530_400:
	s_and_b64 vcc, exec, s[6:7]
	s_cbranch_vccz .LBB530_402
; %bb.401:
	v_lshlrev_b32_e32 v20, 2, v21
	v_mov_b32_e32 v21, 1
	ds_add_u32 v20, v21
.LBB530_402:
	v_lshrrev_b32_e32 v20, s2, v7
	v_and_b32_e32 v20, s13, v20
	v_lshl_or_b32 v20, v20, 4, v3
	v_mov_b32_e32 v21, 1
	ds_add_u32 v20, v21
	v_lshrrev_b32_e32 v20, s2, v6
	s_and_b64 vcc, exec, s[4:5]
	v_and_b32_e32 v20, s13, v20
	s_cbranch_vccz .LBB530_404
; %bb.403:
	v_lshl_or_b32 v21, v20, 2, v2
	s_mov_b64 s[6:7], -1
	s_cbranch_execz .LBB530_405
	s_branch .LBB530_412
.LBB530_404:
	s_mov_b64 s[6:7], 0
                                        ; implicit-def: $vgpr21
.LBB530_405:
	s_sub_i32 s8, s3, s12
	s_min_u32 s8, s8, 8
	s_lshl_b32 s8, -1, s8
	s_not_b32 s15, s8
	v_lshrrev_b32_e32 v21, s12, v7
	v_and_b32_e32 v21, s15, v21
	v_lshl_or_b32 v22, v21, 4, v3
	v_mov_b32_e32 v21, 1
	ds_add_u32 v22, v21 offset:4096
	s_add_i32 s14, s2, 16
	s_cmp_gt_u32 s3, s14
	s_cselect_b64 s[8:9], -1, 0
	s_cmp_le_u32 s3, s14
	s_cbranch_scc1 .LBB530_408
; %bb.406:
	s_sub_i32 s16, s3, s14
	s_min_u32 s16, s16, 8
	v_lshrrev_b32_e32 v22, s14, v7
	v_bfe_u32 v22, v22, 0, s16
	v_lshl_or_b32 v22, v22, 4, v3
	ds_add_u32 v22, v21 offset:8192
	s_add_i32 s16, s2, 24
	s_cmp_le_u32 s3, s16
	s_cbranch_scc1 .LBB530_408
; %bb.407:
	s_sub_i32 s17, s3, s16
	s_min_u32 s17, s17, 8
	v_lshrrev_b32_e32 v22, s16, v7
	v_bfe_u32 v22, v22, 0, s17
	v_lshl_or_b32 v22, v22, 4, v3
	v_mov_b32_e32 v23, 1
	ds_add_u32 v22, v23 offset:12288
.LBB530_408:
	v_lshl_or_b32 v20, v20, 4, v3
	ds_add_u32 v20, v21
	v_lshrrev_b32_e32 v20, s12, v6
	v_and_b32_e32 v20, s15, v20
	v_lshl_or_b32 v20, v20, 4, v3
	ds_add_u32 v20, v21 offset:4096
	s_andn2_b64 vcc, exec, s[8:9]
	s_cbranch_vccnz .LBB530_411
; %bb.409:
	s_sub_i32 s8, s3, s14
	s_min_u32 s8, s8, 8
	v_lshrrev_b32_e32 v20, s14, v6
	v_bfe_u32 v20, v20, 0, s8
	v_lshl_or_b32 v20, v20, 4, v3
	v_mov_b32_e32 v21, 1
	ds_add_u32 v20, v21 offset:8192
	s_add_i32 s8, s2, 24
	s_cmp_gt_u32 s3, s8
	s_cbranch_scc0 .LBB530_411
; %bb.410:
	s_sub_i32 s6, s3, s8
	s_min_u32 s6, s6, 8
	v_lshrrev_b32_e32 v20, s8, v6
	v_bfe_u32 v20, v20, 0, s6
	v_lshl_or_b32 v20, v20, 2, v2
	v_add_u32_e32 v21, 0xc00, v20
	s_mov_b64 s[6:7], -1
	s_branch .LBB530_412
.LBB530_411:
                                        ; implicit-def: $vgpr21
.LBB530_412:
	s_and_b64 vcc, exec, s[6:7]
	s_cbranch_vccz .LBB530_414
; %bb.413:
	v_lshlrev_b32_e32 v20, 2, v21
	v_mov_b32_e32 v21, 1
	ds_add_u32 v20, v21
.LBB530_414:
	v_lshrrev_b32_e32 v20, s2, v5
	v_and_b32_e32 v20, s13, v20
	v_lshl_or_b32 v20, v20, 4, v3
	v_mov_b32_e32 v21, 1
	ds_add_u32 v20, v21
	s_waitcnt vmcnt(0)
	v_lshrrev_b32_e32 v20, s2, v4
	s_and_b64 vcc, exec, s[4:5]
	v_and_b32_e32 v20, s13, v20
	s_cbranch_vccz .LBB530_416
; %bb.415:
	v_lshl_or_b32 v21, v20, 2, v2
	s_mov_b64 s[4:5], -1
	s_cbranch_execz .LBB530_417
	s_branch .LBB530_424
.LBB530_416:
	s_mov_b64 s[4:5], 0
                                        ; implicit-def: $vgpr21
.LBB530_417:
	s_sub_i32 s6, s3, s12
	s_min_u32 s6, s6, 8
	s_lshl_b32 s6, -1, s6
	s_not_b32 s9, s6
	v_lshrrev_b32_e32 v21, s12, v5
	v_and_b32_e32 v21, s9, v21
	v_lshl_or_b32 v22, v21, 4, v3
	v_mov_b32_e32 v21, 1
	ds_add_u32 v22, v21 offset:4096
	s_add_i32 s8, s2, 16
	s_cmp_gt_u32 s3, s8
	s_cselect_b64 s[6:7], -1, 0
	s_cmp_le_u32 s3, s8
	s_cbranch_scc1 .LBB530_420
; %bb.418:
	s_sub_i32 s13, s3, s8
	s_min_u32 s13, s13, 8
	v_lshrrev_b32_e32 v22, s8, v5
	v_bfe_u32 v22, v22, 0, s13
	v_lshl_or_b32 v22, v22, 4, v3
	ds_add_u32 v22, v21 offset:8192
	s_add_i32 s13, s2, 24
	s_cmp_le_u32 s3, s13
	s_cbranch_scc1 .LBB530_420
; %bb.419:
	s_sub_i32 s14, s3, s13
	s_min_u32 s14, s14, 8
	v_lshrrev_b32_e32 v22, s13, v5
	v_bfe_u32 v22, v22, 0, s14
	v_lshl_or_b32 v22, v22, 4, v3
	v_mov_b32_e32 v23, 1
	ds_add_u32 v22, v23 offset:12288
.LBB530_420:
	v_lshl_or_b32 v20, v20, 4, v3
	ds_add_u32 v20, v21
	v_lshrrev_b32_e32 v20, s12, v4
	v_and_b32_e32 v20, s9, v20
	v_lshl_or_b32 v20, v20, 4, v3
	ds_add_u32 v20, v21 offset:4096
	s_andn2_b64 vcc, exec, s[6:7]
	s_cbranch_vccnz .LBB530_423
; %bb.421:
	s_sub_i32 s6, s3, s8
	s_min_u32 s6, s6, 8
	v_lshrrev_b32_e32 v20, s8, v4
	v_bfe_u32 v20, v20, 0, s6
	v_lshl_or_b32 v3, v20, 4, v3
	v_mov_b32_e32 v20, 1
	ds_add_u32 v3, v20 offset:8192
	s_add_i32 s6, s2, 24
	s_cmp_gt_u32 s3, s6
	s_cbranch_scc0 .LBB530_423
; %bb.422:
	s_sub_i32 s4, s3, s6
	s_min_u32 s4, s4, 8
	v_lshrrev_b32_e32 v3, s6, v4
	v_bfe_u32 v3, v3, 0, s4
	v_lshl_or_b32 v2, v3, 2, v2
	v_add_u32_e32 v21, 0xc00, v2
	s_mov_b64 s[4:5], -1
	s_branch .LBB530_424
.LBB530_423:
                                        ; implicit-def: $vgpr21
.LBB530_424:
	s_and_b64 vcc, exec, s[4:5]
	s_cbranch_vccz .LBB530_426
; %bb.425:
	v_lshlrev_b32_e32 v2, 2, v21
	v_mov_b32_e32 v3, 1
	ds_add_u32 v2, v3
.LBB530_426:
	s_and_b64 vcc, exec, s[0:1]
	s_waitcnt lgkmcnt(0)
	s_barrier
	s_cbranch_vccz .LBB530_431
; %bb.427:
	s_movk_i32 s0, 0x100
	v_cmp_gt_u32_e32 vcc, s0, v0
	v_lshlrev_b32_e32 v20, 4, v0
	v_mov_b32_e32 v3, 0
	v_mov_b32_e32 v2, v0
	s_branch .LBB530_429
.LBB530_428:                            ;   in Loop: Header=BB530_429 Depth=1
	s_or_b64 exec, exec, s[4:5]
	s_add_i32 s2, s2, 8
	v_add_u32_e32 v2, 0x100, v2
	s_cmp_ge_u32 s2, s3
	v_add_u32_e32 v20, 0x1000, v20
	s_cbranch_scc1 .LBB530_431
.LBB530_429:                            ; =>This Inner Loop Header: Depth=1
	s_and_saveexec_b64 s[4:5], vcc
	s_cbranch_execz .LBB530_428
; %bb.430:                              ;   in Loop: Header=BB530_429 Depth=1
	ds_read2_b32 v[22:23], v20 offset1:1
	ds_read2_b32 v[24:25], v20 offset0:2 offset1:3
	v_lshlrev_b64 v[26:27], 2, v[2:3]
	v_mov_b32_e32 v21, s11
	s_waitcnt lgkmcnt(1)
	v_add_u32_e32 v22, v23, v22
	s_waitcnt lgkmcnt(0)
	v_add3_u32 v24, v22, v24, v25
	v_add_co_u32_e64 v22, s[0:1], s10, v26
	v_addc_co_u32_e64 v23, s[0:1], v21, v27, s[0:1]
	global_atomic_add v[22:23], v24, off
	s_branch .LBB530_428
.LBB530_431:
	s_mov_b64 s[4:5], 0
.LBB530_432:
	s_and_b64 vcc, exec, s[4:5]
	s_cbranch_vccz .LBB530_443
; %bb.433:
	v_mov_b32_e32 v2, 0
	v_cmp_gt_u32_e64 s[0:1], 7, 4
	v_cmp_gt_u32_e64 s[4:5], 7, 3
	ds_write2st64_b32 v1, v2, v2 offset1:8
	ds_write2st64_b32 v1, v2, v2 offset0:16 offset1:24
	s_and_saveexec_b64 s[2:3], s[4:5]
	s_cbranch_execz .LBB530_435
; %bb.434:
	ds_write_b32 v1, v2 offset:8192
.LBB530_435:
	s_or_b64 exec, exec, s[2:3]
	s_and_saveexec_b64 s[2:3], s[0:1]
	s_cbranch_execz .LBB530_437
; %bb.436:
	v_mov_b32_e32 v2, 0
	ds_write_b32 v1, v2 offset:10240
.LBB530_437:
	s_or_b64 exec, exec, s[2:3]
	v_cmp_gt_u32_e64 s[0:1], 7, 6
	v_cmp_gt_u32_e64 s[4:5], 7, 5
	s_and_saveexec_b64 s[2:3], s[4:5]
	s_cbranch_execz .LBB530_439
; %bb.438:
	v_mov_b32_e32 v2, 0
	ds_write_b32 v1, v2 offset:12288
.LBB530_439:
	s_or_b64 exec, exec, s[2:3]
	s_and_saveexec_b64 s[2:3], s[0:1]
	s_cbranch_execz .LBB530_441
; %bb.440:
	v_mov_b32_e32 v2, 0
	ds_write_b32 v1, v2 offset:14336
.LBB530_441:
	s_or_b64 exec, exec, s[2:3]
	v_and_b32_e32 v2, 3, v0
	s_waitcnt vmcnt(10)
	v_lshlrev_b32_e32 v3, 2, v19
	s_movk_i32 s0, 0x3fc
	v_and_or_b32 v3, v3, s0, v2
	v_lshlrev_b32_e32 v3, 2, v3
	v_mov_b32_e32 v20, 1
	s_waitcnt lgkmcnt(0)
	s_barrier
	ds_add_u32 v3, v20
	v_bfe_u32 v3, v19, 8, 8
	v_lshl_or_b32 v3, v3, 2, v2
	v_lshlrev_b32_e32 v3, 2, v3
	ds_add_u32 v3, v20 offset:4096
	v_bfe_u32 v3, v19, 16, 8
	v_lshl_or_b32 v3, v3, 2, v2
	v_lshlrev_b32_e32 v3, 2, v3
	ds_add_u32 v3, v20 offset:8192
	v_lshrrev_b32_e32 v3, 24, v19
	v_lshl_or_b32 v3, v3, 2, v2
	v_lshlrev_b32_e32 v3, 2, v3
	ds_add_u32 v3, v20 offset:12288
	s_waitcnt vmcnt(9)
	v_lshlrev_b32_e32 v3, 2, v17
	v_and_or_b32 v3, v3, s0, v2
	v_lshlrev_b32_e32 v3, 2, v3
	ds_add_u32 v3, v20
	v_bfe_u32 v3, v17, 8, 8
	v_lshl_or_b32 v3, v3, 2, v2
	v_lshlrev_b32_e32 v3, 2, v3
	ds_add_u32 v3, v20 offset:4096
	v_bfe_u32 v3, v17, 16, 8
	v_lshl_or_b32 v3, v3, 2, v2
	v_lshlrev_b32_e32 v3, 2, v3
	ds_add_u32 v3, v20 offset:8192
	v_lshrrev_b32_e32 v3, 24, v17
	v_lshl_or_b32 v3, v3, 2, v2
	v_lshlrev_b32_e32 v3, 2, v3
	ds_add_u32 v3, v20 offset:12288
	s_waitcnt vmcnt(1)
	v_lshlrev_b32_e32 v3, 2, v18
	v_and_or_b32 v3, v3, s0, v2
	v_lshlrev_b32_e32 v3, 2, v3
	ds_add_u32 v3, v20
	v_bfe_u32 v3, v18, 8, 8
	v_lshl_or_b32 v3, v3, 2, v2
	v_lshlrev_b32_e32 v3, 2, v3
	ds_add_u32 v3, v20 offset:4096
	v_bfe_u32 v3, v18, 16, 8
	v_lshl_or_b32 v3, v3, 2, v2
	v_lshlrev_b32_e32 v3, 2, v3
	ds_add_u32 v3, v20 offset:8192
	v_lshrrev_b32_e32 v3, 24, v18
	v_lshl_or_b32 v3, v3, 2, v2
	v_lshlrev_b32_e32 v3, 2, v3
	ds_add_u32 v3, v20 offset:12288
	v_lshlrev_b32_e32 v3, 2, v16
	v_and_or_b32 v3, v3, s0, v2
	v_lshlrev_b32_e32 v3, 2, v3
	ds_add_u32 v3, v20
	v_bfe_u32 v3, v16, 8, 8
	v_lshl_or_b32 v3, v3, 2, v2
	v_lshlrev_b32_e32 v3, 2, v3
	ds_add_u32 v3, v20 offset:4096
	v_bfe_u32 v3, v16, 16, 8
	v_lshl_or_b32 v3, v3, 2, v2
	v_lshlrev_b32_e32 v3, 2, v3
	ds_add_u32 v3, v20 offset:8192
	v_lshrrev_b32_e32 v3, 24, v16
	v_lshl_or_b32 v3, v3, 2, v2
	v_lshlrev_b32_e32 v3, 2, v3
	ds_add_u32 v3, v20 offset:12288
	;; [unrolled: 16-line block ×13, first 2 shown]
	s_waitcnt vmcnt(0)
	v_lshlrev_b32_e32 v3, 2, v4
	v_and_or_b32 v3, v3, s0, v2
	v_lshlrev_b32_e32 v3, 2, v3
	ds_add_u32 v3, v20
	v_bfe_u32 v3, v4, 8, 8
	v_lshl_or_b32 v3, v3, 2, v2
	v_lshlrev_b32_e32 v3, 2, v3
	ds_add_u32 v3, v20 offset:4096
	v_bfe_u32 v3, v4, 16, 8
	v_lshl_or_b32 v3, v3, 2, v2
	v_lshlrev_b32_e32 v3, 2, v3
	ds_add_u32 v3, v20 offset:8192
	v_lshrrev_b32_e32 v3, 24, v4
	v_lshl_or_b32 v2, v3, 2, v2
	v_lshlrev_b32_e32 v2, 2, v2
	ds_add_u32 v2, v20 offset:12288
	s_movk_i32 s0, 0x100
	v_cmp_gt_u32_e32 vcc, s0, v0
	s_waitcnt lgkmcnt(0)
	s_barrier
	s_and_saveexec_b64 s[0:1], vcc
	s_cbranch_execz .LBB530_443
; %bb.442:
	v_lshlrev_b32_e32 v0, 4, v0
	ds_read2_b32 v[2:3], v0 offset1:1
	ds_read2_b32 v[4:5], v0 offset0:2 offset1:3
	v_add_u32_e32 v6, 0x1000, v0
	v_add_u32_e32 v7, 0x1008, v0
	s_waitcnt lgkmcnt(1)
	v_add_u32_e32 v2, v3, v2
	s_waitcnt lgkmcnt(0)
	v_add3_u32 v2, v2, v4, v5
	global_atomic_add v1, v2, s[10:11]
	ds_read2_b32 v[2:3], v6 offset1:1
	ds_read2_b32 v[4:5], v7 offset1:1
	v_or_b32_e32 v6, 0x2000, v0
	v_or_b32_e32 v7, 0x2008, v0
	s_waitcnt lgkmcnt(1)
	v_add_u32_e32 v2, v3, v2
	s_waitcnt lgkmcnt(0)
	v_add3_u32 v2, v2, v4, v5
	global_atomic_add v1, v2, s[10:11] offset:1024
	ds_read2_b32 v[2:3], v6 offset1:1
	ds_read2_b32 v[4:5], v7 offset1:1
	v_add_u32_e32 v6, 0x3000, v0
	v_add_u32_e32 v0, 0x3008, v0
	s_waitcnt lgkmcnt(1)
	v_add_u32_e32 v2, v3, v2
	s_waitcnt lgkmcnt(0)
	v_add3_u32 v2, v2, v4, v5
	global_atomic_add v1, v2, s[10:11] offset:2048
	ds_read2_b32 v[2:3], v6 offset1:1
	ds_read2_b32 v[4:5], v0 offset1:1
	s_waitcnt lgkmcnt(1)
	v_add_u32_e32 v0, v3, v2
	s_waitcnt lgkmcnt(0)
	v_add3_u32 v0, v0, v4, v5
	global_atomic_add v1, v0, s[10:11] offset:3072
.LBB530_443:
	s_endpgm
	.section	.rodata,"a",@progbits
	.p2align	6, 0x0
	.amdhsa_kernel _ZN7rocprim17ROCPRIM_400000_NS6detail17trampoline_kernelINS0_14default_configENS1_35radix_sort_onesweep_config_selectorIjyEEZNS1_34radix_sort_onesweep_global_offsetsIS3_Lb0EPjPyjNS0_19identity_decomposerEEE10hipError_tT1_T2_PT3_SD_jT4_jjP12ihipStream_tbEUlT_E_NS1_11comp_targetILNS1_3genE4ELNS1_11target_archE910ELNS1_3gpuE8ELNS1_3repE0EEENS1_52radix_sort_onesweep_histogram_config_static_selectorELNS0_4arch9wavefront6targetE1EEEvSB_
		.amdhsa_group_segment_fixed_size 16384
		.amdhsa_private_segment_fixed_size 0
		.amdhsa_kernarg_size 40
		.amdhsa_user_sgpr_count 6
		.amdhsa_user_sgpr_private_segment_buffer 1
		.amdhsa_user_sgpr_dispatch_ptr 0
		.amdhsa_user_sgpr_queue_ptr 0
		.amdhsa_user_sgpr_kernarg_segment_ptr 1
		.amdhsa_user_sgpr_dispatch_id 0
		.amdhsa_user_sgpr_flat_scratch_init 0
		.amdhsa_user_sgpr_kernarg_preload_length 0
		.amdhsa_user_sgpr_kernarg_preload_offset 0
		.amdhsa_user_sgpr_private_segment_size 0
		.amdhsa_uses_dynamic_stack 0
		.amdhsa_system_sgpr_private_segment_wavefront_offset 0
		.amdhsa_system_sgpr_workgroup_id_x 1
		.amdhsa_system_sgpr_workgroup_id_y 0
		.amdhsa_system_sgpr_workgroup_id_z 0
		.amdhsa_system_sgpr_workgroup_info 0
		.amdhsa_system_vgpr_workitem_id 0
		.amdhsa_next_free_vgpr 35
		.amdhsa_next_free_sgpr 19
		.amdhsa_accum_offset 36
		.amdhsa_reserve_vcc 1
		.amdhsa_reserve_flat_scratch 0
		.amdhsa_float_round_mode_32 0
		.amdhsa_float_round_mode_16_64 0
		.amdhsa_float_denorm_mode_32 3
		.amdhsa_float_denorm_mode_16_64 3
		.amdhsa_dx10_clamp 1
		.amdhsa_ieee_mode 1
		.amdhsa_fp16_overflow 0
		.amdhsa_tg_split 0
		.amdhsa_exception_fp_ieee_invalid_op 0
		.amdhsa_exception_fp_denorm_src 0
		.amdhsa_exception_fp_ieee_div_zero 0
		.amdhsa_exception_fp_ieee_overflow 0
		.amdhsa_exception_fp_ieee_underflow 0
		.amdhsa_exception_fp_ieee_inexact 0
		.amdhsa_exception_int_div_zero 0
	.end_amdhsa_kernel
	.section	.text._ZN7rocprim17ROCPRIM_400000_NS6detail17trampoline_kernelINS0_14default_configENS1_35radix_sort_onesweep_config_selectorIjyEEZNS1_34radix_sort_onesweep_global_offsetsIS3_Lb0EPjPyjNS0_19identity_decomposerEEE10hipError_tT1_T2_PT3_SD_jT4_jjP12ihipStream_tbEUlT_E_NS1_11comp_targetILNS1_3genE4ELNS1_11target_archE910ELNS1_3gpuE8ELNS1_3repE0EEENS1_52radix_sort_onesweep_histogram_config_static_selectorELNS0_4arch9wavefront6targetE1EEEvSB_,"axG",@progbits,_ZN7rocprim17ROCPRIM_400000_NS6detail17trampoline_kernelINS0_14default_configENS1_35radix_sort_onesweep_config_selectorIjyEEZNS1_34radix_sort_onesweep_global_offsetsIS3_Lb0EPjPyjNS0_19identity_decomposerEEE10hipError_tT1_T2_PT3_SD_jT4_jjP12ihipStream_tbEUlT_E_NS1_11comp_targetILNS1_3genE4ELNS1_11target_archE910ELNS1_3gpuE8ELNS1_3repE0EEENS1_52radix_sort_onesweep_histogram_config_static_selectorELNS0_4arch9wavefront6targetE1EEEvSB_,comdat
.Lfunc_end530:
	.size	_ZN7rocprim17ROCPRIM_400000_NS6detail17trampoline_kernelINS0_14default_configENS1_35radix_sort_onesweep_config_selectorIjyEEZNS1_34radix_sort_onesweep_global_offsetsIS3_Lb0EPjPyjNS0_19identity_decomposerEEE10hipError_tT1_T2_PT3_SD_jT4_jjP12ihipStream_tbEUlT_E_NS1_11comp_targetILNS1_3genE4ELNS1_11target_archE910ELNS1_3gpuE8ELNS1_3repE0EEENS1_52radix_sort_onesweep_histogram_config_static_selectorELNS0_4arch9wavefront6targetE1EEEvSB_, .Lfunc_end530-_ZN7rocprim17ROCPRIM_400000_NS6detail17trampoline_kernelINS0_14default_configENS1_35radix_sort_onesweep_config_selectorIjyEEZNS1_34radix_sort_onesweep_global_offsetsIS3_Lb0EPjPyjNS0_19identity_decomposerEEE10hipError_tT1_T2_PT3_SD_jT4_jjP12ihipStream_tbEUlT_E_NS1_11comp_targetILNS1_3genE4ELNS1_11target_archE910ELNS1_3gpuE8ELNS1_3repE0EEENS1_52radix_sort_onesweep_histogram_config_static_selectorELNS0_4arch9wavefront6targetE1EEEvSB_
                                        ; -- End function
	.section	.AMDGPU.csdata,"",@progbits
; Kernel info:
; codeLenInByte = 14168
; NumSgprs: 23
; NumVgprs: 35
; NumAgprs: 0
; TotalNumVgprs: 35
; ScratchSize: 0
; MemoryBound: 0
; FloatMode: 240
; IeeeMode: 1
; LDSByteSize: 16384 bytes/workgroup (compile time only)
; SGPRBlocks: 2
; VGPRBlocks: 4
; NumSGPRsForWavesPerEU: 23
; NumVGPRsForWavesPerEU: 35
; AccumOffset: 36
; Occupancy: 8
; WaveLimiterHint : 1
; COMPUTE_PGM_RSRC2:SCRATCH_EN: 0
; COMPUTE_PGM_RSRC2:USER_SGPR: 6
; COMPUTE_PGM_RSRC2:TRAP_HANDLER: 0
; COMPUTE_PGM_RSRC2:TGID_X_EN: 1
; COMPUTE_PGM_RSRC2:TGID_Y_EN: 0
; COMPUTE_PGM_RSRC2:TGID_Z_EN: 0
; COMPUTE_PGM_RSRC2:TIDIG_COMP_CNT: 0
; COMPUTE_PGM_RSRC3_GFX90A:ACCUM_OFFSET: 8
; COMPUTE_PGM_RSRC3_GFX90A:TG_SPLIT: 0
	.section	.text._ZN7rocprim17ROCPRIM_400000_NS6detail17trampoline_kernelINS0_14default_configENS1_35radix_sort_onesweep_config_selectorIjyEEZNS1_34radix_sort_onesweep_global_offsetsIS3_Lb0EPjPyjNS0_19identity_decomposerEEE10hipError_tT1_T2_PT3_SD_jT4_jjP12ihipStream_tbEUlT_E_NS1_11comp_targetILNS1_3genE3ELNS1_11target_archE908ELNS1_3gpuE7ELNS1_3repE0EEENS1_52radix_sort_onesweep_histogram_config_static_selectorELNS0_4arch9wavefront6targetE1EEEvSB_,"axG",@progbits,_ZN7rocprim17ROCPRIM_400000_NS6detail17trampoline_kernelINS0_14default_configENS1_35radix_sort_onesweep_config_selectorIjyEEZNS1_34radix_sort_onesweep_global_offsetsIS3_Lb0EPjPyjNS0_19identity_decomposerEEE10hipError_tT1_T2_PT3_SD_jT4_jjP12ihipStream_tbEUlT_E_NS1_11comp_targetILNS1_3genE3ELNS1_11target_archE908ELNS1_3gpuE7ELNS1_3repE0EEENS1_52radix_sort_onesweep_histogram_config_static_selectorELNS0_4arch9wavefront6targetE1EEEvSB_,comdat
	.protected	_ZN7rocprim17ROCPRIM_400000_NS6detail17trampoline_kernelINS0_14default_configENS1_35radix_sort_onesweep_config_selectorIjyEEZNS1_34radix_sort_onesweep_global_offsetsIS3_Lb0EPjPyjNS0_19identity_decomposerEEE10hipError_tT1_T2_PT3_SD_jT4_jjP12ihipStream_tbEUlT_E_NS1_11comp_targetILNS1_3genE3ELNS1_11target_archE908ELNS1_3gpuE7ELNS1_3repE0EEENS1_52radix_sort_onesweep_histogram_config_static_selectorELNS0_4arch9wavefront6targetE1EEEvSB_ ; -- Begin function _ZN7rocprim17ROCPRIM_400000_NS6detail17trampoline_kernelINS0_14default_configENS1_35radix_sort_onesweep_config_selectorIjyEEZNS1_34radix_sort_onesweep_global_offsetsIS3_Lb0EPjPyjNS0_19identity_decomposerEEE10hipError_tT1_T2_PT3_SD_jT4_jjP12ihipStream_tbEUlT_E_NS1_11comp_targetILNS1_3genE3ELNS1_11target_archE908ELNS1_3gpuE7ELNS1_3repE0EEENS1_52radix_sort_onesweep_histogram_config_static_selectorELNS0_4arch9wavefront6targetE1EEEvSB_
	.globl	_ZN7rocprim17ROCPRIM_400000_NS6detail17trampoline_kernelINS0_14default_configENS1_35radix_sort_onesweep_config_selectorIjyEEZNS1_34radix_sort_onesweep_global_offsetsIS3_Lb0EPjPyjNS0_19identity_decomposerEEE10hipError_tT1_T2_PT3_SD_jT4_jjP12ihipStream_tbEUlT_E_NS1_11comp_targetILNS1_3genE3ELNS1_11target_archE908ELNS1_3gpuE7ELNS1_3repE0EEENS1_52radix_sort_onesweep_histogram_config_static_selectorELNS0_4arch9wavefront6targetE1EEEvSB_
	.p2align	8
	.type	_ZN7rocprim17ROCPRIM_400000_NS6detail17trampoline_kernelINS0_14default_configENS1_35radix_sort_onesweep_config_selectorIjyEEZNS1_34radix_sort_onesweep_global_offsetsIS3_Lb0EPjPyjNS0_19identity_decomposerEEE10hipError_tT1_T2_PT3_SD_jT4_jjP12ihipStream_tbEUlT_E_NS1_11comp_targetILNS1_3genE3ELNS1_11target_archE908ELNS1_3gpuE7ELNS1_3repE0EEENS1_52radix_sort_onesweep_histogram_config_static_selectorELNS0_4arch9wavefront6targetE1EEEvSB_,@function
_ZN7rocprim17ROCPRIM_400000_NS6detail17trampoline_kernelINS0_14default_configENS1_35radix_sort_onesweep_config_selectorIjyEEZNS1_34radix_sort_onesweep_global_offsetsIS3_Lb0EPjPyjNS0_19identity_decomposerEEE10hipError_tT1_T2_PT3_SD_jT4_jjP12ihipStream_tbEUlT_E_NS1_11comp_targetILNS1_3genE3ELNS1_11target_archE908ELNS1_3gpuE7ELNS1_3repE0EEENS1_52radix_sort_onesweep_histogram_config_static_selectorELNS0_4arch9wavefront6targetE1EEEvSB_: ; @_ZN7rocprim17ROCPRIM_400000_NS6detail17trampoline_kernelINS0_14default_configENS1_35radix_sort_onesweep_config_selectorIjyEEZNS1_34radix_sort_onesweep_global_offsetsIS3_Lb0EPjPyjNS0_19identity_decomposerEEE10hipError_tT1_T2_PT3_SD_jT4_jjP12ihipStream_tbEUlT_E_NS1_11comp_targetILNS1_3genE3ELNS1_11target_archE908ELNS1_3gpuE7ELNS1_3repE0EEENS1_52radix_sort_onesweep_histogram_config_static_selectorELNS0_4arch9wavefront6targetE1EEEvSB_
; %bb.0:
	.section	.rodata,"a",@progbits
	.p2align	6, 0x0
	.amdhsa_kernel _ZN7rocprim17ROCPRIM_400000_NS6detail17trampoline_kernelINS0_14default_configENS1_35radix_sort_onesweep_config_selectorIjyEEZNS1_34radix_sort_onesweep_global_offsetsIS3_Lb0EPjPyjNS0_19identity_decomposerEEE10hipError_tT1_T2_PT3_SD_jT4_jjP12ihipStream_tbEUlT_E_NS1_11comp_targetILNS1_3genE3ELNS1_11target_archE908ELNS1_3gpuE7ELNS1_3repE0EEENS1_52radix_sort_onesweep_histogram_config_static_selectorELNS0_4arch9wavefront6targetE1EEEvSB_
		.amdhsa_group_segment_fixed_size 0
		.amdhsa_private_segment_fixed_size 0
		.amdhsa_kernarg_size 40
		.amdhsa_user_sgpr_count 6
		.amdhsa_user_sgpr_private_segment_buffer 1
		.amdhsa_user_sgpr_dispatch_ptr 0
		.amdhsa_user_sgpr_queue_ptr 0
		.amdhsa_user_sgpr_kernarg_segment_ptr 1
		.amdhsa_user_sgpr_dispatch_id 0
		.amdhsa_user_sgpr_flat_scratch_init 0
		.amdhsa_user_sgpr_kernarg_preload_length 0
		.amdhsa_user_sgpr_kernarg_preload_offset 0
		.amdhsa_user_sgpr_private_segment_size 0
		.amdhsa_uses_dynamic_stack 0
		.amdhsa_system_sgpr_private_segment_wavefront_offset 0
		.amdhsa_system_sgpr_workgroup_id_x 1
		.amdhsa_system_sgpr_workgroup_id_y 0
		.amdhsa_system_sgpr_workgroup_id_z 0
		.amdhsa_system_sgpr_workgroup_info 0
		.amdhsa_system_vgpr_workitem_id 0
		.amdhsa_next_free_vgpr 1
		.amdhsa_next_free_sgpr 0
		.amdhsa_accum_offset 4
		.amdhsa_reserve_vcc 0
		.amdhsa_reserve_flat_scratch 0
		.amdhsa_float_round_mode_32 0
		.amdhsa_float_round_mode_16_64 0
		.amdhsa_float_denorm_mode_32 3
		.amdhsa_float_denorm_mode_16_64 3
		.amdhsa_dx10_clamp 1
		.amdhsa_ieee_mode 1
		.amdhsa_fp16_overflow 0
		.amdhsa_tg_split 0
		.amdhsa_exception_fp_ieee_invalid_op 0
		.amdhsa_exception_fp_denorm_src 0
		.amdhsa_exception_fp_ieee_div_zero 0
		.amdhsa_exception_fp_ieee_overflow 0
		.amdhsa_exception_fp_ieee_underflow 0
		.amdhsa_exception_fp_ieee_inexact 0
		.amdhsa_exception_int_div_zero 0
	.end_amdhsa_kernel
	.section	.text._ZN7rocprim17ROCPRIM_400000_NS6detail17trampoline_kernelINS0_14default_configENS1_35radix_sort_onesweep_config_selectorIjyEEZNS1_34radix_sort_onesweep_global_offsetsIS3_Lb0EPjPyjNS0_19identity_decomposerEEE10hipError_tT1_T2_PT3_SD_jT4_jjP12ihipStream_tbEUlT_E_NS1_11comp_targetILNS1_3genE3ELNS1_11target_archE908ELNS1_3gpuE7ELNS1_3repE0EEENS1_52radix_sort_onesweep_histogram_config_static_selectorELNS0_4arch9wavefront6targetE1EEEvSB_,"axG",@progbits,_ZN7rocprim17ROCPRIM_400000_NS6detail17trampoline_kernelINS0_14default_configENS1_35radix_sort_onesweep_config_selectorIjyEEZNS1_34radix_sort_onesweep_global_offsetsIS3_Lb0EPjPyjNS0_19identity_decomposerEEE10hipError_tT1_T2_PT3_SD_jT4_jjP12ihipStream_tbEUlT_E_NS1_11comp_targetILNS1_3genE3ELNS1_11target_archE908ELNS1_3gpuE7ELNS1_3repE0EEENS1_52radix_sort_onesweep_histogram_config_static_selectorELNS0_4arch9wavefront6targetE1EEEvSB_,comdat
.Lfunc_end531:
	.size	_ZN7rocprim17ROCPRIM_400000_NS6detail17trampoline_kernelINS0_14default_configENS1_35radix_sort_onesweep_config_selectorIjyEEZNS1_34radix_sort_onesweep_global_offsetsIS3_Lb0EPjPyjNS0_19identity_decomposerEEE10hipError_tT1_T2_PT3_SD_jT4_jjP12ihipStream_tbEUlT_E_NS1_11comp_targetILNS1_3genE3ELNS1_11target_archE908ELNS1_3gpuE7ELNS1_3repE0EEENS1_52radix_sort_onesweep_histogram_config_static_selectorELNS0_4arch9wavefront6targetE1EEEvSB_, .Lfunc_end531-_ZN7rocprim17ROCPRIM_400000_NS6detail17trampoline_kernelINS0_14default_configENS1_35radix_sort_onesweep_config_selectorIjyEEZNS1_34radix_sort_onesweep_global_offsetsIS3_Lb0EPjPyjNS0_19identity_decomposerEEE10hipError_tT1_T2_PT3_SD_jT4_jjP12ihipStream_tbEUlT_E_NS1_11comp_targetILNS1_3genE3ELNS1_11target_archE908ELNS1_3gpuE7ELNS1_3repE0EEENS1_52radix_sort_onesweep_histogram_config_static_selectorELNS0_4arch9wavefront6targetE1EEEvSB_
                                        ; -- End function
	.section	.AMDGPU.csdata,"",@progbits
; Kernel info:
; codeLenInByte = 0
; NumSgprs: 4
; NumVgprs: 0
; NumAgprs: 0
; TotalNumVgprs: 0
; ScratchSize: 0
; MemoryBound: 0
; FloatMode: 240
; IeeeMode: 1
; LDSByteSize: 0 bytes/workgroup (compile time only)
; SGPRBlocks: 0
; VGPRBlocks: 0
; NumSGPRsForWavesPerEU: 4
; NumVGPRsForWavesPerEU: 1
; AccumOffset: 4
; Occupancy: 8
; WaveLimiterHint : 0
; COMPUTE_PGM_RSRC2:SCRATCH_EN: 0
; COMPUTE_PGM_RSRC2:USER_SGPR: 6
; COMPUTE_PGM_RSRC2:TRAP_HANDLER: 0
; COMPUTE_PGM_RSRC2:TGID_X_EN: 1
; COMPUTE_PGM_RSRC2:TGID_Y_EN: 0
; COMPUTE_PGM_RSRC2:TGID_Z_EN: 0
; COMPUTE_PGM_RSRC2:TIDIG_COMP_CNT: 0
; COMPUTE_PGM_RSRC3_GFX90A:ACCUM_OFFSET: 0
; COMPUTE_PGM_RSRC3_GFX90A:TG_SPLIT: 0
	.section	.text._ZN7rocprim17ROCPRIM_400000_NS6detail17trampoline_kernelINS0_14default_configENS1_35radix_sort_onesweep_config_selectorIjyEEZNS1_34radix_sort_onesweep_global_offsetsIS3_Lb0EPjPyjNS0_19identity_decomposerEEE10hipError_tT1_T2_PT3_SD_jT4_jjP12ihipStream_tbEUlT_E_NS1_11comp_targetILNS1_3genE10ELNS1_11target_archE1201ELNS1_3gpuE5ELNS1_3repE0EEENS1_52radix_sort_onesweep_histogram_config_static_selectorELNS0_4arch9wavefront6targetE1EEEvSB_,"axG",@progbits,_ZN7rocprim17ROCPRIM_400000_NS6detail17trampoline_kernelINS0_14default_configENS1_35radix_sort_onesweep_config_selectorIjyEEZNS1_34radix_sort_onesweep_global_offsetsIS3_Lb0EPjPyjNS0_19identity_decomposerEEE10hipError_tT1_T2_PT3_SD_jT4_jjP12ihipStream_tbEUlT_E_NS1_11comp_targetILNS1_3genE10ELNS1_11target_archE1201ELNS1_3gpuE5ELNS1_3repE0EEENS1_52radix_sort_onesweep_histogram_config_static_selectorELNS0_4arch9wavefront6targetE1EEEvSB_,comdat
	.protected	_ZN7rocprim17ROCPRIM_400000_NS6detail17trampoline_kernelINS0_14default_configENS1_35radix_sort_onesweep_config_selectorIjyEEZNS1_34radix_sort_onesweep_global_offsetsIS3_Lb0EPjPyjNS0_19identity_decomposerEEE10hipError_tT1_T2_PT3_SD_jT4_jjP12ihipStream_tbEUlT_E_NS1_11comp_targetILNS1_3genE10ELNS1_11target_archE1201ELNS1_3gpuE5ELNS1_3repE0EEENS1_52radix_sort_onesweep_histogram_config_static_selectorELNS0_4arch9wavefront6targetE1EEEvSB_ ; -- Begin function _ZN7rocprim17ROCPRIM_400000_NS6detail17trampoline_kernelINS0_14default_configENS1_35radix_sort_onesweep_config_selectorIjyEEZNS1_34radix_sort_onesweep_global_offsetsIS3_Lb0EPjPyjNS0_19identity_decomposerEEE10hipError_tT1_T2_PT3_SD_jT4_jjP12ihipStream_tbEUlT_E_NS1_11comp_targetILNS1_3genE10ELNS1_11target_archE1201ELNS1_3gpuE5ELNS1_3repE0EEENS1_52radix_sort_onesweep_histogram_config_static_selectorELNS0_4arch9wavefront6targetE1EEEvSB_
	.globl	_ZN7rocprim17ROCPRIM_400000_NS6detail17trampoline_kernelINS0_14default_configENS1_35radix_sort_onesweep_config_selectorIjyEEZNS1_34radix_sort_onesweep_global_offsetsIS3_Lb0EPjPyjNS0_19identity_decomposerEEE10hipError_tT1_T2_PT3_SD_jT4_jjP12ihipStream_tbEUlT_E_NS1_11comp_targetILNS1_3genE10ELNS1_11target_archE1201ELNS1_3gpuE5ELNS1_3repE0EEENS1_52radix_sort_onesweep_histogram_config_static_selectorELNS0_4arch9wavefront6targetE1EEEvSB_
	.p2align	8
	.type	_ZN7rocprim17ROCPRIM_400000_NS6detail17trampoline_kernelINS0_14default_configENS1_35radix_sort_onesweep_config_selectorIjyEEZNS1_34radix_sort_onesweep_global_offsetsIS3_Lb0EPjPyjNS0_19identity_decomposerEEE10hipError_tT1_T2_PT3_SD_jT4_jjP12ihipStream_tbEUlT_E_NS1_11comp_targetILNS1_3genE10ELNS1_11target_archE1201ELNS1_3gpuE5ELNS1_3repE0EEENS1_52radix_sort_onesweep_histogram_config_static_selectorELNS0_4arch9wavefront6targetE1EEEvSB_,@function
_ZN7rocprim17ROCPRIM_400000_NS6detail17trampoline_kernelINS0_14default_configENS1_35radix_sort_onesweep_config_selectorIjyEEZNS1_34radix_sort_onesweep_global_offsetsIS3_Lb0EPjPyjNS0_19identity_decomposerEEE10hipError_tT1_T2_PT3_SD_jT4_jjP12ihipStream_tbEUlT_E_NS1_11comp_targetILNS1_3genE10ELNS1_11target_archE1201ELNS1_3gpuE5ELNS1_3repE0EEENS1_52radix_sort_onesweep_histogram_config_static_selectorELNS0_4arch9wavefront6targetE1EEEvSB_: ; @_ZN7rocprim17ROCPRIM_400000_NS6detail17trampoline_kernelINS0_14default_configENS1_35radix_sort_onesweep_config_selectorIjyEEZNS1_34radix_sort_onesweep_global_offsetsIS3_Lb0EPjPyjNS0_19identity_decomposerEEE10hipError_tT1_T2_PT3_SD_jT4_jjP12ihipStream_tbEUlT_E_NS1_11comp_targetILNS1_3genE10ELNS1_11target_archE1201ELNS1_3gpuE5ELNS1_3repE0EEENS1_52radix_sort_onesweep_histogram_config_static_selectorELNS0_4arch9wavefront6targetE1EEEvSB_
; %bb.0:
	.section	.rodata,"a",@progbits
	.p2align	6, 0x0
	.amdhsa_kernel _ZN7rocprim17ROCPRIM_400000_NS6detail17trampoline_kernelINS0_14default_configENS1_35radix_sort_onesweep_config_selectorIjyEEZNS1_34radix_sort_onesweep_global_offsetsIS3_Lb0EPjPyjNS0_19identity_decomposerEEE10hipError_tT1_T2_PT3_SD_jT4_jjP12ihipStream_tbEUlT_E_NS1_11comp_targetILNS1_3genE10ELNS1_11target_archE1201ELNS1_3gpuE5ELNS1_3repE0EEENS1_52radix_sort_onesweep_histogram_config_static_selectorELNS0_4arch9wavefront6targetE1EEEvSB_
		.amdhsa_group_segment_fixed_size 0
		.amdhsa_private_segment_fixed_size 0
		.amdhsa_kernarg_size 40
		.amdhsa_user_sgpr_count 6
		.amdhsa_user_sgpr_private_segment_buffer 1
		.amdhsa_user_sgpr_dispatch_ptr 0
		.amdhsa_user_sgpr_queue_ptr 0
		.amdhsa_user_sgpr_kernarg_segment_ptr 1
		.amdhsa_user_sgpr_dispatch_id 0
		.amdhsa_user_sgpr_flat_scratch_init 0
		.amdhsa_user_sgpr_kernarg_preload_length 0
		.amdhsa_user_sgpr_kernarg_preload_offset 0
		.amdhsa_user_sgpr_private_segment_size 0
		.amdhsa_uses_dynamic_stack 0
		.amdhsa_system_sgpr_private_segment_wavefront_offset 0
		.amdhsa_system_sgpr_workgroup_id_x 1
		.amdhsa_system_sgpr_workgroup_id_y 0
		.amdhsa_system_sgpr_workgroup_id_z 0
		.amdhsa_system_sgpr_workgroup_info 0
		.amdhsa_system_vgpr_workitem_id 0
		.amdhsa_next_free_vgpr 1
		.amdhsa_next_free_sgpr 0
		.amdhsa_accum_offset 4
		.amdhsa_reserve_vcc 0
		.amdhsa_reserve_flat_scratch 0
		.amdhsa_float_round_mode_32 0
		.amdhsa_float_round_mode_16_64 0
		.amdhsa_float_denorm_mode_32 3
		.amdhsa_float_denorm_mode_16_64 3
		.amdhsa_dx10_clamp 1
		.amdhsa_ieee_mode 1
		.amdhsa_fp16_overflow 0
		.amdhsa_tg_split 0
		.amdhsa_exception_fp_ieee_invalid_op 0
		.amdhsa_exception_fp_denorm_src 0
		.amdhsa_exception_fp_ieee_div_zero 0
		.amdhsa_exception_fp_ieee_overflow 0
		.amdhsa_exception_fp_ieee_underflow 0
		.amdhsa_exception_fp_ieee_inexact 0
		.amdhsa_exception_int_div_zero 0
	.end_amdhsa_kernel
	.section	.text._ZN7rocprim17ROCPRIM_400000_NS6detail17trampoline_kernelINS0_14default_configENS1_35radix_sort_onesweep_config_selectorIjyEEZNS1_34radix_sort_onesweep_global_offsetsIS3_Lb0EPjPyjNS0_19identity_decomposerEEE10hipError_tT1_T2_PT3_SD_jT4_jjP12ihipStream_tbEUlT_E_NS1_11comp_targetILNS1_3genE10ELNS1_11target_archE1201ELNS1_3gpuE5ELNS1_3repE0EEENS1_52radix_sort_onesweep_histogram_config_static_selectorELNS0_4arch9wavefront6targetE1EEEvSB_,"axG",@progbits,_ZN7rocprim17ROCPRIM_400000_NS6detail17trampoline_kernelINS0_14default_configENS1_35radix_sort_onesweep_config_selectorIjyEEZNS1_34radix_sort_onesweep_global_offsetsIS3_Lb0EPjPyjNS0_19identity_decomposerEEE10hipError_tT1_T2_PT3_SD_jT4_jjP12ihipStream_tbEUlT_E_NS1_11comp_targetILNS1_3genE10ELNS1_11target_archE1201ELNS1_3gpuE5ELNS1_3repE0EEENS1_52radix_sort_onesweep_histogram_config_static_selectorELNS0_4arch9wavefront6targetE1EEEvSB_,comdat
.Lfunc_end532:
	.size	_ZN7rocprim17ROCPRIM_400000_NS6detail17trampoline_kernelINS0_14default_configENS1_35radix_sort_onesweep_config_selectorIjyEEZNS1_34radix_sort_onesweep_global_offsetsIS3_Lb0EPjPyjNS0_19identity_decomposerEEE10hipError_tT1_T2_PT3_SD_jT4_jjP12ihipStream_tbEUlT_E_NS1_11comp_targetILNS1_3genE10ELNS1_11target_archE1201ELNS1_3gpuE5ELNS1_3repE0EEENS1_52radix_sort_onesweep_histogram_config_static_selectorELNS0_4arch9wavefront6targetE1EEEvSB_, .Lfunc_end532-_ZN7rocprim17ROCPRIM_400000_NS6detail17trampoline_kernelINS0_14default_configENS1_35radix_sort_onesweep_config_selectorIjyEEZNS1_34radix_sort_onesweep_global_offsetsIS3_Lb0EPjPyjNS0_19identity_decomposerEEE10hipError_tT1_T2_PT3_SD_jT4_jjP12ihipStream_tbEUlT_E_NS1_11comp_targetILNS1_3genE10ELNS1_11target_archE1201ELNS1_3gpuE5ELNS1_3repE0EEENS1_52radix_sort_onesweep_histogram_config_static_selectorELNS0_4arch9wavefront6targetE1EEEvSB_
                                        ; -- End function
	.section	.AMDGPU.csdata,"",@progbits
; Kernel info:
; codeLenInByte = 0
; NumSgprs: 4
; NumVgprs: 0
; NumAgprs: 0
; TotalNumVgprs: 0
; ScratchSize: 0
; MemoryBound: 0
; FloatMode: 240
; IeeeMode: 1
; LDSByteSize: 0 bytes/workgroup (compile time only)
; SGPRBlocks: 0
; VGPRBlocks: 0
; NumSGPRsForWavesPerEU: 4
; NumVGPRsForWavesPerEU: 1
; AccumOffset: 4
; Occupancy: 8
; WaveLimiterHint : 0
; COMPUTE_PGM_RSRC2:SCRATCH_EN: 0
; COMPUTE_PGM_RSRC2:USER_SGPR: 6
; COMPUTE_PGM_RSRC2:TRAP_HANDLER: 0
; COMPUTE_PGM_RSRC2:TGID_X_EN: 1
; COMPUTE_PGM_RSRC2:TGID_Y_EN: 0
; COMPUTE_PGM_RSRC2:TGID_Z_EN: 0
; COMPUTE_PGM_RSRC2:TIDIG_COMP_CNT: 0
; COMPUTE_PGM_RSRC3_GFX90A:ACCUM_OFFSET: 0
; COMPUTE_PGM_RSRC3_GFX90A:TG_SPLIT: 0
	.section	.text._ZN7rocprim17ROCPRIM_400000_NS6detail17trampoline_kernelINS0_14default_configENS1_35radix_sort_onesweep_config_selectorIjyEEZNS1_34radix_sort_onesweep_global_offsetsIS3_Lb0EPjPyjNS0_19identity_decomposerEEE10hipError_tT1_T2_PT3_SD_jT4_jjP12ihipStream_tbEUlT_E_NS1_11comp_targetILNS1_3genE9ELNS1_11target_archE1100ELNS1_3gpuE3ELNS1_3repE0EEENS1_52radix_sort_onesweep_histogram_config_static_selectorELNS0_4arch9wavefront6targetE1EEEvSB_,"axG",@progbits,_ZN7rocprim17ROCPRIM_400000_NS6detail17trampoline_kernelINS0_14default_configENS1_35radix_sort_onesweep_config_selectorIjyEEZNS1_34radix_sort_onesweep_global_offsetsIS3_Lb0EPjPyjNS0_19identity_decomposerEEE10hipError_tT1_T2_PT3_SD_jT4_jjP12ihipStream_tbEUlT_E_NS1_11comp_targetILNS1_3genE9ELNS1_11target_archE1100ELNS1_3gpuE3ELNS1_3repE0EEENS1_52radix_sort_onesweep_histogram_config_static_selectorELNS0_4arch9wavefront6targetE1EEEvSB_,comdat
	.protected	_ZN7rocprim17ROCPRIM_400000_NS6detail17trampoline_kernelINS0_14default_configENS1_35radix_sort_onesweep_config_selectorIjyEEZNS1_34radix_sort_onesweep_global_offsetsIS3_Lb0EPjPyjNS0_19identity_decomposerEEE10hipError_tT1_T2_PT3_SD_jT4_jjP12ihipStream_tbEUlT_E_NS1_11comp_targetILNS1_3genE9ELNS1_11target_archE1100ELNS1_3gpuE3ELNS1_3repE0EEENS1_52radix_sort_onesweep_histogram_config_static_selectorELNS0_4arch9wavefront6targetE1EEEvSB_ ; -- Begin function _ZN7rocprim17ROCPRIM_400000_NS6detail17trampoline_kernelINS0_14default_configENS1_35radix_sort_onesweep_config_selectorIjyEEZNS1_34radix_sort_onesweep_global_offsetsIS3_Lb0EPjPyjNS0_19identity_decomposerEEE10hipError_tT1_T2_PT3_SD_jT4_jjP12ihipStream_tbEUlT_E_NS1_11comp_targetILNS1_3genE9ELNS1_11target_archE1100ELNS1_3gpuE3ELNS1_3repE0EEENS1_52radix_sort_onesweep_histogram_config_static_selectorELNS0_4arch9wavefront6targetE1EEEvSB_
	.globl	_ZN7rocprim17ROCPRIM_400000_NS6detail17trampoline_kernelINS0_14default_configENS1_35radix_sort_onesweep_config_selectorIjyEEZNS1_34radix_sort_onesweep_global_offsetsIS3_Lb0EPjPyjNS0_19identity_decomposerEEE10hipError_tT1_T2_PT3_SD_jT4_jjP12ihipStream_tbEUlT_E_NS1_11comp_targetILNS1_3genE9ELNS1_11target_archE1100ELNS1_3gpuE3ELNS1_3repE0EEENS1_52radix_sort_onesweep_histogram_config_static_selectorELNS0_4arch9wavefront6targetE1EEEvSB_
	.p2align	8
	.type	_ZN7rocprim17ROCPRIM_400000_NS6detail17trampoline_kernelINS0_14default_configENS1_35radix_sort_onesweep_config_selectorIjyEEZNS1_34radix_sort_onesweep_global_offsetsIS3_Lb0EPjPyjNS0_19identity_decomposerEEE10hipError_tT1_T2_PT3_SD_jT4_jjP12ihipStream_tbEUlT_E_NS1_11comp_targetILNS1_3genE9ELNS1_11target_archE1100ELNS1_3gpuE3ELNS1_3repE0EEENS1_52radix_sort_onesweep_histogram_config_static_selectorELNS0_4arch9wavefront6targetE1EEEvSB_,@function
_ZN7rocprim17ROCPRIM_400000_NS6detail17trampoline_kernelINS0_14default_configENS1_35radix_sort_onesweep_config_selectorIjyEEZNS1_34radix_sort_onesweep_global_offsetsIS3_Lb0EPjPyjNS0_19identity_decomposerEEE10hipError_tT1_T2_PT3_SD_jT4_jjP12ihipStream_tbEUlT_E_NS1_11comp_targetILNS1_3genE9ELNS1_11target_archE1100ELNS1_3gpuE3ELNS1_3repE0EEENS1_52radix_sort_onesweep_histogram_config_static_selectorELNS0_4arch9wavefront6targetE1EEEvSB_: ; @_ZN7rocprim17ROCPRIM_400000_NS6detail17trampoline_kernelINS0_14default_configENS1_35radix_sort_onesweep_config_selectorIjyEEZNS1_34radix_sort_onesweep_global_offsetsIS3_Lb0EPjPyjNS0_19identity_decomposerEEE10hipError_tT1_T2_PT3_SD_jT4_jjP12ihipStream_tbEUlT_E_NS1_11comp_targetILNS1_3genE9ELNS1_11target_archE1100ELNS1_3gpuE3ELNS1_3repE0EEENS1_52radix_sort_onesweep_histogram_config_static_selectorELNS0_4arch9wavefront6targetE1EEEvSB_
; %bb.0:
	.section	.rodata,"a",@progbits
	.p2align	6, 0x0
	.amdhsa_kernel _ZN7rocprim17ROCPRIM_400000_NS6detail17trampoline_kernelINS0_14default_configENS1_35radix_sort_onesweep_config_selectorIjyEEZNS1_34radix_sort_onesweep_global_offsetsIS3_Lb0EPjPyjNS0_19identity_decomposerEEE10hipError_tT1_T2_PT3_SD_jT4_jjP12ihipStream_tbEUlT_E_NS1_11comp_targetILNS1_3genE9ELNS1_11target_archE1100ELNS1_3gpuE3ELNS1_3repE0EEENS1_52radix_sort_onesweep_histogram_config_static_selectorELNS0_4arch9wavefront6targetE1EEEvSB_
		.amdhsa_group_segment_fixed_size 0
		.amdhsa_private_segment_fixed_size 0
		.amdhsa_kernarg_size 40
		.amdhsa_user_sgpr_count 6
		.amdhsa_user_sgpr_private_segment_buffer 1
		.amdhsa_user_sgpr_dispatch_ptr 0
		.amdhsa_user_sgpr_queue_ptr 0
		.amdhsa_user_sgpr_kernarg_segment_ptr 1
		.amdhsa_user_sgpr_dispatch_id 0
		.amdhsa_user_sgpr_flat_scratch_init 0
		.amdhsa_user_sgpr_kernarg_preload_length 0
		.amdhsa_user_sgpr_kernarg_preload_offset 0
		.amdhsa_user_sgpr_private_segment_size 0
		.amdhsa_uses_dynamic_stack 0
		.amdhsa_system_sgpr_private_segment_wavefront_offset 0
		.amdhsa_system_sgpr_workgroup_id_x 1
		.amdhsa_system_sgpr_workgroup_id_y 0
		.amdhsa_system_sgpr_workgroup_id_z 0
		.amdhsa_system_sgpr_workgroup_info 0
		.amdhsa_system_vgpr_workitem_id 0
		.amdhsa_next_free_vgpr 1
		.amdhsa_next_free_sgpr 0
		.amdhsa_accum_offset 4
		.amdhsa_reserve_vcc 0
		.amdhsa_reserve_flat_scratch 0
		.amdhsa_float_round_mode_32 0
		.amdhsa_float_round_mode_16_64 0
		.amdhsa_float_denorm_mode_32 3
		.amdhsa_float_denorm_mode_16_64 3
		.amdhsa_dx10_clamp 1
		.amdhsa_ieee_mode 1
		.amdhsa_fp16_overflow 0
		.amdhsa_tg_split 0
		.amdhsa_exception_fp_ieee_invalid_op 0
		.amdhsa_exception_fp_denorm_src 0
		.amdhsa_exception_fp_ieee_div_zero 0
		.amdhsa_exception_fp_ieee_overflow 0
		.amdhsa_exception_fp_ieee_underflow 0
		.amdhsa_exception_fp_ieee_inexact 0
		.amdhsa_exception_int_div_zero 0
	.end_amdhsa_kernel
	.section	.text._ZN7rocprim17ROCPRIM_400000_NS6detail17trampoline_kernelINS0_14default_configENS1_35radix_sort_onesweep_config_selectorIjyEEZNS1_34radix_sort_onesweep_global_offsetsIS3_Lb0EPjPyjNS0_19identity_decomposerEEE10hipError_tT1_T2_PT3_SD_jT4_jjP12ihipStream_tbEUlT_E_NS1_11comp_targetILNS1_3genE9ELNS1_11target_archE1100ELNS1_3gpuE3ELNS1_3repE0EEENS1_52radix_sort_onesweep_histogram_config_static_selectorELNS0_4arch9wavefront6targetE1EEEvSB_,"axG",@progbits,_ZN7rocprim17ROCPRIM_400000_NS6detail17trampoline_kernelINS0_14default_configENS1_35radix_sort_onesweep_config_selectorIjyEEZNS1_34radix_sort_onesweep_global_offsetsIS3_Lb0EPjPyjNS0_19identity_decomposerEEE10hipError_tT1_T2_PT3_SD_jT4_jjP12ihipStream_tbEUlT_E_NS1_11comp_targetILNS1_3genE9ELNS1_11target_archE1100ELNS1_3gpuE3ELNS1_3repE0EEENS1_52radix_sort_onesweep_histogram_config_static_selectorELNS0_4arch9wavefront6targetE1EEEvSB_,comdat
.Lfunc_end533:
	.size	_ZN7rocprim17ROCPRIM_400000_NS6detail17trampoline_kernelINS0_14default_configENS1_35radix_sort_onesweep_config_selectorIjyEEZNS1_34radix_sort_onesweep_global_offsetsIS3_Lb0EPjPyjNS0_19identity_decomposerEEE10hipError_tT1_T2_PT3_SD_jT4_jjP12ihipStream_tbEUlT_E_NS1_11comp_targetILNS1_3genE9ELNS1_11target_archE1100ELNS1_3gpuE3ELNS1_3repE0EEENS1_52radix_sort_onesweep_histogram_config_static_selectorELNS0_4arch9wavefront6targetE1EEEvSB_, .Lfunc_end533-_ZN7rocprim17ROCPRIM_400000_NS6detail17trampoline_kernelINS0_14default_configENS1_35radix_sort_onesweep_config_selectorIjyEEZNS1_34radix_sort_onesweep_global_offsetsIS3_Lb0EPjPyjNS0_19identity_decomposerEEE10hipError_tT1_T2_PT3_SD_jT4_jjP12ihipStream_tbEUlT_E_NS1_11comp_targetILNS1_3genE9ELNS1_11target_archE1100ELNS1_3gpuE3ELNS1_3repE0EEENS1_52radix_sort_onesweep_histogram_config_static_selectorELNS0_4arch9wavefront6targetE1EEEvSB_
                                        ; -- End function
	.section	.AMDGPU.csdata,"",@progbits
; Kernel info:
; codeLenInByte = 0
; NumSgprs: 4
; NumVgprs: 0
; NumAgprs: 0
; TotalNumVgprs: 0
; ScratchSize: 0
; MemoryBound: 0
; FloatMode: 240
; IeeeMode: 1
; LDSByteSize: 0 bytes/workgroup (compile time only)
; SGPRBlocks: 0
; VGPRBlocks: 0
; NumSGPRsForWavesPerEU: 4
; NumVGPRsForWavesPerEU: 1
; AccumOffset: 4
; Occupancy: 8
; WaveLimiterHint : 0
; COMPUTE_PGM_RSRC2:SCRATCH_EN: 0
; COMPUTE_PGM_RSRC2:USER_SGPR: 6
; COMPUTE_PGM_RSRC2:TRAP_HANDLER: 0
; COMPUTE_PGM_RSRC2:TGID_X_EN: 1
; COMPUTE_PGM_RSRC2:TGID_Y_EN: 0
; COMPUTE_PGM_RSRC2:TGID_Z_EN: 0
; COMPUTE_PGM_RSRC2:TIDIG_COMP_CNT: 0
; COMPUTE_PGM_RSRC3_GFX90A:ACCUM_OFFSET: 0
; COMPUTE_PGM_RSRC3_GFX90A:TG_SPLIT: 0
	.section	.text._ZN7rocprim17ROCPRIM_400000_NS6detail17trampoline_kernelINS0_14default_configENS1_35radix_sort_onesweep_config_selectorIjyEEZNS1_34radix_sort_onesweep_global_offsetsIS3_Lb0EPjPyjNS0_19identity_decomposerEEE10hipError_tT1_T2_PT3_SD_jT4_jjP12ihipStream_tbEUlT_E_NS1_11comp_targetILNS1_3genE8ELNS1_11target_archE1030ELNS1_3gpuE2ELNS1_3repE0EEENS1_52radix_sort_onesweep_histogram_config_static_selectorELNS0_4arch9wavefront6targetE1EEEvSB_,"axG",@progbits,_ZN7rocprim17ROCPRIM_400000_NS6detail17trampoline_kernelINS0_14default_configENS1_35radix_sort_onesweep_config_selectorIjyEEZNS1_34radix_sort_onesweep_global_offsetsIS3_Lb0EPjPyjNS0_19identity_decomposerEEE10hipError_tT1_T2_PT3_SD_jT4_jjP12ihipStream_tbEUlT_E_NS1_11comp_targetILNS1_3genE8ELNS1_11target_archE1030ELNS1_3gpuE2ELNS1_3repE0EEENS1_52radix_sort_onesweep_histogram_config_static_selectorELNS0_4arch9wavefront6targetE1EEEvSB_,comdat
	.protected	_ZN7rocprim17ROCPRIM_400000_NS6detail17trampoline_kernelINS0_14default_configENS1_35radix_sort_onesweep_config_selectorIjyEEZNS1_34radix_sort_onesweep_global_offsetsIS3_Lb0EPjPyjNS0_19identity_decomposerEEE10hipError_tT1_T2_PT3_SD_jT4_jjP12ihipStream_tbEUlT_E_NS1_11comp_targetILNS1_3genE8ELNS1_11target_archE1030ELNS1_3gpuE2ELNS1_3repE0EEENS1_52radix_sort_onesweep_histogram_config_static_selectorELNS0_4arch9wavefront6targetE1EEEvSB_ ; -- Begin function _ZN7rocprim17ROCPRIM_400000_NS6detail17trampoline_kernelINS0_14default_configENS1_35radix_sort_onesweep_config_selectorIjyEEZNS1_34radix_sort_onesweep_global_offsetsIS3_Lb0EPjPyjNS0_19identity_decomposerEEE10hipError_tT1_T2_PT3_SD_jT4_jjP12ihipStream_tbEUlT_E_NS1_11comp_targetILNS1_3genE8ELNS1_11target_archE1030ELNS1_3gpuE2ELNS1_3repE0EEENS1_52radix_sort_onesweep_histogram_config_static_selectorELNS0_4arch9wavefront6targetE1EEEvSB_
	.globl	_ZN7rocprim17ROCPRIM_400000_NS6detail17trampoline_kernelINS0_14default_configENS1_35radix_sort_onesweep_config_selectorIjyEEZNS1_34radix_sort_onesweep_global_offsetsIS3_Lb0EPjPyjNS0_19identity_decomposerEEE10hipError_tT1_T2_PT3_SD_jT4_jjP12ihipStream_tbEUlT_E_NS1_11comp_targetILNS1_3genE8ELNS1_11target_archE1030ELNS1_3gpuE2ELNS1_3repE0EEENS1_52radix_sort_onesweep_histogram_config_static_selectorELNS0_4arch9wavefront6targetE1EEEvSB_
	.p2align	8
	.type	_ZN7rocprim17ROCPRIM_400000_NS6detail17trampoline_kernelINS0_14default_configENS1_35radix_sort_onesweep_config_selectorIjyEEZNS1_34radix_sort_onesweep_global_offsetsIS3_Lb0EPjPyjNS0_19identity_decomposerEEE10hipError_tT1_T2_PT3_SD_jT4_jjP12ihipStream_tbEUlT_E_NS1_11comp_targetILNS1_3genE8ELNS1_11target_archE1030ELNS1_3gpuE2ELNS1_3repE0EEENS1_52radix_sort_onesweep_histogram_config_static_selectorELNS0_4arch9wavefront6targetE1EEEvSB_,@function
_ZN7rocprim17ROCPRIM_400000_NS6detail17trampoline_kernelINS0_14default_configENS1_35radix_sort_onesweep_config_selectorIjyEEZNS1_34radix_sort_onesweep_global_offsetsIS3_Lb0EPjPyjNS0_19identity_decomposerEEE10hipError_tT1_T2_PT3_SD_jT4_jjP12ihipStream_tbEUlT_E_NS1_11comp_targetILNS1_3genE8ELNS1_11target_archE1030ELNS1_3gpuE2ELNS1_3repE0EEENS1_52radix_sort_onesweep_histogram_config_static_selectorELNS0_4arch9wavefront6targetE1EEEvSB_: ; @_ZN7rocprim17ROCPRIM_400000_NS6detail17trampoline_kernelINS0_14default_configENS1_35radix_sort_onesweep_config_selectorIjyEEZNS1_34radix_sort_onesweep_global_offsetsIS3_Lb0EPjPyjNS0_19identity_decomposerEEE10hipError_tT1_T2_PT3_SD_jT4_jjP12ihipStream_tbEUlT_E_NS1_11comp_targetILNS1_3genE8ELNS1_11target_archE1030ELNS1_3gpuE2ELNS1_3repE0EEENS1_52radix_sort_onesweep_histogram_config_static_selectorELNS0_4arch9wavefront6targetE1EEEvSB_
; %bb.0:
	.section	.rodata,"a",@progbits
	.p2align	6, 0x0
	.amdhsa_kernel _ZN7rocprim17ROCPRIM_400000_NS6detail17trampoline_kernelINS0_14default_configENS1_35radix_sort_onesweep_config_selectorIjyEEZNS1_34radix_sort_onesweep_global_offsetsIS3_Lb0EPjPyjNS0_19identity_decomposerEEE10hipError_tT1_T2_PT3_SD_jT4_jjP12ihipStream_tbEUlT_E_NS1_11comp_targetILNS1_3genE8ELNS1_11target_archE1030ELNS1_3gpuE2ELNS1_3repE0EEENS1_52radix_sort_onesweep_histogram_config_static_selectorELNS0_4arch9wavefront6targetE1EEEvSB_
		.amdhsa_group_segment_fixed_size 0
		.amdhsa_private_segment_fixed_size 0
		.amdhsa_kernarg_size 40
		.amdhsa_user_sgpr_count 6
		.amdhsa_user_sgpr_private_segment_buffer 1
		.amdhsa_user_sgpr_dispatch_ptr 0
		.amdhsa_user_sgpr_queue_ptr 0
		.amdhsa_user_sgpr_kernarg_segment_ptr 1
		.amdhsa_user_sgpr_dispatch_id 0
		.amdhsa_user_sgpr_flat_scratch_init 0
		.amdhsa_user_sgpr_kernarg_preload_length 0
		.amdhsa_user_sgpr_kernarg_preload_offset 0
		.amdhsa_user_sgpr_private_segment_size 0
		.amdhsa_uses_dynamic_stack 0
		.amdhsa_system_sgpr_private_segment_wavefront_offset 0
		.amdhsa_system_sgpr_workgroup_id_x 1
		.amdhsa_system_sgpr_workgroup_id_y 0
		.amdhsa_system_sgpr_workgroup_id_z 0
		.amdhsa_system_sgpr_workgroup_info 0
		.amdhsa_system_vgpr_workitem_id 0
		.amdhsa_next_free_vgpr 1
		.amdhsa_next_free_sgpr 0
		.amdhsa_accum_offset 4
		.amdhsa_reserve_vcc 0
		.amdhsa_reserve_flat_scratch 0
		.amdhsa_float_round_mode_32 0
		.amdhsa_float_round_mode_16_64 0
		.amdhsa_float_denorm_mode_32 3
		.amdhsa_float_denorm_mode_16_64 3
		.amdhsa_dx10_clamp 1
		.amdhsa_ieee_mode 1
		.amdhsa_fp16_overflow 0
		.amdhsa_tg_split 0
		.amdhsa_exception_fp_ieee_invalid_op 0
		.amdhsa_exception_fp_denorm_src 0
		.amdhsa_exception_fp_ieee_div_zero 0
		.amdhsa_exception_fp_ieee_overflow 0
		.amdhsa_exception_fp_ieee_underflow 0
		.amdhsa_exception_fp_ieee_inexact 0
		.amdhsa_exception_int_div_zero 0
	.end_amdhsa_kernel
	.section	.text._ZN7rocprim17ROCPRIM_400000_NS6detail17trampoline_kernelINS0_14default_configENS1_35radix_sort_onesweep_config_selectorIjyEEZNS1_34radix_sort_onesweep_global_offsetsIS3_Lb0EPjPyjNS0_19identity_decomposerEEE10hipError_tT1_T2_PT3_SD_jT4_jjP12ihipStream_tbEUlT_E_NS1_11comp_targetILNS1_3genE8ELNS1_11target_archE1030ELNS1_3gpuE2ELNS1_3repE0EEENS1_52radix_sort_onesweep_histogram_config_static_selectorELNS0_4arch9wavefront6targetE1EEEvSB_,"axG",@progbits,_ZN7rocprim17ROCPRIM_400000_NS6detail17trampoline_kernelINS0_14default_configENS1_35radix_sort_onesweep_config_selectorIjyEEZNS1_34radix_sort_onesweep_global_offsetsIS3_Lb0EPjPyjNS0_19identity_decomposerEEE10hipError_tT1_T2_PT3_SD_jT4_jjP12ihipStream_tbEUlT_E_NS1_11comp_targetILNS1_3genE8ELNS1_11target_archE1030ELNS1_3gpuE2ELNS1_3repE0EEENS1_52radix_sort_onesweep_histogram_config_static_selectorELNS0_4arch9wavefront6targetE1EEEvSB_,comdat
.Lfunc_end534:
	.size	_ZN7rocprim17ROCPRIM_400000_NS6detail17trampoline_kernelINS0_14default_configENS1_35radix_sort_onesweep_config_selectorIjyEEZNS1_34radix_sort_onesweep_global_offsetsIS3_Lb0EPjPyjNS0_19identity_decomposerEEE10hipError_tT1_T2_PT3_SD_jT4_jjP12ihipStream_tbEUlT_E_NS1_11comp_targetILNS1_3genE8ELNS1_11target_archE1030ELNS1_3gpuE2ELNS1_3repE0EEENS1_52radix_sort_onesweep_histogram_config_static_selectorELNS0_4arch9wavefront6targetE1EEEvSB_, .Lfunc_end534-_ZN7rocprim17ROCPRIM_400000_NS6detail17trampoline_kernelINS0_14default_configENS1_35radix_sort_onesweep_config_selectorIjyEEZNS1_34radix_sort_onesweep_global_offsetsIS3_Lb0EPjPyjNS0_19identity_decomposerEEE10hipError_tT1_T2_PT3_SD_jT4_jjP12ihipStream_tbEUlT_E_NS1_11comp_targetILNS1_3genE8ELNS1_11target_archE1030ELNS1_3gpuE2ELNS1_3repE0EEENS1_52radix_sort_onesweep_histogram_config_static_selectorELNS0_4arch9wavefront6targetE1EEEvSB_
                                        ; -- End function
	.section	.AMDGPU.csdata,"",@progbits
; Kernel info:
; codeLenInByte = 0
; NumSgprs: 4
; NumVgprs: 0
; NumAgprs: 0
; TotalNumVgprs: 0
; ScratchSize: 0
; MemoryBound: 0
; FloatMode: 240
; IeeeMode: 1
; LDSByteSize: 0 bytes/workgroup (compile time only)
; SGPRBlocks: 0
; VGPRBlocks: 0
; NumSGPRsForWavesPerEU: 4
; NumVGPRsForWavesPerEU: 1
; AccumOffset: 4
; Occupancy: 8
; WaveLimiterHint : 0
; COMPUTE_PGM_RSRC2:SCRATCH_EN: 0
; COMPUTE_PGM_RSRC2:USER_SGPR: 6
; COMPUTE_PGM_RSRC2:TRAP_HANDLER: 0
; COMPUTE_PGM_RSRC2:TGID_X_EN: 1
; COMPUTE_PGM_RSRC2:TGID_Y_EN: 0
; COMPUTE_PGM_RSRC2:TGID_Z_EN: 0
; COMPUTE_PGM_RSRC2:TIDIG_COMP_CNT: 0
; COMPUTE_PGM_RSRC3_GFX90A:ACCUM_OFFSET: 0
; COMPUTE_PGM_RSRC3_GFX90A:TG_SPLIT: 0
	.section	.text._ZN7rocprim17ROCPRIM_400000_NS6detail17trampoline_kernelINS0_14default_configENS1_35radix_sort_onesweep_config_selectorIjyEEZNS1_34radix_sort_onesweep_global_offsetsIS3_Lb0EPjPyjNS0_19identity_decomposerEEE10hipError_tT1_T2_PT3_SD_jT4_jjP12ihipStream_tbEUlT_E0_NS1_11comp_targetILNS1_3genE0ELNS1_11target_archE4294967295ELNS1_3gpuE0ELNS1_3repE0EEENS1_52radix_sort_onesweep_histogram_config_static_selectorELNS0_4arch9wavefront6targetE1EEEvSB_,"axG",@progbits,_ZN7rocprim17ROCPRIM_400000_NS6detail17trampoline_kernelINS0_14default_configENS1_35radix_sort_onesweep_config_selectorIjyEEZNS1_34radix_sort_onesweep_global_offsetsIS3_Lb0EPjPyjNS0_19identity_decomposerEEE10hipError_tT1_T2_PT3_SD_jT4_jjP12ihipStream_tbEUlT_E0_NS1_11comp_targetILNS1_3genE0ELNS1_11target_archE4294967295ELNS1_3gpuE0ELNS1_3repE0EEENS1_52radix_sort_onesweep_histogram_config_static_selectorELNS0_4arch9wavefront6targetE1EEEvSB_,comdat
	.protected	_ZN7rocprim17ROCPRIM_400000_NS6detail17trampoline_kernelINS0_14default_configENS1_35radix_sort_onesweep_config_selectorIjyEEZNS1_34radix_sort_onesweep_global_offsetsIS3_Lb0EPjPyjNS0_19identity_decomposerEEE10hipError_tT1_T2_PT3_SD_jT4_jjP12ihipStream_tbEUlT_E0_NS1_11comp_targetILNS1_3genE0ELNS1_11target_archE4294967295ELNS1_3gpuE0ELNS1_3repE0EEENS1_52radix_sort_onesweep_histogram_config_static_selectorELNS0_4arch9wavefront6targetE1EEEvSB_ ; -- Begin function _ZN7rocprim17ROCPRIM_400000_NS6detail17trampoline_kernelINS0_14default_configENS1_35radix_sort_onesweep_config_selectorIjyEEZNS1_34radix_sort_onesweep_global_offsetsIS3_Lb0EPjPyjNS0_19identity_decomposerEEE10hipError_tT1_T2_PT3_SD_jT4_jjP12ihipStream_tbEUlT_E0_NS1_11comp_targetILNS1_3genE0ELNS1_11target_archE4294967295ELNS1_3gpuE0ELNS1_3repE0EEENS1_52radix_sort_onesweep_histogram_config_static_selectorELNS0_4arch9wavefront6targetE1EEEvSB_
	.globl	_ZN7rocprim17ROCPRIM_400000_NS6detail17trampoline_kernelINS0_14default_configENS1_35radix_sort_onesweep_config_selectorIjyEEZNS1_34radix_sort_onesweep_global_offsetsIS3_Lb0EPjPyjNS0_19identity_decomposerEEE10hipError_tT1_T2_PT3_SD_jT4_jjP12ihipStream_tbEUlT_E0_NS1_11comp_targetILNS1_3genE0ELNS1_11target_archE4294967295ELNS1_3gpuE0ELNS1_3repE0EEENS1_52radix_sort_onesweep_histogram_config_static_selectorELNS0_4arch9wavefront6targetE1EEEvSB_
	.p2align	8
	.type	_ZN7rocprim17ROCPRIM_400000_NS6detail17trampoline_kernelINS0_14default_configENS1_35radix_sort_onesweep_config_selectorIjyEEZNS1_34radix_sort_onesweep_global_offsetsIS3_Lb0EPjPyjNS0_19identity_decomposerEEE10hipError_tT1_T2_PT3_SD_jT4_jjP12ihipStream_tbEUlT_E0_NS1_11comp_targetILNS1_3genE0ELNS1_11target_archE4294967295ELNS1_3gpuE0ELNS1_3repE0EEENS1_52radix_sort_onesweep_histogram_config_static_selectorELNS0_4arch9wavefront6targetE1EEEvSB_,@function
_ZN7rocprim17ROCPRIM_400000_NS6detail17trampoline_kernelINS0_14default_configENS1_35radix_sort_onesweep_config_selectorIjyEEZNS1_34radix_sort_onesweep_global_offsetsIS3_Lb0EPjPyjNS0_19identity_decomposerEEE10hipError_tT1_T2_PT3_SD_jT4_jjP12ihipStream_tbEUlT_E0_NS1_11comp_targetILNS1_3genE0ELNS1_11target_archE4294967295ELNS1_3gpuE0ELNS1_3repE0EEENS1_52radix_sort_onesweep_histogram_config_static_selectorELNS0_4arch9wavefront6targetE1EEEvSB_: ; @_ZN7rocprim17ROCPRIM_400000_NS6detail17trampoline_kernelINS0_14default_configENS1_35radix_sort_onesweep_config_selectorIjyEEZNS1_34radix_sort_onesweep_global_offsetsIS3_Lb0EPjPyjNS0_19identity_decomposerEEE10hipError_tT1_T2_PT3_SD_jT4_jjP12ihipStream_tbEUlT_E0_NS1_11comp_targetILNS1_3genE0ELNS1_11target_archE4294967295ELNS1_3gpuE0ELNS1_3repE0EEENS1_52radix_sort_onesweep_histogram_config_static_selectorELNS0_4arch9wavefront6targetE1EEEvSB_
; %bb.0:
	.section	.rodata,"a",@progbits
	.p2align	6, 0x0
	.amdhsa_kernel _ZN7rocprim17ROCPRIM_400000_NS6detail17trampoline_kernelINS0_14default_configENS1_35radix_sort_onesweep_config_selectorIjyEEZNS1_34radix_sort_onesweep_global_offsetsIS3_Lb0EPjPyjNS0_19identity_decomposerEEE10hipError_tT1_T2_PT3_SD_jT4_jjP12ihipStream_tbEUlT_E0_NS1_11comp_targetILNS1_3genE0ELNS1_11target_archE4294967295ELNS1_3gpuE0ELNS1_3repE0EEENS1_52radix_sort_onesweep_histogram_config_static_selectorELNS0_4arch9wavefront6targetE1EEEvSB_
		.amdhsa_group_segment_fixed_size 0
		.amdhsa_private_segment_fixed_size 0
		.amdhsa_kernarg_size 8
		.amdhsa_user_sgpr_count 6
		.amdhsa_user_sgpr_private_segment_buffer 1
		.amdhsa_user_sgpr_dispatch_ptr 0
		.amdhsa_user_sgpr_queue_ptr 0
		.amdhsa_user_sgpr_kernarg_segment_ptr 1
		.amdhsa_user_sgpr_dispatch_id 0
		.amdhsa_user_sgpr_flat_scratch_init 0
		.amdhsa_user_sgpr_kernarg_preload_length 0
		.amdhsa_user_sgpr_kernarg_preload_offset 0
		.amdhsa_user_sgpr_private_segment_size 0
		.amdhsa_uses_dynamic_stack 0
		.amdhsa_system_sgpr_private_segment_wavefront_offset 0
		.amdhsa_system_sgpr_workgroup_id_x 1
		.amdhsa_system_sgpr_workgroup_id_y 0
		.amdhsa_system_sgpr_workgroup_id_z 0
		.amdhsa_system_sgpr_workgroup_info 0
		.amdhsa_system_vgpr_workitem_id 0
		.amdhsa_next_free_vgpr 1
		.amdhsa_next_free_sgpr 0
		.amdhsa_accum_offset 4
		.amdhsa_reserve_vcc 0
		.amdhsa_reserve_flat_scratch 0
		.amdhsa_float_round_mode_32 0
		.amdhsa_float_round_mode_16_64 0
		.amdhsa_float_denorm_mode_32 3
		.amdhsa_float_denorm_mode_16_64 3
		.amdhsa_dx10_clamp 1
		.amdhsa_ieee_mode 1
		.amdhsa_fp16_overflow 0
		.amdhsa_tg_split 0
		.amdhsa_exception_fp_ieee_invalid_op 0
		.amdhsa_exception_fp_denorm_src 0
		.amdhsa_exception_fp_ieee_div_zero 0
		.amdhsa_exception_fp_ieee_overflow 0
		.amdhsa_exception_fp_ieee_underflow 0
		.amdhsa_exception_fp_ieee_inexact 0
		.amdhsa_exception_int_div_zero 0
	.end_amdhsa_kernel
	.section	.text._ZN7rocprim17ROCPRIM_400000_NS6detail17trampoline_kernelINS0_14default_configENS1_35radix_sort_onesweep_config_selectorIjyEEZNS1_34radix_sort_onesweep_global_offsetsIS3_Lb0EPjPyjNS0_19identity_decomposerEEE10hipError_tT1_T2_PT3_SD_jT4_jjP12ihipStream_tbEUlT_E0_NS1_11comp_targetILNS1_3genE0ELNS1_11target_archE4294967295ELNS1_3gpuE0ELNS1_3repE0EEENS1_52radix_sort_onesweep_histogram_config_static_selectorELNS0_4arch9wavefront6targetE1EEEvSB_,"axG",@progbits,_ZN7rocprim17ROCPRIM_400000_NS6detail17trampoline_kernelINS0_14default_configENS1_35radix_sort_onesweep_config_selectorIjyEEZNS1_34radix_sort_onesweep_global_offsetsIS3_Lb0EPjPyjNS0_19identity_decomposerEEE10hipError_tT1_T2_PT3_SD_jT4_jjP12ihipStream_tbEUlT_E0_NS1_11comp_targetILNS1_3genE0ELNS1_11target_archE4294967295ELNS1_3gpuE0ELNS1_3repE0EEENS1_52radix_sort_onesweep_histogram_config_static_selectorELNS0_4arch9wavefront6targetE1EEEvSB_,comdat
.Lfunc_end535:
	.size	_ZN7rocprim17ROCPRIM_400000_NS6detail17trampoline_kernelINS0_14default_configENS1_35radix_sort_onesweep_config_selectorIjyEEZNS1_34radix_sort_onesweep_global_offsetsIS3_Lb0EPjPyjNS0_19identity_decomposerEEE10hipError_tT1_T2_PT3_SD_jT4_jjP12ihipStream_tbEUlT_E0_NS1_11comp_targetILNS1_3genE0ELNS1_11target_archE4294967295ELNS1_3gpuE0ELNS1_3repE0EEENS1_52radix_sort_onesweep_histogram_config_static_selectorELNS0_4arch9wavefront6targetE1EEEvSB_, .Lfunc_end535-_ZN7rocprim17ROCPRIM_400000_NS6detail17trampoline_kernelINS0_14default_configENS1_35radix_sort_onesweep_config_selectorIjyEEZNS1_34radix_sort_onesweep_global_offsetsIS3_Lb0EPjPyjNS0_19identity_decomposerEEE10hipError_tT1_T2_PT3_SD_jT4_jjP12ihipStream_tbEUlT_E0_NS1_11comp_targetILNS1_3genE0ELNS1_11target_archE4294967295ELNS1_3gpuE0ELNS1_3repE0EEENS1_52radix_sort_onesweep_histogram_config_static_selectorELNS0_4arch9wavefront6targetE1EEEvSB_
                                        ; -- End function
	.section	.AMDGPU.csdata,"",@progbits
; Kernel info:
; codeLenInByte = 0
; NumSgprs: 4
; NumVgprs: 0
; NumAgprs: 0
; TotalNumVgprs: 0
; ScratchSize: 0
; MemoryBound: 0
; FloatMode: 240
; IeeeMode: 1
; LDSByteSize: 0 bytes/workgroup (compile time only)
; SGPRBlocks: 0
; VGPRBlocks: 0
; NumSGPRsForWavesPerEU: 4
; NumVGPRsForWavesPerEU: 1
; AccumOffset: 4
; Occupancy: 8
; WaveLimiterHint : 0
; COMPUTE_PGM_RSRC2:SCRATCH_EN: 0
; COMPUTE_PGM_RSRC2:USER_SGPR: 6
; COMPUTE_PGM_RSRC2:TRAP_HANDLER: 0
; COMPUTE_PGM_RSRC2:TGID_X_EN: 1
; COMPUTE_PGM_RSRC2:TGID_Y_EN: 0
; COMPUTE_PGM_RSRC2:TGID_Z_EN: 0
; COMPUTE_PGM_RSRC2:TIDIG_COMP_CNT: 0
; COMPUTE_PGM_RSRC3_GFX90A:ACCUM_OFFSET: 0
; COMPUTE_PGM_RSRC3_GFX90A:TG_SPLIT: 0
	.section	.text._ZN7rocprim17ROCPRIM_400000_NS6detail17trampoline_kernelINS0_14default_configENS1_35radix_sort_onesweep_config_selectorIjyEEZNS1_34radix_sort_onesweep_global_offsetsIS3_Lb0EPjPyjNS0_19identity_decomposerEEE10hipError_tT1_T2_PT3_SD_jT4_jjP12ihipStream_tbEUlT_E0_NS1_11comp_targetILNS1_3genE6ELNS1_11target_archE950ELNS1_3gpuE13ELNS1_3repE0EEENS1_52radix_sort_onesweep_histogram_config_static_selectorELNS0_4arch9wavefront6targetE1EEEvSB_,"axG",@progbits,_ZN7rocprim17ROCPRIM_400000_NS6detail17trampoline_kernelINS0_14default_configENS1_35radix_sort_onesweep_config_selectorIjyEEZNS1_34radix_sort_onesweep_global_offsetsIS3_Lb0EPjPyjNS0_19identity_decomposerEEE10hipError_tT1_T2_PT3_SD_jT4_jjP12ihipStream_tbEUlT_E0_NS1_11comp_targetILNS1_3genE6ELNS1_11target_archE950ELNS1_3gpuE13ELNS1_3repE0EEENS1_52radix_sort_onesweep_histogram_config_static_selectorELNS0_4arch9wavefront6targetE1EEEvSB_,comdat
	.protected	_ZN7rocprim17ROCPRIM_400000_NS6detail17trampoline_kernelINS0_14default_configENS1_35radix_sort_onesweep_config_selectorIjyEEZNS1_34radix_sort_onesweep_global_offsetsIS3_Lb0EPjPyjNS0_19identity_decomposerEEE10hipError_tT1_T2_PT3_SD_jT4_jjP12ihipStream_tbEUlT_E0_NS1_11comp_targetILNS1_3genE6ELNS1_11target_archE950ELNS1_3gpuE13ELNS1_3repE0EEENS1_52radix_sort_onesweep_histogram_config_static_selectorELNS0_4arch9wavefront6targetE1EEEvSB_ ; -- Begin function _ZN7rocprim17ROCPRIM_400000_NS6detail17trampoline_kernelINS0_14default_configENS1_35radix_sort_onesweep_config_selectorIjyEEZNS1_34radix_sort_onesweep_global_offsetsIS3_Lb0EPjPyjNS0_19identity_decomposerEEE10hipError_tT1_T2_PT3_SD_jT4_jjP12ihipStream_tbEUlT_E0_NS1_11comp_targetILNS1_3genE6ELNS1_11target_archE950ELNS1_3gpuE13ELNS1_3repE0EEENS1_52radix_sort_onesweep_histogram_config_static_selectorELNS0_4arch9wavefront6targetE1EEEvSB_
	.globl	_ZN7rocprim17ROCPRIM_400000_NS6detail17trampoline_kernelINS0_14default_configENS1_35radix_sort_onesweep_config_selectorIjyEEZNS1_34radix_sort_onesweep_global_offsetsIS3_Lb0EPjPyjNS0_19identity_decomposerEEE10hipError_tT1_T2_PT3_SD_jT4_jjP12ihipStream_tbEUlT_E0_NS1_11comp_targetILNS1_3genE6ELNS1_11target_archE950ELNS1_3gpuE13ELNS1_3repE0EEENS1_52radix_sort_onesweep_histogram_config_static_selectorELNS0_4arch9wavefront6targetE1EEEvSB_
	.p2align	8
	.type	_ZN7rocprim17ROCPRIM_400000_NS6detail17trampoline_kernelINS0_14default_configENS1_35radix_sort_onesweep_config_selectorIjyEEZNS1_34radix_sort_onesweep_global_offsetsIS3_Lb0EPjPyjNS0_19identity_decomposerEEE10hipError_tT1_T2_PT3_SD_jT4_jjP12ihipStream_tbEUlT_E0_NS1_11comp_targetILNS1_3genE6ELNS1_11target_archE950ELNS1_3gpuE13ELNS1_3repE0EEENS1_52radix_sort_onesweep_histogram_config_static_selectorELNS0_4arch9wavefront6targetE1EEEvSB_,@function
_ZN7rocprim17ROCPRIM_400000_NS6detail17trampoline_kernelINS0_14default_configENS1_35radix_sort_onesweep_config_selectorIjyEEZNS1_34radix_sort_onesweep_global_offsetsIS3_Lb0EPjPyjNS0_19identity_decomposerEEE10hipError_tT1_T2_PT3_SD_jT4_jjP12ihipStream_tbEUlT_E0_NS1_11comp_targetILNS1_3genE6ELNS1_11target_archE950ELNS1_3gpuE13ELNS1_3repE0EEENS1_52radix_sort_onesweep_histogram_config_static_selectorELNS0_4arch9wavefront6targetE1EEEvSB_: ; @_ZN7rocprim17ROCPRIM_400000_NS6detail17trampoline_kernelINS0_14default_configENS1_35radix_sort_onesweep_config_selectorIjyEEZNS1_34radix_sort_onesweep_global_offsetsIS3_Lb0EPjPyjNS0_19identity_decomposerEEE10hipError_tT1_T2_PT3_SD_jT4_jjP12ihipStream_tbEUlT_E0_NS1_11comp_targetILNS1_3genE6ELNS1_11target_archE950ELNS1_3gpuE13ELNS1_3repE0EEENS1_52radix_sort_onesweep_histogram_config_static_selectorELNS0_4arch9wavefront6targetE1EEEvSB_
; %bb.0:
	.section	.rodata,"a",@progbits
	.p2align	6, 0x0
	.amdhsa_kernel _ZN7rocprim17ROCPRIM_400000_NS6detail17trampoline_kernelINS0_14default_configENS1_35radix_sort_onesweep_config_selectorIjyEEZNS1_34radix_sort_onesweep_global_offsetsIS3_Lb0EPjPyjNS0_19identity_decomposerEEE10hipError_tT1_T2_PT3_SD_jT4_jjP12ihipStream_tbEUlT_E0_NS1_11comp_targetILNS1_3genE6ELNS1_11target_archE950ELNS1_3gpuE13ELNS1_3repE0EEENS1_52radix_sort_onesweep_histogram_config_static_selectorELNS0_4arch9wavefront6targetE1EEEvSB_
		.amdhsa_group_segment_fixed_size 0
		.amdhsa_private_segment_fixed_size 0
		.amdhsa_kernarg_size 8
		.amdhsa_user_sgpr_count 6
		.amdhsa_user_sgpr_private_segment_buffer 1
		.amdhsa_user_sgpr_dispatch_ptr 0
		.amdhsa_user_sgpr_queue_ptr 0
		.amdhsa_user_sgpr_kernarg_segment_ptr 1
		.amdhsa_user_sgpr_dispatch_id 0
		.amdhsa_user_sgpr_flat_scratch_init 0
		.amdhsa_user_sgpr_kernarg_preload_length 0
		.amdhsa_user_sgpr_kernarg_preload_offset 0
		.amdhsa_user_sgpr_private_segment_size 0
		.amdhsa_uses_dynamic_stack 0
		.amdhsa_system_sgpr_private_segment_wavefront_offset 0
		.amdhsa_system_sgpr_workgroup_id_x 1
		.amdhsa_system_sgpr_workgroup_id_y 0
		.amdhsa_system_sgpr_workgroup_id_z 0
		.amdhsa_system_sgpr_workgroup_info 0
		.amdhsa_system_vgpr_workitem_id 0
		.amdhsa_next_free_vgpr 1
		.amdhsa_next_free_sgpr 0
		.amdhsa_accum_offset 4
		.amdhsa_reserve_vcc 0
		.amdhsa_reserve_flat_scratch 0
		.amdhsa_float_round_mode_32 0
		.amdhsa_float_round_mode_16_64 0
		.amdhsa_float_denorm_mode_32 3
		.amdhsa_float_denorm_mode_16_64 3
		.amdhsa_dx10_clamp 1
		.amdhsa_ieee_mode 1
		.amdhsa_fp16_overflow 0
		.amdhsa_tg_split 0
		.amdhsa_exception_fp_ieee_invalid_op 0
		.amdhsa_exception_fp_denorm_src 0
		.amdhsa_exception_fp_ieee_div_zero 0
		.amdhsa_exception_fp_ieee_overflow 0
		.amdhsa_exception_fp_ieee_underflow 0
		.amdhsa_exception_fp_ieee_inexact 0
		.amdhsa_exception_int_div_zero 0
	.end_amdhsa_kernel
	.section	.text._ZN7rocprim17ROCPRIM_400000_NS6detail17trampoline_kernelINS0_14default_configENS1_35radix_sort_onesweep_config_selectorIjyEEZNS1_34radix_sort_onesweep_global_offsetsIS3_Lb0EPjPyjNS0_19identity_decomposerEEE10hipError_tT1_T2_PT3_SD_jT4_jjP12ihipStream_tbEUlT_E0_NS1_11comp_targetILNS1_3genE6ELNS1_11target_archE950ELNS1_3gpuE13ELNS1_3repE0EEENS1_52radix_sort_onesweep_histogram_config_static_selectorELNS0_4arch9wavefront6targetE1EEEvSB_,"axG",@progbits,_ZN7rocprim17ROCPRIM_400000_NS6detail17trampoline_kernelINS0_14default_configENS1_35radix_sort_onesweep_config_selectorIjyEEZNS1_34radix_sort_onesweep_global_offsetsIS3_Lb0EPjPyjNS0_19identity_decomposerEEE10hipError_tT1_T2_PT3_SD_jT4_jjP12ihipStream_tbEUlT_E0_NS1_11comp_targetILNS1_3genE6ELNS1_11target_archE950ELNS1_3gpuE13ELNS1_3repE0EEENS1_52radix_sort_onesweep_histogram_config_static_selectorELNS0_4arch9wavefront6targetE1EEEvSB_,comdat
.Lfunc_end536:
	.size	_ZN7rocprim17ROCPRIM_400000_NS6detail17trampoline_kernelINS0_14default_configENS1_35radix_sort_onesweep_config_selectorIjyEEZNS1_34radix_sort_onesweep_global_offsetsIS3_Lb0EPjPyjNS0_19identity_decomposerEEE10hipError_tT1_T2_PT3_SD_jT4_jjP12ihipStream_tbEUlT_E0_NS1_11comp_targetILNS1_3genE6ELNS1_11target_archE950ELNS1_3gpuE13ELNS1_3repE0EEENS1_52radix_sort_onesweep_histogram_config_static_selectorELNS0_4arch9wavefront6targetE1EEEvSB_, .Lfunc_end536-_ZN7rocprim17ROCPRIM_400000_NS6detail17trampoline_kernelINS0_14default_configENS1_35radix_sort_onesweep_config_selectorIjyEEZNS1_34radix_sort_onesweep_global_offsetsIS3_Lb0EPjPyjNS0_19identity_decomposerEEE10hipError_tT1_T2_PT3_SD_jT4_jjP12ihipStream_tbEUlT_E0_NS1_11comp_targetILNS1_3genE6ELNS1_11target_archE950ELNS1_3gpuE13ELNS1_3repE0EEENS1_52radix_sort_onesweep_histogram_config_static_selectorELNS0_4arch9wavefront6targetE1EEEvSB_
                                        ; -- End function
	.section	.AMDGPU.csdata,"",@progbits
; Kernel info:
; codeLenInByte = 0
; NumSgprs: 4
; NumVgprs: 0
; NumAgprs: 0
; TotalNumVgprs: 0
; ScratchSize: 0
; MemoryBound: 0
; FloatMode: 240
; IeeeMode: 1
; LDSByteSize: 0 bytes/workgroup (compile time only)
; SGPRBlocks: 0
; VGPRBlocks: 0
; NumSGPRsForWavesPerEU: 4
; NumVGPRsForWavesPerEU: 1
; AccumOffset: 4
; Occupancy: 8
; WaveLimiterHint : 0
; COMPUTE_PGM_RSRC2:SCRATCH_EN: 0
; COMPUTE_PGM_RSRC2:USER_SGPR: 6
; COMPUTE_PGM_RSRC2:TRAP_HANDLER: 0
; COMPUTE_PGM_RSRC2:TGID_X_EN: 1
; COMPUTE_PGM_RSRC2:TGID_Y_EN: 0
; COMPUTE_PGM_RSRC2:TGID_Z_EN: 0
; COMPUTE_PGM_RSRC2:TIDIG_COMP_CNT: 0
; COMPUTE_PGM_RSRC3_GFX90A:ACCUM_OFFSET: 0
; COMPUTE_PGM_RSRC3_GFX90A:TG_SPLIT: 0
	.section	.text._ZN7rocprim17ROCPRIM_400000_NS6detail17trampoline_kernelINS0_14default_configENS1_35radix_sort_onesweep_config_selectorIjyEEZNS1_34radix_sort_onesweep_global_offsetsIS3_Lb0EPjPyjNS0_19identity_decomposerEEE10hipError_tT1_T2_PT3_SD_jT4_jjP12ihipStream_tbEUlT_E0_NS1_11comp_targetILNS1_3genE5ELNS1_11target_archE942ELNS1_3gpuE9ELNS1_3repE0EEENS1_52radix_sort_onesweep_histogram_config_static_selectorELNS0_4arch9wavefront6targetE1EEEvSB_,"axG",@progbits,_ZN7rocprim17ROCPRIM_400000_NS6detail17trampoline_kernelINS0_14default_configENS1_35radix_sort_onesweep_config_selectorIjyEEZNS1_34radix_sort_onesweep_global_offsetsIS3_Lb0EPjPyjNS0_19identity_decomposerEEE10hipError_tT1_T2_PT3_SD_jT4_jjP12ihipStream_tbEUlT_E0_NS1_11comp_targetILNS1_3genE5ELNS1_11target_archE942ELNS1_3gpuE9ELNS1_3repE0EEENS1_52radix_sort_onesweep_histogram_config_static_selectorELNS0_4arch9wavefront6targetE1EEEvSB_,comdat
	.protected	_ZN7rocprim17ROCPRIM_400000_NS6detail17trampoline_kernelINS0_14default_configENS1_35radix_sort_onesweep_config_selectorIjyEEZNS1_34radix_sort_onesweep_global_offsetsIS3_Lb0EPjPyjNS0_19identity_decomposerEEE10hipError_tT1_T2_PT3_SD_jT4_jjP12ihipStream_tbEUlT_E0_NS1_11comp_targetILNS1_3genE5ELNS1_11target_archE942ELNS1_3gpuE9ELNS1_3repE0EEENS1_52radix_sort_onesweep_histogram_config_static_selectorELNS0_4arch9wavefront6targetE1EEEvSB_ ; -- Begin function _ZN7rocprim17ROCPRIM_400000_NS6detail17trampoline_kernelINS0_14default_configENS1_35radix_sort_onesweep_config_selectorIjyEEZNS1_34radix_sort_onesweep_global_offsetsIS3_Lb0EPjPyjNS0_19identity_decomposerEEE10hipError_tT1_T2_PT3_SD_jT4_jjP12ihipStream_tbEUlT_E0_NS1_11comp_targetILNS1_3genE5ELNS1_11target_archE942ELNS1_3gpuE9ELNS1_3repE0EEENS1_52radix_sort_onesweep_histogram_config_static_selectorELNS0_4arch9wavefront6targetE1EEEvSB_
	.globl	_ZN7rocprim17ROCPRIM_400000_NS6detail17trampoline_kernelINS0_14default_configENS1_35radix_sort_onesweep_config_selectorIjyEEZNS1_34radix_sort_onesweep_global_offsetsIS3_Lb0EPjPyjNS0_19identity_decomposerEEE10hipError_tT1_T2_PT3_SD_jT4_jjP12ihipStream_tbEUlT_E0_NS1_11comp_targetILNS1_3genE5ELNS1_11target_archE942ELNS1_3gpuE9ELNS1_3repE0EEENS1_52radix_sort_onesweep_histogram_config_static_selectorELNS0_4arch9wavefront6targetE1EEEvSB_
	.p2align	8
	.type	_ZN7rocprim17ROCPRIM_400000_NS6detail17trampoline_kernelINS0_14default_configENS1_35radix_sort_onesweep_config_selectorIjyEEZNS1_34radix_sort_onesweep_global_offsetsIS3_Lb0EPjPyjNS0_19identity_decomposerEEE10hipError_tT1_T2_PT3_SD_jT4_jjP12ihipStream_tbEUlT_E0_NS1_11comp_targetILNS1_3genE5ELNS1_11target_archE942ELNS1_3gpuE9ELNS1_3repE0EEENS1_52radix_sort_onesweep_histogram_config_static_selectorELNS0_4arch9wavefront6targetE1EEEvSB_,@function
_ZN7rocprim17ROCPRIM_400000_NS6detail17trampoline_kernelINS0_14default_configENS1_35radix_sort_onesweep_config_selectorIjyEEZNS1_34radix_sort_onesweep_global_offsetsIS3_Lb0EPjPyjNS0_19identity_decomposerEEE10hipError_tT1_T2_PT3_SD_jT4_jjP12ihipStream_tbEUlT_E0_NS1_11comp_targetILNS1_3genE5ELNS1_11target_archE942ELNS1_3gpuE9ELNS1_3repE0EEENS1_52radix_sort_onesweep_histogram_config_static_selectorELNS0_4arch9wavefront6targetE1EEEvSB_: ; @_ZN7rocprim17ROCPRIM_400000_NS6detail17trampoline_kernelINS0_14default_configENS1_35radix_sort_onesweep_config_selectorIjyEEZNS1_34radix_sort_onesweep_global_offsetsIS3_Lb0EPjPyjNS0_19identity_decomposerEEE10hipError_tT1_T2_PT3_SD_jT4_jjP12ihipStream_tbEUlT_E0_NS1_11comp_targetILNS1_3genE5ELNS1_11target_archE942ELNS1_3gpuE9ELNS1_3repE0EEENS1_52radix_sort_onesweep_histogram_config_static_selectorELNS0_4arch9wavefront6targetE1EEEvSB_
; %bb.0:
	.section	.rodata,"a",@progbits
	.p2align	6, 0x0
	.amdhsa_kernel _ZN7rocprim17ROCPRIM_400000_NS6detail17trampoline_kernelINS0_14default_configENS1_35radix_sort_onesweep_config_selectorIjyEEZNS1_34radix_sort_onesweep_global_offsetsIS3_Lb0EPjPyjNS0_19identity_decomposerEEE10hipError_tT1_T2_PT3_SD_jT4_jjP12ihipStream_tbEUlT_E0_NS1_11comp_targetILNS1_3genE5ELNS1_11target_archE942ELNS1_3gpuE9ELNS1_3repE0EEENS1_52radix_sort_onesweep_histogram_config_static_selectorELNS0_4arch9wavefront6targetE1EEEvSB_
		.amdhsa_group_segment_fixed_size 0
		.amdhsa_private_segment_fixed_size 0
		.amdhsa_kernarg_size 8
		.amdhsa_user_sgpr_count 6
		.amdhsa_user_sgpr_private_segment_buffer 1
		.amdhsa_user_sgpr_dispatch_ptr 0
		.amdhsa_user_sgpr_queue_ptr 0
		.amdhsa_user_sgpr_kernarg_segment_ptr 1
		.amdhsa_user_sgpr_dispatch_id 0
		.amdhsa_user_sgpr_flat_scratch_init 0
		.amdhsa_user_sgpr_kernarg_preload_length 0
		.amdhsa_user_sgpr_kernarg_preload_offset 0
		.amdhsa_user_sgpr_private_segment_size 0
		.amdhsa_uses_dynamic_stack 0
		.amdhsa_system_sgpr_private_segment_wavefront_offset 0
		.amdhsa_system_sgpr_workgroup_id_x 1
		.amdhsa_system_sgpr_workgroup_id_y 0
		.amdhsa_system_sgpr_workgroup_id_z 0
		.amdhsa_system_sgpr_workgroup_info 0
		.amdhsa_system_vgpr_workitem_id 0
		.amdhsa_next_free_vgpr 1
		.amdhsa_next_free_sgpr 0
		.amdhsa_accum_offset 4
		.amdhsa_reserve_vcc 0
		.amdhsa_reserve_flat_scratch 0
		.amdhsa_float_round_mode_32 0
		.amdhsa_float_round_mode_16_64 0
		.amdhsa_float_denorm_mode_32 3
		.amdhsa_float_denorm_mode_16_64 3
		.amdhsa_dx10_clamp 1
		.amdhsa_ieee_mode 1
		.amdhsa_fp16_overflow 0
		.amdhsa_tg_split 0
		.amdhsa_exception_fp_ieee_invalid_op 0
		.amdhsa_exception_fp_denorm_src 0
		.amdhsa_exception_fp_ieee_div_zero 0
		.amdhsa_exception_fp_ieee_overflow 0
		.amdhsa_exception_fp_ieee_underflow 0
		.amdhsa_exception_fp_ieee_inexact 0
		.amdhsa_exception_int_div_zero 0
	.end_amdhsa_kernel
	.section	.text._ZN7rocprim17ROCPRIM_400000_NS6detail17trampoline_kernelINS0_14default_configENS1_35radix_sort_onesweep_config_selectorIjyEEZNS1_34radix_sort_onesweep_global_offsetsIS3_Lb0EPjPyjNS0_19identity_decomposerEEE10hipError_tT1_T2_PT3_SD_jT4_jjP12ihipStream_tbEUlT_E0_NS1_11comp_targetILNS1_3genE5ELNS1_11target_archE942ELNS1_3gpuE9ELNS1_3repE0EEENS1_52radix_sort_onesweep_histogram_config_static_selectorELNS0_4arch9wavefront6targetE1EEEvSB_,"axG",@progbits,_ZN7rocprim17ROCPRIM_400000_NS6detail17trampoline_kernelINS0_14default_configENS1_35radix_sort_onesweep_config_selectorIjyEEZNS1_34radix_sort_onesweep_global_offsetsIS3_Lb0EPjPyjNS0_19identity_decomposerEEE10hipError_tT1_T2_PT3_SD_jT4_jjP12ihipStream_tbEUlT_E0_NS1_11comp_targetILNS1_3genE5ELNS1_11target_archE942ELNS1_3gpuE9ELNS1_3repE0EEENS1_52radix_sort_onesweep_histogram_config_static_selectorELNS0_4arch9wavefront6targetE1EEEvSB_,comdat
.Lfunc_end537:
	.size	_ZN7rocprim17ROCPRIM_400000_NS6detail17trampoline_kernelINS0_14default_configENS1_35radix_sort_onesweep_config_selectorIjyEEZNS1_34radix_sort_onesweep_global_offsetsIS3_Lb0EPjPyjNS0_19identity_decomposerEEE10hipError_tT1_T2_PT3_SD_jT4_jjP12ihipStream_tbEUlT_E0_NS1_11comp_targetILNS1_3genE5ELNS1_11target_archE942ELNS1_3gpuE9ELNS1_3repE0EEENS1_52radix_sort_onesweep_histogram_config_static_selectorELNS0_4arch9wavefront6targetE1EEEvSB_, .Lfunc_end537-_ZN7rocprim17ROCPRIM_400000_NS6detail17trampoline_kernelINS0_14default_configENS1_35radix_sort_onesweep_config_selectorIjyEEZNS1_34radix_sort_onesweep_global_offsetsIS3_Lb0EPjPyjNS0_19identity_decomposerEEE10hipError_tT1_T2_PT3_SD_jT4_jjP12ihipStream_tbEUlT_E0_NS1_11comp_targetILNS1_3genE5ELNS1_11target_archE942ELNS1_3gpuE9ELNS1_3repE0EEENS1_52radix_sort_onesweep_histogram_config_static_selectorELNS0_4arch9wavefront6targetE1EEEvSB_
                                        ; -- End function
	.section	.AMDGPU.csdata,"",@progbits
; Kernel info:
; codeLenInByte = 0
; NumSgprs: 4
; NumVgprs: 0
; NumAgprs: 0
; TotalNumVgprs: 0
; ScratchSize: 0
; MemoryBound: 0
; FloatMode: 240
; IeeeMode: 1
; LDSByteSize: 0 bytes/workgroup (compile time only)
; SGPRBlocks: 0
; VGPRBlocks: 0
; NumSGPRsForWavesPerEU: 4
; NumVGPRsForWavesPerEU: 1
; AccumOffset: 4
; Occupancy: 8
; WaveLimiterHint : 0
; COMPUTE_PGM_RSRC2:SCRATCH_EN: 0
; COMPUTE_PGM_RSRC2:USER_SGPR: 6
; COMPUTE_PGM_RSRC2:TRAP_HANDLER: 0
; COMPUTE_PGM_RSRC2:TGID_X_EN: 1
; COMPUTE_PGM_RSRC2:TGID_Y_EN: 0
; COMPUTE_PGM_RSRC2:TGID_Z_EN: 0
; COMPUTE_PGM_RSRC2:TIDIG_COMP_CNT: 0
; COMPUTE_PGM_RSRC3_GFX90A:ACCUM_OFFSET: 0
; COMPUTE_PGM_RSRC3_GFX90A:TG_SPLIT: 0
	.section	.text._ZN7rocprim17ROCPRIM_400000_NS6detail17trampoline_kernelINS0_14default_configENS1_35radix_sort_onesweep_config_selectorIjyEEZNS1_34radix_sort_onesweep_global_offsetsIS3_Lb0EPjPyjNS0_19identity_decomposerEEE10hipError_tT1_T2_PT3_SD_jT4_jjP12ihipStream_tbEUlT_E0_NS1_11comp_targetILNS1_3genE2ELNS1_11target_archE906ELNS1_3gpuE6ELNS1_3repE0EEENS1_52radix_sort_onesweep_histogram_config_static_selectorELNS0_4arch9wavefront6targetE1EEEvSB_,"axG",@progbits,_ZN7rocprim17ROCPRIM_400000_NS6detail17trampoline_kernelINS0_14default_configENS1_35radix_sort_onesweep_config_selectorIjyEEZNS1_34radix_sort_onesweep_global_offsetsIS3_Lb0EPjPyjNS0_19identity_decomposerEEE10hipError_tT1_T2_PT3_SD_jT4_jjP12ihipStream_tbEUlT_E0_NS1_11comp_targetILNS1_3genE2ELNS1_11target_archE906ELNS1_3gpuE6ELNS1_3repE0EEENS1_52radix_sort_onesweep_histogram_config_static_selectorELNS0_4arch9wavefront6targetE1EEEvSB_,comdat
	.protected	_ZN7rocprim17ROCPRIM_400000_NS6detail17trampoline_kernelINS0_14default_configENS1_35radix_sort_onesweep_config_selectorIjyEEZNS1_34radix_sort_onesweep_global_offsetsIS3_Lb0EPjPyjNS0_19identity_decomposerEEE10hipError_tT1_T2_PT3_SD_jT4_jjP12ihipStream_tbEUlT_E0_NS1_11comp_targetILNS1_3genE2ELNS1_11target_archE906ELNS1_3gpuE6ELNS1_3repE0EEENS1_52radix_sort_onesweep_histogram_config_static_selectorELNS0_4arch9wavefront6targetE1EEEvSB_ ; -- Begin function _ZN7rocprim17ROCPRIM_400000_NS6detail17trampoline_kernelINS0_14default_configENS1_35radix_sort_onesweep_config_selectorIjyEEZNS1_34radix_sort_onesweep_global_offsetsIS3_Lb0EPjPyjNS0_19identity_decomposerEEE10hipError_tT1_T2_PT3_SD_jT4_jjP12ihipStream_tbEUlT_E0_NS1_11comp_targetILNS1_3genE2ELNS1_11target_archE906ELNS1_3gpuE6ELNS1_3repE0EEENS1_52radix_sort_onesweep_histogram_config_static_selectorELNS0_4arch9wavefront6targetE1EEEvSB_
	.globl	_ZN7rocprim17ROCPRIM_400000_NS6detail17trampoline_kernelINS0_14default_configENS1_35radix_sort_onesweep_config_selectorIjyEEZNS1_34radix_sort_onesweep_global_offsetsIS3_Lb0EPjPyjNS0_19identity_decomposerEEE10hipError_tT1_T2_PT3_SD_jT4_jjP12ihipStream_tbEUlT_E0_NS1_11comp_targetILNS1_3genE2ELNS1_11target_archE906ELNS1_3gpuE6ELNS1_3repE0EEENS1_52radix_sort_onesweep_histogram_config_static_selectorELNS0_4arch9wavefront6targetE1EEEvSB_
	.p2align	8
	.type	_ZN7rocprim17ROCPRIM_400000_NS6detail17trampoline_kernelINS0_14default_configENS1_35radix_sort_onesweep_config_selectorIjyEEZNS1_34radix_sort_onesweep_global_offsetsIS3_Lb0EPjPyjNS0_19identity_decomposerEEE10hipError_tT1_T2_PT3_SD_jT4_jjP12ihipStream_tbEUlT_E0_NS1_11comp_targetILNS1_3genE2ELNS1_11target_archE906ELNS1_3gpuE6ELNS1_3repE0EEENS1_52radix_sort_onesweep_histogram_config_static_selectorELNS0_4arch9wavefront6targetE1EEEvSB_,@function
_ZN7rocprim17ROCPRIM_400000_NS6detail17trampoline_kernelINS0_14default_configENS1_35radix_sort_onesweep_config_selectorIjyEEZNS1_34radix_sort_onesweep_global_offsetsIS3_Lb0EPjPyjNS0_19identity_decomposerEEE10hipError_tT1_T2_PT3_SD_jT4_jjP12ihipStream_tbEUlT_E0_NS1_11comp_targetILNS1_3genE2ELNS1_11target_archE906ELNS1_3gpuE6ELNS1_3repE0EEENS1_52radix_sort_onesweep_histogram_config_static_selectorELNS0_4arch9wavefront6targetE1EEEvSB_: ; @_ZN7rocprim17ROCPRIM_400000_NS6detail17trampoline_kernelINS0_14default_configENS1_35radix_sort_onesweep_config_selectorIjyEEZNS1_34radix_sort_onesweep_global_offsetsIS3_Lb0EPjPyjNS0_19identity_decomposerEEE10hipError_tT1_T2_PT3_SD_jT4_jjP12ihipStream_tbEUlT_E0_NS1_11comp_targetILNS1_3genE2ELNS1_11target_archE906ELNS1_3gpuE6ELNS1_3repE0EEENS1_52radix_sort_onesweep_histogram_config_static_selectorELNS0_4arch9wavefront6targetE1EEEvSB_
; %bb.0:
	.section	.rodata,"a",@progbits
	.p2align	6, 0x0
	.amdhsa_kernel _ZN7rocprim17ROCPRIM_400000_NS6detail17trampoline_kernelINS0_14default_configENS1_35radix_sort_onesweep_config_selectorIjyEEZNS1_34radix_sort_onesweep_global_offsetsIS3_Lb0EPjPyjNS0_19identity_decomposerEEE10hipError_tT1_T2_PT3_SD_jT4_jjP12ihipStream_tbEUlT_E0_NS1_11comp_targetILNS1_3genE2ELNS1_11target_archE906ELNS1_3gpuE6ELNS1_3repE0EEENS1_52radix_sort_onesweep_histogram_config_static_selectorELNS0_4arch9wavefront6targetE1EEEvSB_
		.amdhsa_group_segment_fixed_size 0
		.amdhsa_private_segment_fixed_size 0
		.amdhsa_kernarg_size 8
		.amdhsa_user_sgpr_count 6
		.amdhsa_user_sgpr_private_segment_buffer 1
		.amdhsa_user_sgpr_dispatch_ptr 0
		.amdhsa_user_sgpr_queue_ptr 0
		.amdhsa_user_sgpr_kernarg_segment_ptr 1
		.amdhsa_user_sgpr_dispatch_id 0
		.amdhsa_user_sgpr_flat_scratch_init 0
		.amdhsa_user_sgpr_kernarg_preload_length 0
		.amdhsa_user_sgpr_kernarg_preload_offset 0
		.amdhsa_user_sgpr_private_segment_size 0
		.amdhsa_uses_dynamic_stack 0
		.amdhsa_system_sgpr_private_segment_wavefront_offset 0
		.amdhsa_system_sgpr_workgroup_id_x 1
		.amdhsa_system_sgpr_workgroup_id_y 0
		.amdhsa_system_sgpr_workgroup_id_z 0
		.amdhsa_system_sgpr_workgroup_info 0
		.amdhsa_system_vgpr_workitem_id 0
		.amdhsa_next_free_vgpr 1
		.amdhsa_next_free_sgpr 0
		.amdhsa_accum_offset 4
		.amdhsa_reserve_vcc 0
		.amdhsa_reserve_flat_scratch 0
		.amdhsa_float_round_mode_32 0
		.amdhsa_float_round_mode_16_64 0
		.amdhsa_float_denorm_mode_32 3
		.amdhsa_float_denorm_mode_16_64 3
		.amdhsa_dx10_clamp 1
		.amdhsa_ieee_mode 1
		.amdhsa_fp16_overflow 0
		.amdhsa_tg_split 0
		.amdhsa_exception_fp_ieee_invalid_op 0
		.amdhsa_exception_fp_denorm_src 0
		.amdhsa_exception_fp_ieee_div_zero 0
		.amdhsa_exception_fp_ieee_overflow 0
		.amdhsa_exception_fp_ieee_underflow 0
		.amdhsa_exception_fp_ieee_inexact 0
		.amdhsa_exception_int_div_zero 0
	.end_amdhsa_kernel
	.section	.text._ZN7rocprim17ROCPRIM_400000_NS6detail17trampoline_kernelINS0_14default_configENS1_35radix_sort_onesweep_config_selectorIjyEEZNS1_34radix_sort_onesweep_global_offsetsIS3_Lb0EPjPyjNS0_19identity_decomposerEEE10hipError_tT1_T2_PT3_SD_jT4_jjP12ihipStream_tbEUlT_E0_NS1_11comp_targetILNS1_3genE2ELNS1_11target_archE906ELNS1_3gpuE6ELNS1_3repE0EEENS1_52radix_sort_onesweep_histogram_config_static_selectorELNS0_4arch9wavefront6targetE1EEEvSB_,"axG",@progbits,_ZN7rocprim17ROCPRIM_400000_NS6detail17trampoline_kernelINS0_14default_configENS1_35radix_sort_onesweep_config_selectorIjyEEZNS1_34radix_sort_onesweep_global_offsetsIS3_Lb0EPjPyjNS0_19identity_decomposerEEE10hipError_tT1_T2_PT3_SD_jT4_jjP12ihipStream_tbEUlT_E0_NS1_11comp_targetILNS1_3genE2ELNS1_11target_archE906ELNS1_3gpuE6ELNS1_3repE0EEENS1_52radix_sort_onesweep_histogram_config_static_selectorELNS0_4arch9wavefront6targetE1EEEvSB_,comdat
.Lfunc_end538:
	.size	_ZN7rocprim17ROCPRIM_400000_NS6detail17trampoline_kernelINS0_14default_configENS1_35radix_sort_onesweep_config_selectorIjyEEZNS1_34radix_sort_onesweep_global_offsetsIS3_Lb0EPjPyjNS0_19identity_decomposerEEE10hipError_tT1_T2_PT3_SD_jT4_jjP12ihipStream_tbEUlT_E0_NS1_11comp_targetILNS1_3genE2ELNS1_11target_archE906ELNS1_3gpuE6ELNS1_3repE0EEENS1_52radix_sort_onesweep_histogram_config_static_selectorELNS0_4arch9wavefront6targetE1EEEvSB_, .Lfunc_end538-_ZN7rocprim17ROCPRIM_400000_NS6detail17trampoline_kernelINS0_14default_configENS1_35radix_sort_onesweep_config_selectorIjyEEZNS1_34radix_sort_onesweep_global_offsetsIS3_Lb0EPjPyjNS0_19identity_decomposerEEE10hipError_tT1_T2_PT3_SD_jT4_jjP12ihipStream_tbEUlT_E0_NS1_11comp_targetILNS1_3genE2ELNS1_11target_archE906ELNS1_3gpuE6ELNS1_3repE0EEENS1_52radix_sort_onesweep_histogram_config_static_selectorELNS0_4arch9wavefront6targetE1EEEvSB_
                                        ; -- End function
	.section	.AMDGPU.csdata,"",@progbits
; Kernel info:
; codeLenInByte = 0
; NumSgprs: 4
; NumVgprs: 0
; NumAgprs: 0
; TotalNumVgprs: 0
; ScratchSize: 0
; MemoryBound: 0
; FloatMode: 240
; IeeeMode: 1
; LDSByteSize: 0 bytes/workgroup (compile time only)
; SGPRBlocks: 0
; VGPRBlocks: 0
; NumSGPRsForWavesPerEU: 4
; NumVGPRsForWavesPerEU: 1
; AccumOffset: 4
; Occupancy: 8
; WaveLimiterHint : 0
; COMPUTE_PGM_RSRC2:SCRATCH_EN: 0
; COMPUTE_PGM_RSRC2:USER_SGPR: 6
; COMPUTE_PGM_RSRC2:TRAP_HANDLER: 0
; COMPUTE_PGM_RSRC2:TGID_X_EN: 1
; COMPUTE_PGM_RSRC2:TGID_Y_EN: 0
; COMPUTE_PGM_RSRC2:TGID_Z_EN: 0
; COMPUTE_PGM_RSRC2:TIDIG_COMP_CNT: 0
; COMPUTE_PGM_RSRC3_GFX90A:ACCUM_OFFSET: 0
; COMPUTE_PGM_RSRC3_GFX90A:TG_SPLIT: 0
	.section	.text._ZN7rocprim17ROCPRIM_400000_NS6detail17trampoline_kernelINS0_14default_configENS1_35radix_sort_onesweep_config_selectorIjyEEZNS1_34radix_sort_onesweep_global_offsetsIS3_Lb0EPjPyjNS0_19identity_decomposerEEE10hipError_tT1_T2_PT3_SD_jT4_jjP12ihipStream_tbEUlT_E0_NS1_11comp_targetILNS1_3genE4ELNS1_11target_archE910ELNS1_3gpuE8ELNS1_3repE0EEENS1_52radix_sort_onesweep_histogram_config_static_selectorELNS0_4arch9wavefront6targetE1EEEvSB_,"axG",@progbits,_ZN7rocprim17ROCPRIM_400000_NS6detail17trampoline_kernelINS0_14default_configENS1_35radix_sort_onesweep_config_selectorIjyEEZNS1_34radix_sort_onesweep_global_offsetsIS3_Lb0EPjPyjNS0_19identity_decomposerEEE10hipError_tT1_T2_PT3_SD_jT4_jjP12ihipStream_tbEUlT_E0_NS1_11comp_targetILNS1_3genE4ELNS1_11target_archE910ELNS1_3gpuE8ELNS1_3repE0EEENS1_52radix_sort_onesweep_histogram_config_static_selectorELNS0_4arch9wavefront6targetE1EEEvSB_,comdat
	.protected	_ZN7rocprim17ROCPRIM_400000_NS6detail17trampoline_kernelINS0_14default_configENS1_35radix_sort_onesweep_config_selectorIjyEEZNS1_34radix_sort_onesweep_global_offsetsIS3_Lb0EPjPyjNS0_19identity_decomposerEEE10hipError_tT1_T2_PT3_SD_jT4_jjP12ihipStream_tbEUlT_E0_NS1_11comp_targetILNS1_3genE4ELNS1_11target_archE910ELNS1_3gpuE8ELNS1_3repE0EEENS1_52radix_sort_onesweep_histogram_config_static_selectorELNS0_4arch9wavefront6targetE1EEEvSB_ ; -- Begin function _ZN7rocprim17ROCPRIM_400000_NS6detail17trampoline_kernelINS0_14default_configENS1_35radix_sort_onesweep_config_selectorIjyEEZNS1_34radix_sort_onesweep_global_offsetsIS3_Lb0EPjPyjNS0_19identity_decomposerEEE10hipError_tT1_T2_PT3_SD_jT4_jjP12ihipStream_tbEUlT_E0_NS1_11comp_targetILNS1_3genE4ELNS1_11target_archE910ELNS1_3gpuE8ELNS1_3repE0EEENS1_52radix_sort_onesweep_histogram_config_static_selectorELNS0_4arch9wavefront6targetE1EEEvSB_
	.globl	_ZN7rocprim17ROCPRIM_400000_NS6detail17trampoline_kernelINS0_14default_configENS1_35radix_sort_onesweep_config_selectorIjyEEZNS1_34radix_sort_onesweep_global_offsetsIS3_Lb0EPjPyjNS0_19identity_decomposerEEE10hipError_tT1_T2_PT3_SD_jT4_jjP12ihipStream_tbEUlT_E0_NS1_11comp_targetILNS1_3genE4ELNS1_11target_archE910ELNS1_3gpuE8ELNS1_3repE0EEENS1_52radix_sort_onesweep_histogram_config_static_selectorELNS0_4arch9wavefront6targetE1EEEvSB_
	.p2align	8
	.type	_ZN7rocprim17ROCPRIM_400000_NS6detail17trampoline_kernelINS0_14default_configENS1_35radix_sort_onesweep_config_selectorIjyEEZNS1_34radix_sort_onesweep_global_offsetsIS3_Lb0EPjPyjNS0_19identity_decomposerEEE10hipError_tT1_T2_PT3_SD_jT4_jjP12ihipStream_tbEUlT_E0_NS1_11comp_targetILNS1_3genE4ELNS1_11target_archE910ELNS1_3gpuE8ELNS1_3repE0EEENS1_52radix_sort_onesweep_histogram_config_static_selectorELNS0_4arch9wavefront6targetE1EEEvSB_,@function
_ZN7rocprim17ROCPRIM_400000_NS6detail17trampoline_kernelINS0_14default_configENS1_35radix_sort_onesweep_config_selectorIjyEEZNS1_34radix_sort_onesweep_global_offsetsIS3_Lb0EPjPyjNS0_19identity_decomposerEEE10hipError_tT1_T2_PT3_SD_jT4_jjP12ihipStream_tbEUlT_E0_NS1_11comp_targetILNS1_3genE4ELNS1_11target_archE910ELNS1_3gpuE8ELNS1_3repE0EEENS1_52radix_sort_onesweep_histogram_config_static_selectorELNS0_4arch9wavefront6targetE1EEEvSB_: ; @_ZN7rocprim17ROCPRIM_400000_NS6detail17trampoline_kernelINS0_14default_configENS1_35radix_sort_onesweep_config_selectorIjyEEZNS1_34radix_sort_onesweep_global_offsetsIS3_Lb0EPjPyjNS0_19identity_decomposerEEE10hipError_tT1_T2_PT3_SD_jT4_jjP12ihipStream_tbEUlT_E0_NS1_11comp_targetILNS1_3genE4ELNS1_11target_archE910ELNS1_3gpuE8ELNS1_3repE0EEENS1_52radix_sort_onesweep_histogram_config_static_selectorELNS0_4arch9wavefront6targetE1EEEvSB_
; %bb.0:
	s_load_dwordx2 s[0:1], s[4:5], 0x0
	s_lshl_b32 s2, s6, 8
	s_mov_b32 s3, 0
	s_lshl_b64 s[2:3], s[2:3], 2
	v_lshlrev_b32_e32 v1, 2, v0
	s_waitcnt lgkmcnt(0)
	s_add_u32 s2, s0, s2
	s_movk_i32 s0, 0x100
	s_addc_u32 s3, s1, s3
	v_cmp_gt_u32_e32 vcc, s0, v0
                                        ; implicit-def: $vgpr3
	s_and_saveexec_b64 s[0:1], vcc
	s_cbranch_execz .LBB539_2
; %bb.1:
	global_load_dword v3, v1, s[2:3]
.LBB539_2:
	s_or_b64 exec, exec, s[0:1]
	v_mbcnt_lo_u32_b32 v2, -1, 0
	v_mbcnt_hi_u32_b32 v2, -1, v2
	v_and_b32_e32 v4, 15, v2
	s_waitcnt vmcnt(0)
	v_mov_b32_dpp v5, v3 row_shr:1 row_mask:0xf bank_mask:0xf
	v_cmp_ne_u32_e64 s[0:1], 0, v4
	v_cndmask_b32_e64 v5, 0, v5, s[0:1]
	v_add_u32_e32 v3, v5, v3
	v_cmp_lt_u32_e64 s[0:1], 1, v4
	s_nop 0
	v_mov_b32_dpp v5, v3 row_shr:2 row_mask:0xf bank_mask:0xf
	v_cndmask_b32_e64 v5, 0, v5, s[0:1]
	v_add_u32_e32 v3, v3, v5
	v_cmp_lt_u32_e64 s[0:1], 3, v4
	s_nop 0
	v_mov_b32_dpp v5, v3 row_shr:4 row_mask:0xf bank_mask:0xf
	;; [unrolled: 5-line block ×3, first 2 shown]
	v_cndmask_b32_e64 v4, 0, v5, s[0:1]
	v_add_u32_e32 v3, v3, v4
	v_bfe_i32 v5, v2, 4, 1
	v_cmp_lt_u32_e64 s[0:1], 31, v2
	v_mov_b32_dpp v4, v3 row_bcast:15 row_mask:0xf bank_mask:0xf
	v_and_b32_e32 v4, v5, v4
	v_add_u32_e32 v3, v3, v4
	v_or_b32_e32 v5, 63, v0
	s_nop 0
	v_mov_b32_dpp v4, v3 row_bcast:31 row_mask:0xf bank_mask:0xf
	v_cndmask_b32_e64 v4, 0, v4, s[0:1]
	v_add_u32_e32 v3, v3, v4
	v_lshrrev_b32_e32 v4, 6, v0
	v_cmp_eq_u32_e64 s[0:1], v5, v0
	s_and_saveexec_b64 s[4:5], s[0:1]
	s_cbranch_execz .LBB539_4
; %bb.3:
	v_lshlrev_b32_e32 v5, 2, v4
	ds_write_b32 v5, v3
.LBB539_4:
	s_or_b64 exec, exec, s[4:5]
	v_cmp_gt_u32_e64 s[0:1], 8, v0
	s_waitcnt lgkmcnt(0)
	s_barrier
	s_and_saveexec_b64 s[4:5], s[0:1]
	s_cbranch_execz .LBB539_6
; %bb.5:
	ds_read_b32 v5, v1
	v_and_b32_e32 v6, 7, v2
	v_cmp_ne_u32_e64 s[0:1], 0, v6
	s_waitcnt lgkmcnt(0)
	v_mov_b32_dpp v7, v5 row_shr:1 row_mask:0xf bank_mask:0xf
	v_cndmask_b32_e64 v7, 0, v7, s[0:1]
	v_add_u32_e32 v5, v7, v5
	v_cmp_lt_u32_e64 s[0:1], 1, v6
	s_nop 0
	v_mov_b32_dpp v7, v5 row_shr:2 row_mask:0xf bank_mask:0xf
	v_cndmask_b32_e64 v7, 0, v7, s[0:1]
	v_add_u32_e32 v5, v5, v7
	v_cmp_lt_u32_e64 s[0:1], 3, v6
	s_nop 0
	v_mov_b32_dpp v7, v5 row_shr:4 row_mask:0xf bank_mask:0xf
	v_cndmask_b32_e64 v6, 0, v7, s[0:1]
	v_add_u32_e32 v5, v5, v6
	ds_write_b32 v1, v5
.LBB539_6:
	s_or_b64 exec, exec, s[4:5]
	v_cmp_lt_u32_e64 s[0:1], 63, v0
	v_mov_b32_e32 v0, 0
	s_waitcnt lgkmcnt(0)
	s_barrier
	s_and_saveexec_b64 s[4:5], s[0:1]
	s_cbranch_execz .LBB539_8
; %bb.7:
	v_lshl_add_u32 v0, v4, 2, -4
	ds_read_b32 v0, v0
.LBB539_8:
	s_or_b64 exec, exec, s[4:5]
	v_add_u32_e32 v4, -1, v2
	v_and_b32_e32 v5, 64, v2
	v_cmp_lt_i32_e64 s[0:1], v4, v5
	v_cndmask_b32_e64 v4, v4, v2, s[0:1]
	s_waitcnt lgkmcnt(0)
	v_add_u32_e32 v3, v0, v3
	v_lshlrev_b32_e32 v4, 2, v4
	ds_bpermute_b32 v3, v4, v3
	s_and_saveexec_b64 s[0:1], vcc
	s_cbranch_execz .LBB539_10
; %bb.9:
	v_cmp_eq_u32_e32 vcc, 0, v2
	s_waitcnt lgkmcnt(0)
	v_cndmask_b32_e32 v0, v3, v0, vcc
	global_store_dword v1, v0, s[2:3]
.LBB539_10:
	s_endpgm
	.section	.rodata,"a",@progbits
	.p2align	6, 0x0
	.amdhsa_kernel _ZN7rocprim17ROCPRIM_400000_NS6detail17trampoline_kernelINS0_14default_configENS1_35radix_sort_onesweep_config_selectorIjyEEZNS1_34radix_sort_onesweep_global_offsetsIS3_Lb0EPjPyjNS0_19identity_decomposerEEE10hipError_tT1_T2_PT3_SD_jT4_jjP12ihipStream_tbEUlT_E0_NS1_11comp_targetILNS1_3genE4ELNS1_11target_archE910ELNS1_3gpuE8ELNS1_3repE0EEENS1_52radix_sort_onesweep_histogram_config_static_selectorELNS0_4arch9wavefront6targetE1EEEvSB_
		.amdhsa_group_segment_fixed_size 32
		.amdhsa_private_segment_fixed_size 0
		.amdhsa_kernarg_size 8
		.amdhsa_user_sgpr_count 6
		.amdhsa_user_sgpr_private_segment_buffer 1
		.amdhsa_user_sgpr_dispatch_ptr 0
		.amdhsa_user_sgpr_queue_ptr 0
		.amdhsa_user_sgpr_kernarg_segment_ptr 1
		.amdhsa_user_sgpr_dispatch_id 0
		.amdhsa_user_sgpr_flat_scratch_init 0
		.amdhsa_user_sgpr_kernarg_preload_length 0
		.amdhsa_user_sgpr_kernarg_preload_offset 0
		.amdhsa_user_sgpr_private_segment_size 0
		.amdhsa_uses_dynamic_stack 0
		.amdhsa_system_sgpr_private_segment_wavefront_offset 0
		.amdhsa_system_sgpr_workgroup_id_x 1
		.amdhsa_system_sgpr_workgroup_id_y 0
		.amdhsa_system_sgpr_workgroup_id_z 0
		.amdhsa_system_sgpr_workgroup_info 0
		.amdhsa_system_vgpr_workitem_id 0
		.amdhsa_next_free_vgpr 8
		.amdhsa_next_free_sgpr 7
		.amdhsa_accum_offset 8
		.amdhsa_reserve_vcc 1
		.amdhsa_reserve_flat_scratch 0
		.amdhsa_float_round_mode_32 0
		.amdhsa_float_round_mode_16_64 0
		.amdhsa_float_denorm_mode_32 3
		.amdhsa_float_denorm_mode_16_64 3
		.amdhsa_dx10_clamp 1
		.amdhsa_ieee_mode 1
		.amdhsa_fp16_overflow 0
		.amdhsa_tg_split 0
		.amdhsa_exception_fp_ieee_invalid_op 0
		.amdhsa_exception_fp_denorm_src 0
		.amdhsa_exception_fp_ieee_div_zero 0
		.amdhsa_exception_fp_ieee_overflow 0
		.amdhsa_exception_fp_ieee_underflow 0
		.amdhsa_exception_fp_ieee_inexact 0
		.amdhsa_exception_int_div_zero 0
	.end_amdhsa_kernel
	.section	.text._ZN7rocprim17ROCPRIM_400000_NS6detail17trampoline_kernelINS0_14default_configENS1_35radix_sort_onesweep_config_selectorIjyEEZNS1_34radix_sort_onesweep_global_offsetsIS3_Lb0EPjPyjNS0_19identity_decomposerEEE10hipError_tT1_T2_PT3_SD_jT4_jjP12ihipStream_tbEUlT_E0_NS1_11comp_targetILNS1_3genE4ELNS1_11target_archE910ELNS1_3gpuE8ELNS1_3repE0EEENS1_52radix_sort_onesweep_histogram_config_static_selectorELNS0_4arch9wavefront6targetE1EEEvSB_,"axG",@progbits,_ZN7rocprim17ROCPRIM_400000_NS6detail17trampoline_kernelINS0_14default_configENS1_35radix_sort_onesweep_config_selectorIjyEEZNS1_34radix_sort_onesweep_global_offsetsIS3_Lb0EPjPyjNS0_19identity_decomposerEEE10hipError_tT1_T2_PT3_SD_jT4_jjP12ihipStream_tbEUlT_E0_NS1_11comp_targetILNS1_3genE4ELNS1_11target_archE910ELNS1_3gpuE8ELNS1_3repE0EEENS1_52radix_sort_onesweep_histogram_config_static_selectorELNS0_4arch9wavefront6targetE1EEEvSB_,comdat
.Lfunc_end539:
	.size	_ZN7rocprim17ROCPRIM_400000_NS6detail17trampoline_kernelINS0_14default_configENS1_35radix_sort_onesweep_config_selectorIjyEEZNS1_34radix_sort_onesweep_global_offsetsIS3_Lb0EPjPyjNS0_19identity_decomposerEEE10hipError_tT1_T2_PT3_SD_jT4_jjP12ihipStream_tbEUlT_E0_NS1_11comp_targetILNS1_3genE4ELNS1_11target_archE910ELNS1_3gpuE8ELNS1_3repE0EEENS1_52radix_sort_onesweep_histogram_config_static_selectorELNS0_4arch9wavefront6targetE1EEEvSB_, .Lfunc_end539-_ZN7rocprim17ROCPRIM_400000_NS6detail17trampoline_kernelINS0_14default_configENS1_35radix_sort_onesweep_config_selectorIjyEEZNS1_34radix_sort_onesweep_global_offsetsIS3_Lb0EPjPyjNS0_19identity_decomposerEEE10hipError_tT1_T2_PT3_SD_jT4_jjP12ihipStream_tbEUlT_E0_NS1_11comp_targetILNS1_3genE4ELNS1_11target_archE910ELNS1_3gpuE8ELNS1_3repE0EEENS1_52radix_sort_onesweep_histogram_config_static_selectorELNS0_4arch9wavefront6targetE1EEEvSB_
                                        ; -- End function
	.section	.AMDGPU.csdata,"",@progbits
; Kernel info:
; codeLenInByte = 576
; NumSgprs: 11
; NumVgprs: 8
; NumAgprs: 0
; TotalNumVgprs: 8
; ScratchSize: 0
; MemoryBound: 0
; FloatMode: 240
; IeeeMode: 1
; LDSByteSize: 32 bytes/workgroup (compile time only)
; SGPRBlocks: 1
; VGPRBlocks: 0
; NumSGPRsForWavesPerEU: 11
; NumVGPRsForWavesPerEU: 8
; AccumOffset: 8
; Occupancy: 8
; WaveLimiterHint : 0
; COMPUTE_PGM_RSRC2:SCRATCH_EN: 0
; COMPUTE_PGM_RSRC2:USER_SGPR: 6
; COMPUTE_PGM_RSRC2:TRAP_HANDLER: 0
; COMPUTE_PGM_RSRC2:TGID_X_EN: 1
; COMPUTE_PGM_RSRC2:TGID_Y_EN: 0
; COMPUTE_PGM_RSRC2:TGID_Z_EN: 0
; COMPUTE_PGM_RSRC2:TIDIG_COMP_CNT: 0
; COMPUTE_PGM_RSRC3_GFX90A:ACCUM_OFFSET: 1
; COMPUTE_PGM_RSRC3_GFX90A:TG_SPLIT: 0
	.section	.text._ZN7rocprim17ROCPRIM_400000_NS6detail17trampoline_kernelINS0_14default_configENS1_35radix_sort_onesweep_config_selectorIjyEEZNS1_34radix_sort_onesweep_global_offsetsIS3_Lb0EPjPyjNS0_19identity_decomposerEEE10hipError_tT1_T2_PT3_SD_jT4_jjP12ihipStream_tbEUlT_E0_NS1_11comp_targetILNS1_3genE3ELNS1_11target_archE908ELNS1_3gpuE7ELNS1_3repE0EEENS1_52radix_sort_onesweep_histogram_config_static_selectorELNS0_4arch9wavefront6targetE1EEEvSB_,"axG",@progbits,_ZN7rocprim17ROCPRIM_400000_NS6detail17trampoline_kernelINS0_14default_configENS1_35radix_sort_onesweep_config_selectorIjyEEZNS1_34radix_sort_onesweep_global_offsetsIS3_Lb0EPjPyjNS0_19identity_decomposerEEE10hipError_tT1_T2_PT3_SD_jT4_jjP12ihipStream_tbEUlT_E0_NS1_11comp_targetILNS1_3genE3ELNS1_11target_archE908ELNS1_3gpuE7ELNS1_3repE0EEENS1_52radix_sort_onesweep_histogram_config_static_selectorELNS0_4arch9wavefront6targetE1EEEvSB_,comdat
	.protected	_ZN7rocprim17ROCPRIM_400000_NS6detail17trampoline_kernelINS0_14default_configENS1_35radix_sort_onesweep_config_selectorIjyEEZNS1_34radix_sort_onesweep_global_offsetsIS3_Lb0EPjPyjNS0_19identity_decomposerEEE10hipError_tT1_T2_PT3_SD_jT4_jjP12ihipStream_tbEUlT_E0_NS1_11comp_targetILNS1_3genE3ELNS1_11target_archE908ELNS1_3gpuE7ELNS1_3repE0EEENS1_52radix_sort_onesweep_histogram_config_static_selectorELNS0_4arch9wavefront6targetE1EEEvSB_ ; -- Begin function _ZN7rocprim17ROCPRIM_400000_NS6detail17trampoline_kernelINS0_14default_configENS1_35radix_sort_onesweep_config_selectorIjyEEZNS1_34radix_sort_onesweep_global_offsetsIS3_Lb0EPjPyjNS0_19identity_decomposerEEE10hipError_tT1_T2_PT3_SD_jT4_jjP12ihipStream_tbEUlT_E0_NS1_11comp_targetILNS1_3genE3ELNS1_11target_archE908ELNS1_3gpuE7ELNS1_3repE0EEENS1_52radix_sort_onesweep_histogram_config_static_selectorELNS0_4arch9wavefront6targetE1EEEvSB_
	.globl	_ZN7rocprim17ROCPRIM_400000_NS6detail17trampoline_kernelINS0_14default_configENS1_35radix_sort_onesweep_config_selectorIjyEEZNS1_34radix_sort_onesweep_global_offsetsIS3_Lb0EPjPyjNS0_19identity_decomposerEEE10hipError_tT1_T2_PT3_SD_jT4_jjP12ihipStream_tbEUlT_E0_NS1_11comp_targetILNS1_3genE3ELNS1_11target_archE908ELNS1_3gpuE7ELNS1_3repE0EEENS1_52radix_sort_onesweep_histogram_config_static_selectorELNS0_4arch9wavefront6targetE1EEEvSB_
	.p2align	8
	.type	_ZN7rocprim17ROCPRIM_400000_NS6detail17trampoline_kernelINS0_14default_configENS1_35radix_sort_onesweep_config_selectorIjyEEZNS1_34radix_sort_onesweep_global_offsetsIS3_Lb0EPjPyjNS0_19identity_decomposerEEE10hipError_tT1_T2_PT3_SD_jT4_jjP12ihipStream_tbEUlT_E0_NS1_11comp_targetILNS1_3genE3ELNS1_11target_archE908ELNS1_3gpuE7ELNS1_3repE0EEENS1_52radix_sort_onesweep_histogram_config_static_selectorELNS0_4arch9wavefront6targetE1EEEvSB_,@function
_ZN7rocprim17ROCPRIM_400000_NS6detail17trampoline_kernelINS0_14default_configENS1_35radix_sort_onesweep_config_selectorIjyEEZNS1_34radix_sort_onesweep_global_offsetsIS3_Lb0EPjPyjNS0_19identity_decomposerEEE10hipError_tT1_T2_PT3_SD_jT4_jjP12ihipStream_tbEUlT_E0_NS1_11comp_targetILNS1_3genE3ELNS1_11target_archE908ELNS1_3gpuE7ELNS1_3repE0EEENS1_52radix_sort_onesweep_histogram_config_static_selectorELNS0_4arch9wavefront6targetE1EEEvSB_: ; @_ZN7rocprim17ROCPRIM_400000_NS6detail17trampoline_kernelINS0_14default_configENS1_35radix_sort_onesweep_config_selectorIjyEEZNS1_34radix_sort_onesweep_global_offsetsIS3_Lb0EPjPyjNS0_19identity_decomposerEEE10hipError_tT1_T2_PT3_SD_jT4_jjP12ihipStream_tbEUlT_E0_NS1_11comp_targetILNS1_3genE3ELNS1_11target_archE908ELNS1_3gpuE7ELNS1_3repE0EEENS1_52radix_sort_onesweep_histogram_config_static_selectorELNS0_4arch9wavefront6targetE1EEEvSB_
; %bb.0:
	.section	.rodata,"a",@progbits
	.p2align	6, 0x0
	.amdhsa_kernel _ZN7rocprim17ROCPRIM_400000_NS6detail17trampoline_kernelINS0_14default_configENS1_35radix_sort_onesweep_config_selectorIjyEEZNS1_34radix_sort_onesweep_global_offsetsIS3_Lb0EPjPyjNS0_19identity_decomposerEEE10hipError_tT1_T2_PT3_SD_jT4_jjP12ihipStream_tbEUlT_E0_NS1_11comp_targetILNS1_3genE3ELNS1_11target_archE908ELNS1_3gpuE7ELNS1_3repE0EEENS1_52radix_sort_onesweep_histogram_config_static_selectorELNS0_4arch9wavefront6targetE1EEEvSB_
		.amdhsa_group_segment_fixed_size 0
		.amdhsa_private_segment_fixed_size 0
		.amdhsa_kernarg_size 8
		.amdhsa_user_sgpr_count 6
		.amdhsa_user_sgpr_private_segment_buffer 1
		.amdhsa_user_sgpr_dispatch_ptr 0
		.amdhsa_user_sgpr_queue_ptr 0
		.amdhsa_user_sgpr_kernarg_segment_ptr 1
		.amdhsa_user_sgpr_dispatch_id 0
		.amdhsa_user_sgpr_flat_scratch_init 0
		.amdhsa_user_sgpr_kernarg_preload_length 0
		.amdhsa_user_sgpr_kernarg_preload_offset 0
		.amdhsa_user_sgpr_private_segment_size 0
		.amdhsa_uses_dynamic_stack 0
		.amdhsa_system_sgpr_private_segment_wavefront_offset 0
		.amdhsa_system_sgpr_workgroup_id_x 1
		.amdhsa_system_sgpr_workgroup_id_y 0
		.amdhsa_system_sgpr_workgroup_id_z 0
		.amdhsa_system_sgpr_workgroup_info 0
		.amdhsa_system_vgpr_workitem_id 0
		.amdhsa_next_free_vgpr 1
		.amdhsa_next_free_sgpr 0
		.amdhsa_accum_offset 4
		.amdhsa_reserve_vcc 0
		.amdhsa_reserve_flat_scratch 0
		.amdhsa_float_round_mode_32 0
		.amdhsa_float_round_mode_16_64 0
		.amdhsa_float_denorm_mode_32 3
		.amdhsa_float_denorm_mode_16_64 3
		.amdhsa_dx10_clamp 1
		.amdhsa_ieee_mode 1
		.amdhsa_fp16_overflow 0
		.amdhsa_tg_split 0
		.amdhsa_exception_fp_ieee_invalid_op 0
		.amdhsa_exception_fp_denorm_src 0
		.amdhsa_exception_fp_ieee_div_zero 0
		.amdhsa_exception_fp_ieee_overflow 0
		.amdhsa_exception_fp_ieee_underflow 0
		.amdhsa_exception_fp_ieee_inexact 0
		.amdhsa_exception_int_div_zero 0
	.end_amdhsa_kernel
	.section	.text._ZN7rocprim17ROCPRIM_400000_NS6detail17trampoline_kernelINS0_14default_configENS1_35radix_sort_onesweep_config_selectorIjyEEZNS1_34radix_sort_onesweep_global_offsetsIS3_Lb0EPjPyjNS0_19identity_decomposerEEE10hipError_tT1_T2_PT3_SD_jT4_jjP12ihipStream_tbEUlT_E0_NS1_11comp_targetILNS1_3genE3ELNS1_11target_archE908ELNS1_3gpuE7ELNS1_3repE0EEENS1_52radix_sort_onesweep_histogram_config_static_selectorELNS0_4arch9wavefront6targetE1EEEvSB_,"axG",@progbits,_ZN7rocprim17ROCPRIM_400000_NS6detail17trampoline_kernelINS0_14default_configENS1_35radix_sort_onesweep_config_selectorIjyEEZNS1_34radix_sort_onesweep_global_offsetsIS3_Lb0EPjPyjNS0_19identity_decomposerEEE10hipError_tT1_T2_PT3_SD_jT4_jjP12ihipStream_tbEUlT_E0_NS1_11comp_targetILNS1_3genE3ELNS1_11target_archE908ELNS1_3gpuE7ELNS1_3repE0EEENS1_52radix_sort_onesweep_histogram_config_static_selectorELNS0_4arch9wavefront6targetE1EEEvSB_,comdat
.Lfunc_end540:
	.size	_ZN7rocprim17ROCPRIM_400000_NS6detail17trampoline_kernelINS0_14default_configENS1_35radix_sort_onesweep_config_selectorIjyEEZNS1_34radix_sort_onesweep_global_offsetsIS3_Lb0EPjPyjNS0_19identity_decomposerEEE10hipError_tT1_T2_PT3_SD_jT4_jjP12ihipStream_tbEUlT_E0_NS1_11comp_targetILNS1_3genE3ELNS1_11target_archE908ELNS1_3gpuE7ELNS1_3repE0EEENS1_52radix_sort_onesweep_histogram_config_static_selectorELNS0_4arch9wavefront6targetE1EEEvSB_, .Lfunc_end540-_ZN7rocprim17ROCPRIM_400000_NS6detail17trampoline_kernelINS0_14default_configENS1_35radix_sort_onesweep_config_selectorIjyEEZNS1_34radix_sort_onesweep_global_offsetsIS3_Lb0EPjPyjNS0_19identity_decomposerEEE10hipError_tT1_T2_PT3_SD_jT4_jjP12ihipStream_tbEUlT_E0_NS1_11comp_targetILNS1_3genE3ELNS1_11target_archE908ELNS1_3gpuE7ELNS1_3repE0EEENS1_52radix_sort_onesweep_histogram_config_static_selectorELNS0_4arch9wavefront6targetE1EEEvSB_
                                        ; -- End function
	.section	.AMDGPU.csdata,"",@progbits
; Kernel info:
; codeLenInByte = 0
; NumSgprs: 4
; NumVgprs: 0
; NumAgprs: 0
; TotalNumVgprs: 0
; ScratchSize: 0
; MemoryBound: 0
; FloatMode: 240
; IeeeMode: 1
; LDSByteSize: 0 bytes/workgroup (compile time only)
; SGPRBlocks: 0
; VGPRBlocks: 0
; NumSGPRsForWavesPerEU: 4
; NumVGPRsForWavesPerEU: 1
; AccumOffset: 4
; Occupancy: 8
; WaveLimiterHint : 0
; COMPUTE_PGM_RSRC2:SCRATCH_EN: 0
; COMPUTE_PGM_RSRC2:USER_SGPR: 6
; COMPUTE_PGM_RSRC2:TRAP_HANDLER: 0
; COMPUTE_PGM_RSRC2:TGID_X_EN: 1
; COMPUTE_PGM_RSRC2:TGID_Y_EN: 0
; COMPUTE_PGM_RSRC2:TGID_Z_EN: 0
; COMPUTE_PGM_RSRC2:TIDIG_COMP_CNT: 0
; COMPUTE_PGM_RSRC3_GFX90A:ACCUM_OFFSET: 0
; COMPUTE_PGM_RSRC3_GFX90A:TG_SPLIT: 0
	.section	.text._ZN7rocprim17ROCPRIM_400000_NS6detail17trampoline_kernelINS0_14default_configENS1_35radix_sort_onesweep_config_selectorIjyEEZNS1_34radix_sort_onesweep_global_offsetsIS3_Lb0EPjPyjNS0_19identity_decomposerEEE10hipError_tT1_T2_PT3_SD_jT4_jjP12ihipStream_tbEUlT_E0_NS1_11comp_targetILNS1_3genE10ELNS1_11target_archE1201ELNS1_3gpuE5ELNS1_3repE0EEENS1_52radix_sort_onesweep_histogram_config_static_selectorELNS0_4arch9wavefront6targetE1EEEvSB_,"axG",@progbits,_ZN7rocprim17ROCPRIM_400000_NS6detail17trampoline_kernelINS0_14default_configENS1_35radix_sort_onesweep_config_selectorIjyEEZNS1_34radix_sort_onesweep_global_offsetsIS3_Lb0EPjPyjNS0_19identity_decomposerEEE10hipError_tT1_T2_PT3_SD_jT4_jjP12ihipStream_tbEUlT_E0_NS1_11comp_targetILNS1_3genE10ELNS1_11target_archE1201ELNS1_3gpuE5ELNS1_3repE0EEENS1_52radix_sort_onesweep_histogram_config_static_selectorELNS0_4arch9wavefront6targetE1EEEvSB_,comdat
	.protected	_ZN7rocprim17ROCPRIM_400000_NS6detail17trampoline_kernelINS0_14default_configENS1_35radix_sort_onesweep_config_selectorIjyEEZNS1_34radix_sort_onesweep_global_offsetsIS3_Lb0EPjPyjNS0_19identity_decomposerEEE10hipError_tT1_T2_PT3_SD_jT4_jjP12ihipStream_tbEUlT_E0_NS1_11comp_targetILNS1_3genE10ELNS1_11target_archE1201ELNS1_3gpuE5ELNS1_3repE0EEENS1_52radix_sort_onesweep_histogram_config_static_selectorELNS0_4arch9wavefront6targetE1EEEvSB_ ; -- Begin function _ZN7rocprim17ROCPRIM_400000_NS6detail17trampoline_kernelINS0_14default_configENS1_35radix_sort_onesweep_config_selectorIjyEEZNS1_34radix_sort_onesweep_global_offsetsIS3_Lb0EPjPyjNS0_19identity_decomposerEEE10hipError_tT1_T2_PT3_SD_jT4_jjP12ihipStream_tbEUlT_E0_NS1_11comp_targetILNS1_3genE10ELNS1_11target_archE1201ELNS1_3gpuE5ELNS1_3repE0EEENS1_52radix_sort_onesweep_histogram_config_static_selectorELNS0_4arch9wavefront6targetE1EEEvSB_
	.globl	_ZN7rocprim17ROCPRIM_400000_NS6detail17trampoline_kernelINS0_14default_configENS1_35radix_sort_onesweep_config_selectorIjyEEZNS1_34radix_sort_onesweep_global_offsetsIS3_Lb0EPjPyjNS0_19identity_decomposerEEE10hipError_tT1_T2_PT3_SD_jT4_jjP12ihipStream_tbEUlT_E0_NS1_11comp_targetILNS1_3genE10ELNS1_11target_archE1201ELNS1_3gpuE5ELNS1_3repE0EEENS1_52radix_sort_onesweep_histogram_config_static_selectorELNS0_4arch9wavefront6targetE1EEEvSB_
	.p2align	8
	.type	_ZN7rocprim17ROCPRIM_400000_NS6detail17trampoline_kernelINS0_14default_configENS1_35radix_sort_onesweep_config_selectorIjyEEZNS1_34radix_sort_onesweep_global_offsetsIS3_Lb0EPjPyjNS0_19identity_decomposerEEE10hipError_tT1_T2_PT3_SD_jT4_jjP12ihipStream_tbEUlT_E0_NS1_11comp_targetILNS1_3genE10ELNS1_11target_archE1201ELNS1_3gpuE5ELNS1_3repE0EEENS1_52radix_sort_onesweep_histogram_config_static_selectorELNS0_4arch9wavefront6targetE1EEEvSB_,@function
_ZN7rocprim17ROCPRIM_400000_NS6detail17trampoline_kernelINS0_14default_configENS1_35radix_sort_onesweep_config_selectorIjyEEZNS1_34radix_sort_onesweep_global_offsetsIS3_Lb0EPjPyjNS0_19identity_decomposerEEE10hipError_tT1_T2_PT3_SD_jT4_jjP12ihipStream_tbEUlT_E0_NS1_11comp_targetILNS1_3genE10ELNS1_11target_archE1201ELNS1_3gpuE5ELNS1_3repE0EEENS1_52radix_sort_onesweep_histogram_config_static_selectorELNS0_4arch9wavefront6targetE1EEEvSB_: ; @_ZN7rocprim17ROCPRIM_400000_NS6detail17trampoline_kernelINS0_14default_configENS1_35radix_sort_onesweep_config_selectorIjyEEZNS1_34radix_sort_onesweep_global_offsetsIS3_Lb0EPjPyjNS0_19identity_decomposerEEE10hipError_tT1_T2_PT3_SD_jT4_jjP12ihipStream_tbEUlT_E0_NS1_11comp_targetILNS1_3genE10ELNS1_11target_archE1201ELNS1_3gpuE5ELNS1_3repE0EEENS1_52radix_sort_onesweep_histogram_config_static_selectorELNS0_4arch9wavefront6targetE1EEEvSB_
; %bb.0:
	.section	.rodata,"a",@progbits
	.p2align	6, 0x0
	.amdhsa_kernel _ZN7rocprim17ROCPRIM_400000_NS6detail17trampoline_kernelINS0_14default_configENS1_35radix_sort_onesweep_config_selectorIjyEEZNS1_34radix_sort_onesweep_global_offsetsIS3_Lb0EPjPyjNS0_19identity_decomposerEEE10hipError_tT1_T2_PT3_SD_jT4_jjP12ihipStream_tbEUlT_E0_NS1_11comp_targetILNS1_3genE10ELNS1_11target_archE1201ELNS1_3gpuE5ELNS1_3repE0EEENS1_52radix_sort_onesweep_histogram_config_static_selectorELNS0_4arch9wavefront6targetE1EEEvSB_
		.amdhsa_group_segment_fixed_size 0
		.amdhsa_private_segment_fixed_size 0
		.amdhsa_kernarg_size 8
		.amdhsa_user_sgpr_count 6
		.amdhsa_user_sgpr_private_segment_buffer 1
		.amdhsa_user_sgpr_dispatch_ptr 0
		.amdhsa_user_sgpr_queue_ptr 0
		.amdhsa_user_sgpr_kernarg_segment_ptr 1
		.amdhsa_user_sgpr_dispatch_id 0
		.amdhsa_user_sgpr_flat_scratch_init 0
		.amdhsa_user_sgpr_kernarg_preload_length 0
		.amdhsa_user_sgpr_kernarg_preload_offset 0
		.amdhsa_user_sgpr_private_segment_size 0
		.amdhsa_uses_dynamic_stack 0
		.amdhsa_system_sgpr_private_segment_wavefront_offset 0
		.amdhsa_system_sgpr_workgroup_id_x 1
		.amdhsa_system_sgpr_workgroup_id_y 0
		.amdhsa_system_sgpr_workgroup_id_z 0
		.amdhsa_system_sgpr_workgroup_info 0
		.amdhsa_system_vgpr_workitem_id 0
		.amdhsa_next_free_vgpr 1
		.amdhsa_next_free_sgpr 0
		.amdhsa_accum_offset 4
		.amdhsa_reserve_vcc 0
		.amdhsa_reserve_flat_scratch 0
		.amdhsa_float_round_mode_32 0
		.amdhsa_float_round_mode_16_64 0
		.amdhsa_float_denorm_mode_32 3
		.amdhsa_float_denorm_mode_16_64 3
		.amdhsa_dx10_clamp 1
		.amdhsa_ieee_mode 1
		.amdhsa_fp16_overflow 0
		.amdhsa_tg_split 0
		.amdhsa_exception_fp_ieee_invalid_op 0
		.amdhsa_exception_fp_denorm_src 0
		.amdhsa_exception_fp_ieee_div_zero 0
		.amdhsa_exception_fp_ieee_overflow 0
		.amdhsa_exception_fp_ieee_underflow 0
		.amdhsa_exception_fp_ieee_inexact 0
		.amdhsa_exception_int_div_zero 0
	.end_amdhsa_kernel
	.section	.text._ZN7rocprim17ROCPRIM_400000_NS6detail17trampoline_kernelINS0_14default_configENS1_35radix_sort_onesweep_config_selectorIjyEEZNS1_34radix_sort_onesweep_global_offsetsIS3_Lb0EPjPyjNS0_19identity_decomposerEEE10hipError_tT1_T2_PT3_SD_jT4_jjP12ihipStream_tbEUlT_E0_NS1_11comp_targetILNS1_3genE10ELNS1_11target_archE1201ELNS1_3gpuE5ELNS1_3repE0EEENS1_52radix_sort_onesweep_histogram_config_static_selectorELNS0_4arch9wavefront6targetE1EEEvSB_,"axG",@progbits,_ZN7rocprim17ROCPRIM_400000_NS6detail17trampoline_kernelINS0_14default_configENS1_35radix_sort_onesweep_config_selectorIjyEEZNS1_34radix_sort_onesweep_global_offsetsIS3_Lb0EPjPyjNS0_19identity_decomposerEEE10hipError_tT1_T2_PT3_SD_jT4_jjP12ihipStream_tbEUlT_E0_NS1_11comp_targetILNS1_3genE10ELNS1_11target_archE1201ELNS1_3gpuE5ELNS1_3repE0EEENS1_52radix_sort_onesweep_histogram_config_static_selectorELNS0_4arch9wavefront6targetE1EEEvSB_,comdat
.Lfunc_end541:
	.size	_ZN7rocprim17ROCPRIM_400000_NS6detail17trampoline_kernelINS0_14default_configENS1_35radix_sort_onesweep_config_selectorIjyEEZNS1_34radix_sort_onesweep_global_offsetsIS3_Lb0EPjPyjNS0_19identity_decomposerEEE10hipError_tT1_T2_PT3_SD_jT4_jjP12ihipStream_tbEUlT_E0_NS1_11comp_targetILNS1_3genE10ELNS1_11target_archE1201ELNS1_3gpuE5ELNS1_3repE0EEENS1_52radix_sort_onesweep_histogram_config_static_selectorELNS0_4arch9wavefront6targetE1EEEvSB_, .Lfunc_end541-_ZN7rocprim17ROCPRIM_400000_NS6detail17trampoline_kernelINS0_14default_configENS1_35radix_sort_onesweep_config_selectorIjyEEZNS1_34radix_sort_onesweep_global_offsetsIS3_Lb0EPjPyjNS0_19identity_decomposerEEE10hipError_tT1_T2_PT3_SD_jT4_jjP12ihipStream_tbEUlT_E0_NS1_11comp_targetILNS1_3genE10ELNS1_11target_archE1201ELNS1_3gpuE5ELNS1_3repE0EEENS1_52radix_sort_onesweep_histogram_config_static_selectorELNS0_4arch9wavefront6targetE1EEEvSB_
                                        ; -- End function
	.section	.AMDGPU.csdata,"",@progbits
; Kernel info:
; codeLenInByte = 0
; NumSgprs: 4
; NumVgprs: 0
; NumAgprs: 0
; TotalNumVgprs: 0
; ScratchSize: 0
; MemoryBound: 0
; FloatMode: 240
; IeeeMode: 1
; LDSByteSize: 0 bytes/workgroup (compile time only)
; SGPRBlocks: 0
; VGPRBlocks: 0
; NumSGPRsForWavesPerEU: 4
; NumVGPRsForWavesPerEU: 1
; AccumOffset: 4
; Occupancy: 8
; WaveLimiterHint : 0
; COMPUTE_PGM_RSRC2:SCRATCH_EN: 0
; COMPUTE_PGM_RSRC2:USER_SGPR: 6
; COMPUTE_PGM_RSRC2:TRAP_HANDLER: 0
; COMPUTE_PGM_RSRC2:TGID_X_EN: 1
; COMPUTE_PGM_RSRC2:TGID_Y_EN: 0
; COMPUTE_PGM_RSRC2:TGID_Z_EN: 0
; COMPUTE_PGM_RSRC2:TIDIG_COMP_CNT: 0
; COMPUTE_PGM_RSRC3_GFX90A:ACCUM_OFFSET: 0
; COMPUTE_PGM_RSRC3_GFX90A:TG_SPLIT: 0
	.section	.text._ZN7rocprim17ROCPRIM_400000_NS6detail17trampoline_kernelINS0_14default_configENS1_35radix_sort_onesweep_config_selectorIjyEEZNS1_34radix_sort_onesweep_global_offsetsIS3_Lb0EPjPyjNS0_19identity_decomposerEEE10hipError_tT1_T2_PT3_SD_jT4_jjP12ihipStream_tbEUlT_E0_NS1_11comp_targetILNS1_3genE9ELNS1_11target_archE1100ELNS1_3gpuE3ELNS1_3repE0EEENS1_52radix_sort_onesweep_histogram_config_static_selectorELNS0_4arch9wavefront6targetE1EEEvSB_,"axG",@progbits,_ZN7rocprim17ROCPRIM_400000_NS6detail17trampoline_kernelINS0_14default_configENS1_35radix_sort_onesweep_config_selectorIjyEEZNS1_34radix_sort_onesweep_global_offsetsIS3_Lb0EPjPyjNS0_19identity_decomposerEEE10hipError_tT1_T2_PT3_SD_jT4_jjP12ihipStream_tbEUlT_E0_NS1_11comp_targetILNS1_3genE9ELNS1_11target_archE1100ELNS1_3gpuE3ELNS1_3repE0EEENS1_52radix_sort_onesweep_histogram_config_static_selectorELNS0_4arch9wavefront6targetE1EEEvSB_,comdat
	.protected	_ZN7rocprim17ROCPRIM_400000_NS6detail17trampoline_kernelINS0_14default_configENS1_35radix_sort_onesweep_config_selectorIjyEEZNS1_34radix_sort_onesweep_global_offsetsIS3_Lb0EPjPyjNS0_19identity_decomposerEEE10hipError_tT1_T2_PT3_SD_jT4_jjP12ihipStream_tbEUlT_E0_NS1_11comp_targetILNS1_3genE9ELNS1_11target_archE1100ELNS1_3gpuE3ELNS1_3repE0EEENS1_52radix_sort_onesweep_histogram_config_static_selectorELNS0_4arch9wavefront6targetE1EEEvSB_ ; -- Begin function _ZN7rocprim17ROCPRIM_400000_NS6detail17trampoline_kernelINS0_14default_configENS1_35radix_sort_onesweep_config_selectorIjyEEZNS1_34radix_sort_onesweep_global_offsetsIS3_Lb0EPjPyjNS0_19identity_decomposerEEE10hipError_tT1_T2_PT3_SD_jT4_jjP12ihipStream_tbEUlT_E0_NS1_11comp_targetILNS1_3genE9ELNS1_11target_archE1100ELNS1_3gpuE3ELNS1_3repE0EEENS1_52radix_sort_onesweep_histogram_config_static_selectorELNS0_4arch9wavefront6targetE1EEEvSB_
	.globl	_ZN7rocprim17ROCPRIM_400000_NS6detail17trampoline_kernelINS0_14default_configENS1_35radix_sort_onesweep_config_selectorIjyEEZNS1_34radix_sort_onesweep_global_offsetsIS3_Lb0EPjPyjNS0_19identity_decomposerEEE10hipError_tT1_T2_PT3_SD_jT4_jjP12ihipStream_tbEUlT_E0_NS1_11comp_targetILNS1_3genE9ELNS1_11target_archE1100ELNS1_3gpuE3ELNS1_3repE0EEENS1_52radix_sort_onesweep_histogram_config_static_selectorELNS0_4arch9wavefront6targetE1EEEvSB_
	.p2align	8
	.type	_ZN7rocprim17ROCPRIM_400000_NS6detail17trampoline_kernelINS0_14default_configENS1_35radix_sort_onesweep_config_selectorIjyEEZNS1_34radix_sort_onesweep_global_offsetsIS3_Lb0EPjPyjNS0_19identity_decomposerEEE10hipError_tT1_T2_PT3_SD_jT4_jjP12ihipStream_tbEUlT_E0_NS1_11comp_targetILNS1_3genE9ELNS1_11target_archE1100ELNS1_3gpuE3ELNS1_3repE0EEENS1_52radix_sort_onesweep_histogram_config_static_selectorELNS0_4arch9wavefront6targetE1EEEvSB_,@function
_ZN7rocprim17ROCPRIM_400000_NS6detail17trampoline_kernelINS0_14default_configENS1_35radix_sort_onesweep_config_selectorIjyEEZNS1_34radix_sort_onesweep_global_offsetsIS3_Lb0EPjPyjNS0_19identity_decomposerEEE10hipError_tT1_T2_PT3_SD_jT4_jjP12ihipStream_tbEUlT_E0_NS1_11comp_targetILNS1_3genE9ELNS1_11target_archE1100ELNS1_3gpuE3ELNS1_3repE0EEENS1_52radix_sort_onesweep_histogram_config_static_selectorELNS0_4arch9wavefront6targetE1EEEvSB_: ; @_ZN7rocprim17ROCPRIM_400000_NS6detail17trampoline_kernelINS0_14default_configENS1_35radix_sort_onesweep_config_selectorIjyEEZNS1_34radix_sort_onesweep_global_offsetsIS3_Lb0EPjPyjNS0_19identity_decomposerEEE10hipError_tT1_T2_PT3_SD_jT4_jjP12ihipStream_tbEUlT_E0_NS1_11comp_targetILNS1_3genE9ELNS1_11target_archE1100ELNS1_3gpuE3ELNS1_3repE0EEENS1_52radix_sort_onesweep_histogram_config_static_selectorELNS0_4arch9wavefront6targetE1EEEvSB_
; %bb.0:
	.section	.rodata,"a",@progbits
	.p2align	6, 0x0
	.amdhsa_kernel _ZN7rocprim17ROCPRIM_400000_NS6detail17trampoline_kernelINS0_14default_configENS1_35radix_sort_onesweep_config_selectorIjyEEZNS1_34radix_sort_onesweep_global_offsetsIS3_Lb0EPjPyjNS0_19identity_decomposerEEE10hipError_tT1_T2_PT3_SD_jT4_jjP12ihipStream_tbEUlT_E0_NS1_11comp_targetILNS1_3genE9ELNS1_11target_archE1100ELNS1_3gpuE3ELNS1_3repE0EEENS1_52radix_sort_onesweep_histogram_config_static_selectorELNS0_4arch9wavefront6targetE1EEEvSB_
		.amdhsa_group_segment_fixed_size 0
		.amdhsa_private_segment_fixed_size 0
		.amdhsa_kernarg_size 8
		.amdhsa_user_sgpr_count 6
		.amdhsa_user_sgpr_private_segment_buffer 1
		.amdhsa_user_sgpr_dispatch_ptr 0
		.amdhsa_user_sgpr_queue_ptr 0
		.amdhsa_user_sgpr_kernarg_segment_ptr 1
		.amdhsa_user_sgpr_dispatch_id 0
		.amdhsa_user_sgpr_flat_scratch_init 0
		.amdhsa_user_sgpr_kernarg_preload_length 0
		.amdhsa_user_sgpr_kernarg_preload_offset 0
		.amdhsa_user_sgpr_private_segment_size 0
		.amdhsa_uses_dynamic_stack 0
		.amdhsa_system_sgpr_private_segment_wavefront_offset 0
		.amdhsa_system_sgpr_workgroup_id_x 1
		.amdhsa_system_sgpr_workgroup_id_y 0
		.amdhsa_system_sgpr_workgroup_id_z 0
		.amdhsa_system_sgpr_workgroup_info 0
		.amdhsa_system_vgpr_workitem_id 0
		.amdhsa_next_free_vgpr 1
		.amdhsa_next_free_sgpr 0
		.amdhsa_accum_offset 4
		.amdhsa_reserve_vcc 0
		.amdhsa_reserve_flat_scratch 0
		.amdhsa_float_round_mode_32 0
		.amdhsa_float_round_mode_16_64 0
		.amdhsa_float_denorm_mode_32 3
		.amdhsa_float_denorm_mode_16_64 3
		.amdhsa_dx10_clamp 1
		.amdhsa_ieee_mode 1
		.amdhsa_fp16_overflow 0
		.amdhsa_tg_split 0
		.amdhsa_exception_fp_ieee_invalid_op 0
		.amdhsa_exception_fp_denorm_src 0
		.amdhsa_exception_fp_ieee_div_zero 0
		.amdhsa_exception_fp_ieee_overflow 0
		.amdhsa_exception_fp_ieee_underflow 0
		.amdhsa_exception_fp_ieee_inexact 0
		.amdhsa_exception_int_div_zero 0
	.end_amdhsa_kernel
	.section	.text._ZN7rocprim17ROCPRIM_400000_NS6detail17trampoline_kernelINS0_14default_configENS1_35radix_sort_onesweep_config_selectorIjyEEZNS1_34radix_sort_onesweep_global_offsetsIS3_Lb0EPjPyjNS0_19identity_decomposerEEE10hipError_tT1_T2_PT3_SD_jT4_jjP12ihipStream_tbEUlT_E0_NS1_11comp_targetILNS1_3genE9ELNS1_11target_archE1100ELNS1_3gpuE3ELNS1_3repE0EEENS1_52radix_sort_onesweep_histogram_config_static_selectorELNS0_4arch9wavefront6targetE1EEEvSB_,"axG",@progbits,_ZN7rocprim17ROCPRIM_400000_NS6detail17trampoline_kernelINS0_14default_configENS1_35radix_sort_onesweep_config_selectorIjyEEZNS1_34radix_sort_onesweep_global_offsetsIS3_Lb0EPjPyjNS0_19identity_decomposerEEE10hipError_tT1_T2_PT3_SD_jT4_jjP12ihipStream_tbEUlT_E0_NS1_11comp_targetILNS1_3genE9ELNS1_11target_archE1100ELNS1_3gpuE3ELNS1_3repE0EEENS1_52radix_sort_onesweep_histogram_config_static_selectorELNS0_4arch9wavefront6targetE1EEEvSB_,comdat
.Lfunc_end542:
	.size	_ZN7rocprim17ROCPRIM_400000_NS6detail17trampoline_kernelINS0_14default_configENS1_35radix_sort_onesweep_config_selectorIjyEEZNS1_34radix_sort_onesweep_global_offsetsIS3_Lb0EPjPyjNS0_19identity_decomposerEEE10hipError_tT1_T2_PT3_SD_jT4_jjP12ihipStream_tbEUlT_E0_NS1_11comp_targetILNS1_3genE9ELNS1_11target_archE1100ELNS1_3gpuE3ELNS1_3repE0EEENS1_52radix_sort_onesweep_histogram_config_static_selectorELNS0_4arch9wavefront6targetE1EEEvSB_, .Lfunc_end542-_ZN7rocprim17ROCPRIM_400000_NS6detail17trampoline_kernelINS0_14default_configENS1_35radix_sort_onesweep_config_selectorIjyEEZNS1_34radix_sort_onesweep_global_offsetsIS3_Lb0EPjPyjNS0_19identity_decomposerEEE10hipError_tT1_T2_PT3_SD_jT4_jjP12ihipStream_tbEUlT_E0_NS1_11comp_targetILNS1_3genE9ELNS1_11target_archE1100ELNS1_3gpuE3ELNS1_3repE0EEENS1_52radix_sort_onesweep_histogram_config_static_selectorELNS0_4arch9wavefront6targetE1EEEvSB_
                                        ; -- End function
	.section	.AMDGPU.csdata,"",@progbits
; Kernel info:
; codeLenInByte = 0
; NumSgprs: 4
; NumVgprs: 0
; NumAgprs: 0
; TotalNumVgprs: 0
; ScratchSize: 0
; MemoryBound: 0
; FloatMode: 240
; IeeeMode: 1
; LDSByteSize: 0 bytes/workgroup (compile time only)
; SGPRBlocks: 0
; VGPRBlocks: 0
; NumSGPRsForWavesPerEU: 4
; NumVGPRsForWavesPerEU: 1
; AccumOffset: 4
; Occupancy: 8
; WaveLimiterHint : 0
; COMPUTE_PGM_RSRC2:SCRATCH_EN: 0
; COMPUTE_PGM_RSRC2:USER_SGPR: 6
; COMPUTE_PGM_RSRC2:TRAP_HANDLER: 0
; COMPUTE_PGM_RSRC2:TGID_X_EN: 1
; COMPUTE_PGM_RSRC2:TGID_Y_EN: 0
; COMPUTE_PGM_RSRC2:TGID_Z_EN: 0
; COMPUTE_PGM_RSRC2:TIDIG_COMP_CNT: 0
; COMPUTE_PGM_RSRC3_GFX90A:ACCUM_OFFSET: 0
; COMPUTE_PGM_RSRC3_GFX90A:TG_SPLIT: 0
	.section	.text._ZN7rocprim17ROCPRIM_400000_NS6detail17trampoline_kernelINS0_14default_configENS1_35radix_sort_onesweep_config_selectorIjyEEZNS1_34radix_sort_onesweep_global_offsetsIS3_Lb0EPjPyjNS0_19identity_decomposerEEE10hipError_tT1_T2_PT3_SD_jT4_jjP12ihipStream_tbEUlT_E0_NS1_11comp_targetILNS1_3genE8ELNS1_11target_archE1030ELNS1_3gpuE2ELNS1_3repE0EEENS1_52radix_sort_onesweep_histogram_config_static_selectorELNS0_4arch9wavefront6targetE1EEEvSB_,"axG",@progbits,_ZN7rocprim17ROCPRIM_400000_NS6detail17trampoline_kernelINS0_14default_configENS1_35radix_sort_onesweep_config_selectorIjyEEZNS1_34radix_sort_onesweep_global_offsetsIS3_Lb0EPjPyjNS0_19identity_decomposerEEE10hipError_tT1_T2_PT3_SD_jT4_jjP12ihipStream_tbEUlT_E0_NS1_11comp_targetILNS1_3genE8ELNS1_11target_archE1030ELNS1_3gpuE2ELNS1_3repE0EEENS1_52radix_sort_onesweep_histogram_config_static_selectorELNS0_4arch9wavefront6targetE1EEEvSB_,comdat
	.protected	_ZN7rocprim17ROCPRIM_400000_NS6detail17trampoline_kernelINS0_14default_configENS1_35radix_sort_onesweep_config_selectorIjyEEZNS1_34radix_sort_onesweep_global_offsetsIS3_Lb0EPjPyjNS0_19identity_decomposerEEE10hipError_tT1_T2_PT3_SD_jT4_jjP12ihipStream_tbEUlT_E0_NS1_11comp_targetILNS1_3genE8ELNS1_11target_archE1030ELNS1_3gpuE2ELNS1_3repE0EEENS1_52radix_sort_onesweep_histogram_config_static_selectorELNS0_4arch9wavefront6targetE1EEEvSB_ ; -- Begin function _ZN7rocprim17ROCPRIM_400000_NS6detail17trampoline_kernelINS0_14default_configENS1_35radix_sort_onesweep_config_selectorIjyEEZNS1_34radix_sort_onesweep_global_offsetsIS3_Lb0EPjPyjNS0_19identity_decomposerEEE10hipError_tT1_T2_PT3_SD_jT4_jjP12ihipStream_tbEUlT_E0_NS1_11comp_targetILNS1_3genE8ELNS1_11target_archE1030ELNS1_3gpuE2ELNS1_3repE0EEENS1_52radix_sort_onesweep_histogram_config_static_selectorELNS0_4arch9wavefront6targetE1EEEvSB_
	.globl	_ZN7rocprim17ROCPRIM_400000_NS6detail17trampoline_kernelINS0_14default_configENS1_35radix_sort_onesweep_config_selectorIjyEEZNS1_34radix_sort_onesweep_global_offsetsIS3_Lb0EPjPyjNS0_19identity_decomposerEEE10hipError_tT1_T2_PT3_SD_jT4_jjP12ihipStream_tbEUlT_E0_NS1_11comp_targetILNS1_3genE8ELNS1_11target_archE1030ELNS1_3gpuE2ELNS1_3repE0EEENS1_52radix_sort_onesweep_histogram_config_static_selectorELNS0_4arch9wavefront6targetE1EEEvSB_
	.p2align	8
	.type	_ZN7rocprim17ROCPRIM_400000_NS6detail17trampoline_kernelINS0_14default_configENS1_35radix_sort_onesweep_config_selectorIjyEEZNS1_34radix_sort_onesweep_global_offsetsIS3_Lb0EPjPyjNS0_19identity_decomposerEEE10hipError_tT1_T2_PT3_SD_jT4_jjP12ihipStream_tbEUlT_E0_NS1_11comp_targetILNS1_3genE8ELNS1_11target_archE1030ELNS1_3gpuE2ELNS1_3repE0EEENS1_52radix_sort_onesweep_histogram_config_static_selectorELNS0_4arch9wavefront6targetE1EEEvSB_,@function
_ZN7rocprim17ROCPRIM_400000_NS6detail17trampoline_kernelINS0_14default_configENS1_35radix_sort_onesweep_config_selectorIjyEEZNS1_34radix_sort_onesweep_global_offsetsIS3_Lb0EPjPyjNS0_19identity_decomposerEEE10hipError_tT1_T2_PT3_SD_jT4_jjP12ihipStream_tbEUlT_E0_NS1_11comp_targetILNS1_3genE8ELNS1_11target_archE1030ELNS1_3gpuE2ELNS1_3repE0EEENS1_52radix_sort_onesweep_histogram_config_static_selectorELNS0_4arch9wavefront6targetE1EEEvSB_: ; @_ZN7rocprim17ROCPRIM_400000_NS6detail17trampoline_kernelINS0_14default_configENS1_35radix_sort_onesweep_config_selectorIjyEEZNS1_34radix_sort_onesweep_global_offsetsIS3_Lb0EPjPyjNS0_19identity_decomposerEEE10hipError_tT1_T2_PT3_SD_jT4_jjP12ihipStream_tbEUlT_E0_NS1_11comp_targetILNS1_3genE8ELNS1_11target_archE1030ELNS1_3gpuE2ELNS1_3repE0EEENS1_52radix_sort_onesweep_histogram_config_static_selectorELNS0_4arch9wavefront6targetE1EEEvSB_
; %bb.0:
	.section	.rodata,"a",@progbits
	.p2align	6, 0x0
	.amdhsa_kernel _ZN7rocprim17ROCPRIM_400000_NS6detail17trampoline_kernelINS0_14default_configENS1_35radix_sort_onesweep_config_selectorIjyEEZNS1_34radix_sort_onesweep_global_offsetsIS3_Lb0EPjPyjNS0_19identity_decomposerEEE10hipError_tT1_T2_PT3_SD_jT4_jjP12ihipStream_tbEUlT_E0_NS1_11comp_targetILNS1_3genE8ELNS1_11target_archE1030ELNS1_3gpuE2ELNS1_3repE0EEENS1_52radix_sort_onesweep_histogram_config_static_selectorELNS0_4arch9wavefront6targetE1EEEvSB_
		.amdhsa_group_segment_fixed_size 0
		.amdhsa_private_segment_fixed_size 0
		.amdhsa_kernarg_size 8
		.amdhsa_user_sgpr_count 6
		.amdhsa_user_sgpr_private_segment_buffer 1
		.amdhsa_user_sgpr_dispatch_ptr 0
		.amdhsa_user_sgpr_queue_ptr 0
		.amdhsa_user_sgpr_kernarg_segment_ptr 1
		.amdhsa_user_sgpr_dispatch_id 0
		.amdhsa_user_sgpr_flat_scratch_init 0
		.amdhsa_user_sgpr_kernarg_preload_length 0
		.amdhsa_user_sgpr_kernarg_preload_offset 0
		.amdhsa_user_sgpr_private_segment_size 0
		.amdhsa_uses_dynamic_stack 0
		.amdhsa_system_sgpr_private_segment_wavefront_offset 0
		.amdhsa_system_sgpr_workgroup_id_x 1
		.amdhsa_system_sgpr_workgroup_id_y 0
		.amdhsa_system_sgpr_workgroup_id_z 0
		.amdhsa_system_sgpr_workgroup_info 0
		.amdhsa_system_vgpr_workitem_id 0
		.amdhsa_next_free_vgpr 1
		.amdhsa_next_free_sgpr 0
		.amdhsa_accum_offset 4
		.amdhsa_reserve_vcc 0
		.amdhsa_reserve_flat_scratch 0
		.amdhsa_float_round_mode_32 0
		.amdhsa_float_round_mode_16_64 0
		.amdhsa_float_denorm_mode_32 3
		.amdhsa_float_denorm_mode_16_64 3
		.amdhsa_dx10_clamp 1
		.amdhsa_ieee_mode 1
		.amdhsa_fp16_overflow 0
		.amdhsa_tg_split 0
		.amdhsa_exception_fp_ieee_invalid_op 0
		.amdhsa_exception_fp_denorm_src 0
		.amdhsa_exception_fp_ieee_div_zero 0
		.amdhsa_exception_fp_ieee_overflow 0
		.amdhsa_exception_fp_ieee_underflow 0
		.amdhsa_exception_fp_ieee_inexact 0
		.amdhsa_exception_int_div_zero 0
	.end_amdhsa_kernel
	.section	.text._ZN7rocprim17ROCPRIM_400000_NS6detail17trampoline_kernelINS0_14default_configENS1_35radix_sort_onesweep_config_selectorIjyEEZNS1_34radix_sort_onesweep_global_offsetsIS3_Lb0EPjPyjNS0_19identity_decomposerEEE10hipError_tT1_T2_PT3_SD_jT4_jjP12ihipStream_tbEUlT_E0_NS1_11comp_targetILNS1_3genE8ELNS1_11target_archE1030ELNS1_3gpuE2ELNS1_3repE0EEENS1_52radix_sort_onesweep_histogram_config_static_selectorELNS0_4arch9wavefront6targetE1EEEvSB_,"axG",@progbits,_ZN7rocprim17ROCPRIM_400000_NS6detail17trampoline_kernelINS0_14default_configENS1_35radix_sort_onesweep_config_selectorIjyEEZNS1_34radix_sort_onesweep_global_offsetsIS3_Lb0EPjPyjNS0_19identity_decomposerEEE10hipError_tT1_T2_PT3_SD_jT4_jjP12ihipStream_tbEUlT_E0_NS1_11comp_targetILNS1_3genE8ELNS1_11target_archE1030ELNS1_3gpuE2ELNS1_3repE0EEENS1_52radix_sort_onesweep_histogram_config_static_selectorELNS0_4arch9wavefront6targetE1EEEvSB_,comdat
.Lfunc_end543:
	.size	_ZN7rocprim17ROCPRIM_400000_NS6detail17trampoline_kernelINS0_14default_configENS1_35radix_sort_onesweep_config_selectorIjyEEZNS1_34radix_sort_onesweep_global_offsetsIS3_Lb0EPjPyjNS0_19identity_decomposerEEE10hipError_tT1_T2_PT3_SD_jT4_jjP12ihipStream_tbEUlT_E0_NS1_11comp_targetILNS1_3genE8ELNS1_11target_archE1030ELNS1_3gpuE2ELNS1_3repE0EEENS1_52radix_sort_onesweep_histogram_config_static_selectorELNS0_4arch9wavefront6targetE1EEEvSB_, .Lfunc_end543-_ZN7rocprim17ROCPRIM_400000_NS6detail17trampoline_kernelINS0_14default_configENS1_35radix_sort_onesweep_config_selectorIjyEEZNS1_34radix_sort_onesweep_global_offsetsIS3_Lb0EPjPyjNS0_19identity_decomposerEEE10hipError_tT1_T2_PT3_SD_jT4_jjP12ihipStream_tbEUlT_E0_NS1_11comp_targetILNS1_3genE8ELNS1_11target_archE1030ELNS1_3gpuE2ELNS1_3repE0EEENS1_52radix_sort_onesweep_histogram_config_static_selectorELNS0_4arch9wavefront6targetE1EEEvSB_
                                        ; -- End function
	.section	.AMDGPU.csdata,"",@progbits
; Kernel info:
; codeLenInByte = 0
; NumSgprs: 4
; NumVgprs: 0
; NumAgprs: 0
; TotalNumVgprs: 0
; ScratchSize: 0
; MemoryBound: 0
; FloatMode: 240
; IeeeMode: 1
; LDSByteSize: 0 bytes/workgroup (compile time only)
; SGPRBlocks: 0
; VGPRBlocks: 0
; NumSGPRsForWavesPerEU: 4
; NumVGPRsForWavesPerEU: 1
; AccumOffset: 4
; Occupancy: 8
; WaveLimiterHint : 0
; COMPUTE_PGM_RSRC2:SCRATCH_EN: 0
; COMPUTE_PGM_RSRC2:USER_SGPR: 6
; COMPUTE_PGM_RSRC2:TRAP_HANDLER: 0
; COMPUTE_PGM_RSRC2:TGID_X_EN: 1
; COMPUTE_PGM_RSRC2:TGID_Y_EN: 0
; COMPUTE_PGM_RSRC2:TGID_Z_EN: 0
; COMPUTE_PGM_RSRC2:TIDIG_COMP_CNT: 0
; COMPUTE_PGM_RSRC3_GFX90A:ACCUM_OFFSET: 0
; COMPUTE_PGM_RSRC3_GFX90A:TG_SPLIT: 0
	.section	.text._ZN7rocprim17ROCPRIM_400000_NS6detail17trampoline_kernelINS0_14default_configENS1_35radix_sort_onesweep_config_selectorIjyEEZZNS1_29radix_sort_onesweep_iterationIS3_Lb0EPjS7_PyS8_jNS0_19identity_decomposerENS1_16block_id_wrapperIjLb1EEEEE10hipError_tT1_PNSt15iterator_traitsISD_E10value_typeET2_T3_PNSE_ISJ_E10value_typeET4_T5_PSO_SP_PNS1_23onesweep_lookback_stateEbbT6_jjT7_P12ihipStream_tbENKUlT_T0_SD_SI_E_clIS7_S7_S8_S8_EEDaSW_SX_SD_SI_EUlSW_E_NS1_11comp_targetILNS1_3genE0ELNS1_11target_archE4294967295ELNS1_3gpuE0ELNS1_3repE0EEENS1_47radix_sort_onesweep_sort_config_static_selectorELNS0_4arch9wavefront6targetE1EEEvSD_,"axG",@progbits,_ZN7rocprim17ROCPRIM_400000_NS6detail17trampoline_kernelINS0_14default_configENS1_35radix_sort_onesweep_config_selectorIjyEEZZNS1_29radix_sort_onesweep_iterationIS3_Lb0EPjS7_PyS8_jNS0_19identity_decomposerENS1_16block_id_wrapperIjLb1EEEEE10hipError_tT1_PNSt15iterator_traitsISD_E10value_typeET2_T3_PNSE_ISJ_E10value_typeET4_T5_PSO_SP_PNS1_23onesweep_lookback_stateEbbT6_jjT7_P12ihipStream_tbENKUlT_T0_SD_SI_E_clIS7_S7_S8_S8_EEDaSW_SX_SD_SI_EUlSW_E_NS1_11comp_targetILNS1_3genE0ELNS1_11target_archE4294967295ELNS1_3gpuE0ELNS1_3repE0EEENS1_47radix_sort_onesweep_sort_config_static_selectorELNS0_4arch9wavefront6targetE1EEEvSD_,comdat
	.protected	_ZN7rocprim17ROCPRIM_400000_NS6detail17trampoline_kernelINS0_14default_configENS1_35radix_sort_onesweep_config_selectorIjyEEZZNS1_29radix_sort_onesweep_iterationIS3_Lb0EPjS7_PyS8_jNS0_19identity_decomposerENS1_16block_id_wrapperIjLb1EEEEE10hipError_tT1_PNSt15iterator_traitsISD_E10value_typeET2_T3_PNSE_ISJ_E10value_typeET4_T5_PSO_SP_PNS1_23onesweep_lookback_stateEbbT6_jjT7_P12ihipStream_tbENKUlT_T0_SD_SI_E_clIS7_S7_S8_S8_EEDaSW_SX_SD_SI_EUlSW_E_NS1_11comp_targetILNS1_3genE0ELNS1_11target_archE4294967295ELNS1_3gpuE0ELNS1_3repE0EEENS1_47radix_sort_onesweep_sort_config_static_selectorELNS0_4arch9wavefront6targetE1EEEvSD_ ; -- Begin function _ZN7rocprim17ROCPRIM_400000_NS6detail17trampoline_kernelINS0_14default_configENS1_35radix_sort_onesweep_config_selectorIjyEEZZNS1_29radix_sort_onesweep_iterationIS3_Lb0EPjS7_PyS8_jNS0_19identity_decomposerENS1_16block_id_wrapperIjLb1EEEEE10hipError_tT1_PNSt15iterator_traitsISD_E10value_typeET2_T3_PNSE_ISJ_E10value_typeET4_T5_PSO_SP_PNS1_23onesweep_lookback_stateEbbT6_jjT7_P12ihipStream_tbENKUlT_T0_SD_SI_E_clIS7_S7_S8_S8_EEDaSW_SX_SD_SI_EUlSW_E_NS1_11comp_targetILNS1_3genE0ELNS1_11target_archE4294967295ELNS1_3gpuE0ELNS1_3repE0EEENS1_47radix_sort_onesweep_sort_config_static_selectorELNS0_4arch9wavefront6targetE1EEEvSD_
	.globl	_ZN7rocprim17ROCPRIM_400000_NS6detail17trampoline_kernelINS0_14default_configENS1_35radix_sort_onesweep_config_selectorIjyEEZZNS1_29radix_sort_onesweep_iterationIS3_Lb0EPjS7_PyS8_jNS0_19identity_decomposerENS1_16block_id_wrapperIjLb1EEEEE10hipError_tT1_PNSt15iterator_traitsISD_E10value_typeET2_T3_PNSE_ISJ_E10value_typeET4_T5_PSO_SP_PNS1_23onesweep_lookback_stateEbbT6_jjT7_P12ihipStream_tbENKUlT_T0_SD_SI_E_clIS7_S7_S8_S8_EEDaSW_SX_SD_SI_EUlSW_E_NS1_11comp_targetILNS1_3genE0ELNS1_11target_archE4294967295ELNS1_3gpuE0ELNS1_3repE0EEENS1_47radix_sort_onesweep_sort_config_static_selectorELNS0_4arch9wavefront6targetE1EEEvSD_
	.p2align	8
	.type	_ZN7rocprim17ROCPRIM_400000_NS6detail17trampoline_kernelINS0_14default_configENS1_35radix_sort_onesweep_config_selectorIjyEEZZNS1_29radix_sort_onesweep_iterationIS3_Lb0EPjS7_PyS8_jNS0_19identity_decomposerENS1_16block_id_wrapperIjLb1EEEEE10hipError_tT1_PNSt15iterator_traitsISD_E10value_typeET2_T3_PNSE_ISJ_E10value_typeET4_T5_PSO_SP_PNS1_23onesweep_lookback_stateEbbT6_jjT7_P12ihipStream_tbENKUlT_T0_SD_SI_E_clIS7_S7_S8_S8_EEDaSW_SX_SD_SI_EUlSW_E_NS1_11comp_targetILNS1_3genE0ELNS1_11target_archE4294967295ELNS1_3gpuE0ELNS1_3repE0EEENS1_47radix_sort_onesweep_sort_config_static_selectorELNS0_4arch9wavefront6targetE1EEEvSD_,@function
_ZN7rocprim17ROCPRIM_400000_NS6detail17trampoline_kernelINS0_14default_configENS1_35radix_sort_onesweep_config_selectorIjyEEZZNS1_29radix_sort_onesweep_iterationIS3_Lb0EPjS7_PyS8_jNS0_19identity_decomposerENS1_16block_id_wrapperIjLb1EEEEE10hipError_tT1_PNSt15iterator_traitsISD_E10value_typeET2_T3_PNSE_ISJ_E10value_typeET4_T5_PSO_SP_PNS1_23onesweep_lookback_stateEbbT6_jjT7_P12ihipStream_tbENKUlT_T0_SD_SI_E_clIS7_S7_S8_S8_EEDaSW_SX_SD_SI_EUlSW_E_NS1_11comp_targetILNS1_3genE0ELNS1_11target_archE4294967295ELNS1_3gpuE0ELNS1_3repE0EEENS1_47radix_sort_onesweep_sort_config_static_selectorELNS0_4arch9wavefront6targetE1EEEvSD_: ; @_ZN7rocprim17ROCPRIM_400000_NS6detail17trampoline_kernelINS0_14default_configENS1_35radix_sort_onesweep_config_selectorIjyEEZZNS1_29radix_sort_onesweep_iterationIS3_Lb0EPjS7_PyS8_jNS0_19identity_decomposerENS1_16block_id_wrapperIjLb1EEEEE10hipError_tT1_PNSt15iterator_traitsISD_E10value_typeET2_T3_PNSE_ISJ_E10value_typeET4_T5_PSO_SP_PNS1_23onesweep_lookback_stateEbbT6_jjT7_P12ihipStream_tbENKUlT_T0_SD_SI_E_clIS7_S7_S8_S8_EEDaSW_SX_SD_SI_EUlSW_E_NS1_11comp_targetILNS1_3genE0ELNS1_11target_archE4294967295ELNS1_3gpuE0ELNS1_3repE0EEENS1_47radix_sort_onesweep_sort_config_static_selectorELNS0_4arch9wavefront6targetE1EEEvSD_
; %bb.0:
	.section	.rodata,"a",@progbits
	.p2align	6, 0x0
	.amdhsa_kernel _ZN7rocprim17ROCPRIM_400000_NS6detail17trampoline_kernelINS0_14default_configENS1_35radix_sort_onesweep_config_selectorIjyEEZZNS1_29radix_sort_onesweep_iterationIS3_Lb0EPjS7_PyS8_jNS0_19identity_decomposerENS1_16block_id_wrapperIjLb1EEEEE10hipError_tT1_PNSt15iterator_traitsISD_E10value_typeET2_T3_PNSE_ISJ_E10value_typeET4_T5_PSO_SP_PNS1_23onesweep_lookback_stateEbbT6_jjT7_P12ihipStream_tbENKUlT_T0_SD_SI_E_clIS7_S7_S8_S8_EEDaSW_SX_SD_SI_EUlSW_E_NS1_11comp_targetILNS1_3genE0ELNS1_11target_archE4294967295ELNS1_3gpuE0ELNS1_3repE0EEENS1_47radix_sort_onesweep_sort_config_static_selectorELNS0_4arch9wavefront6targetE1EEEvSD_
		.amdhsa_group_segment_fixed_size 0
		.amdhsa_private_segment_fixed_size 0
		.amdhsa_kernarg_size 88
		.amdhsa_user_sgpr_count 6
		.amdhsa_user_sgpr_private_segment_buffer 1
		.amdhsa_user_sgpr_dispatch_ptr 0
		.amdhsa_user_sgpr_queue_ptr 0
		.amdhsa_user_sgpr_kernarg_segment_ptr 1
		.amdhsa_user_sgpr_dispatch_id 0
		.amdhsa_user_sgpr_flat_scratch_init 0
		.amdhsa_user_sgpr_kernarg_preload_length 0
		.amdhsa_user_sgpr_kernarg_preload_offset 0
		.amdhsa_user_sgpr_private_segment_size 0
		.amdhsa_uses_dynamic_stack 0
		.amdhsa_system_sgpr_private_segment_wavefront_offset 0
		.amdhsa_system_sgpr_workgroup_id_x 1
		.amdhsa_system_sgpr_workgroup_id_y 0
		.amdhsa_system_sgpr_workgroup_id_z 0
		.amdhsa_system_sgpr_workgroup_info 0
		.amdhsa_system_vgpr_workitem_id 0
		.amdhsa_next_free_vgpr 1
		.amdhsa_next_free_sgpr 0
		.amdhsa_accum_offset 4
		.amdhsa_reserve_vcc 0
		.amdhsa_reserve_flat_scratch 0
		.amdhsa_float_round_mode_32 0
		.amdhsa_float_round_mode_16_64 0
		.amdhsa_float_denorm_mode_32 3
		.amdhsa_float_denorm_mode_16_64 3
		.amdhsa_dx10_clamp 1
		.amdhsa_ieee_mode 1
		.amdhsa_fp16_overflow 0
		.amdhsa_tg_split 0
		.amdhsa_exception_fp_ieee_invalid_op 0
		.amdhsa_exception_fp_denorm_src 0
		.amdhsa_exception_fp_ieee_div_zero 0
		.amdhsa_exception_fp_ieee_overflow 0
		.amdhsa_exception_fp_ieee_underflow 0
		.amdhsa_exception_fp_ieee_inexact 0
		.amdhsa_exception_int_div_zero 0
	.end_amdhsa_kernel
	.section	.text._ZN7rocprim17ROCPRIM_400000_NS6detail17trampoline_kernelINS0_14default_configENS1_35radix_sort_onesweep_config_selectorIjyEEZZNS1_29radix_sort_onesweep_iterationIS3_Lb0EPjS7_PyS8_jNS0_19identity_decomposerENS1_16block_id_wrapperIjLb1EEEEE10hipError_tT1_PNSt15iterator_traitsISD_E10value_typeET2_T3_PNSE_ISJ_E10value_typeET4_T5_PSO_SP_PNS1_23onesweep_lookback_stateEbbT6_jjT7_P12ihipStream_tbENKUlT_T0_SD_SI_E_clIS7_S7_S8_S8_EEDaSW_SX_SD_SI_EUlSW_E_NS1_11comp_targetILNS1_3genE0ELNS1_11target_archE4294967295ELNS1_3gpuE0ELNS1_3repE0EEENS1_47radix_sort_onesweep_sort_config_static_selectorELNS0_4arch9wavefront6targetE1EEEvSD_,"axG",@progbits,_ZN7rocprim17ROCPRIM_400000_NS6detail17trampoline_kernelINS0_14default_configENS1_35radix_sort_onesweep_config_selectorIjyEEZZNS1_29radix_sort_onesweep_iterationIS3_Lb0EPjS7_PyS8_jNS0_19identity_decomposerENS1_16block_id_wrapperIjLb1EEEEE10hipError_tT1_PNSt15iterator_traitsISD_E10value_typeET2_T3_PNSE_ISJ_E10value_typeET4_T5_PSO_SP_PNS1_23onesweep_lookback_stateEbbT6_jjT7_P12ihipStream_tbENKUlT_T0_SD_SI_E_clIS7_S7_S8_S8_EEDaSW_SX_SD_SI_EUlSW_E_NS1_11comp_targetILNS1_3genE0ELNS1_11target_archE4294967295ELNS1_3gpuE0ELNS1_3repE0EEENS1_47radix_sort_onesweep_sort_config_static_selectorELNS0_4arch9wavefront6targetE1EEEvSD_,comdat
.Lfunc_end544:
	.size	_ZN7rocprim17ROCPRIM_400000_NS6detail17trampoline_kernelINS0_14default_configENS1_35radix_sort_onesweep_config_selectorIjyEEZZNS1_29radix_sort_onesweep_iterationIS3_Lb0EPjS7_PyS8_jNS0_19identity_decomposerENS1_16block_id_wrapperIjLb1EEEEE10hipError_tT1_PNSt15iterator_traitsISD_E10value_typeET2_T3_PNSE_ISJ_E10value_typeET4_T5_PSO_SP_PNS1_23onesweep_lookback_stateEbbT6_jjT7_P12ihipStream_tbENKUlT_T0_SD_SI_E_clIS7_S7_S8_S8_EEDaSW_SX_SD_SI_EUlSW_E_NS1_11comp_targetILNS1_3genE0ELNS1_11target_archE4294967295ELNS1_3gpuE0ELNS1_3repE0EEENS1_47radix_sort_onesweep_sort_config_static_selectorELNS0_4arch9wavefront6targetE1EEEvSD_, .Lfunc_end544-_ZN7rocprim17ROCPRIM_400000_NS6detail17trampoline_kernelINS0_14default_configENS1_35radix_sort_onesweep_config_selectorIjyEEZZNS1_29radix_sort_onesweep_iterationIS3_Lb0EPjS7_PyS8_jNS0_19identity_decomposerENS1_16block_id_wrapperIjLb1EEEEE10hipError_tT1_PNSt15iterator_traitsISD_E10value_typeET2_T3_PNSE_ISJ_E10value_typeET4_T5_PSO_SP_PNS1_23onesweep_lookback_stateEbbT6_jjT7_P12ihipStream_tbENKUlT_T0_SD_SI_E_clIS7_S7_S8_S8_EEDaSW_SX_SD_SI_EUlSW_E_NS1_11comp_targetILNS1_3genE0ELNS1_11target_archE4294967295ELNS1_3gpuE0ELNS1_3repE0EEENS1_47radix_sort_onesweep_sort_config_static_selectorELNS0_4arch9wavefront6targetE1EEEvSD_
                                        ; -- End function
	.section	.AMDGPU.csdata,"",@progbits
; Kernel info:
; codeLenInByte = 0
; NumSgprs: 4
; NumVgprs: 0
; NumAgprs: 0
; TotalNumVgprs: 0
; ScratchSize: 0
; MemoryBound: 0
; FloatMode: 240
; IeeeMode: 1
; LDSByteSize: 0 bytes/workgroup (compile time only)
; SGPRBlocks: 0
; VGPRBlocks: 0
; NumSGPRsForWavesPerEU: 4
; NumVGPRsForWavesPerEU: 1
; AccumOffset: 4
; Occupancy: 8
; WaveLimiterHint : 0
; COMPUTE_PGM_RSRC2:SCRATCH_EN: 0
; COMPUTE_PGM_RSRC2:USER_SGPR: 6
; COMPUTE_PGM_RSRC2:TRAP_HANDLER: 0
; COMPUTE_PGM_RSRC2:TGID_X_EN: 1
; COMPUTE_PGM_RSRC2:TGID_Y_EN: 0
; COMPUTE_PGM_RSRC2:TGID_Z_EN: 0
; COMPUTE_PGM_RSRC2:TIDIG_COMP_CNT: 0
; COMPUTE_PGM_RSRC3_GFX90A:ACCUM_OFFSET: 0
; COMPUTE_PGM_RSRC3_GFX90A:TG_SPLIT: 0
	.section	.text._ZN7rocprim17ROCPRIM_400000_NS6detail17trampoline_kernelINS0_14default_configENS1_35radix_sort_onesweep_config_selectorIjyEEZZNS1_29radix_sort_onesweep_iterationIS3_Lb0EPjS7_PyS8_jNS0_19identity_decomposerENS1_16block_id_wrapperIjLb1EEEEE10hipError_tT1_PNSt15iterator_traitsISD_E10value_typeET2_T3_PNSE_ISJ_E10value_typeET4_T5_PSO_SP_PNS1_23onesweep_lookback_stateEbbT6_jjT7_P12ihipStream_tbENKUlT_T0_SD_SI_E_clIS7_S7_S8_S8_EEDaSW_SX_SD_SI_EUlSW_E_NS1_11comp_targetILNS1_3genE6ELNS1_11target_archE950ELNS1_3gpuE13ELNS1_3repE0EEENS1_47radix_sort_onesweep_sort_config_static_selectorELNS0_4arch9wavefront6targetE1EEEvSD_,"axG",@progbits,_ZN7rocprim17ROCPRIM_400000_NS6detail17trampoline_kernelINS0_14default_configENS1_35radix_sort_onesweep_config_selectorIjyEEZZNS1_29radix_sort_onesweep_iterationIS3_Lb0EPjS7_PyS8_jNS0_19identity_decomposerENS1_16block_id_wrapperIjLb1EEEEE10hipError_tT1_PNSt15iterator_traitsISD_E10value_typeET2_T3_PNSE_ISJ_E10value_typeET4_T5_PSO_SP_PNS1_23onesweep_lookback_stateEbbT6_jjT7_P12ihipStream_tbENKUlT_T0_SD_SI_E_clIS7_S7_S8_S8_EEDaSW_SX_SD_SI_EUlSW_E_NS1_11comp_targetILNS1_3genE6ELNS1_11target_archE950ELNS1_3gpuE13ELNS1_3repE0EEENS1_47radix_sort_onesweep_sort_config_static_selectorELNS0_4arch9wavefront6targetE1EEEvSD_,comdat
	.protected	_ZN7rocprim17ROCPRIM_400000_NS6detail17trampoline_kernelINS0_14default_configENS1_35radix_sort_onesweep_config_selectorIjyEEZZNS1_29radix_sort_onesweep_iterationIS3_Lb0EPjS7_PyS8_jNS0_19identity_decomposerENS1_16block_id_wrapperIjLb1EEEEE10hipError_tT1_PNSt15iterator_traitsISD_E10value_typeET2_T3_PNSE_ISJ_E10value_typeET4_T5_PSO_SP_PNS1_23onesweep_lookback_stateEbbT6_jjT7_P12ihipStream_tbENKUlT_T0_SD_SI_E_clIS7_S7_S8_S8_EEDaSW_SX_SD_SI_EUlSW_E_NS1_11comp_targetILNS1_3genE6ELNS1_11target_archE950ELNS1_3gpuE13ELNS1_3repE0EEENS1_47radix_sort_onesweep_sort_config_static_selectorELNS0_4arch9wavefront6targetE1EEEvSD_ ; -- Begin function _ZN7rocprim17ROCPRIM_400000_NS6detail17trampoline_kernelINS0_14default_configENS1_35radix_sort_onesweep_config_selectorIjyEEZZNS1_29radix_sort_onesweep_iterationIS3_Lb0EPjS7_PyS8_jNS0_19identity_decomposerENS1_16block_id_wrapperIjLb1EEEEE10hipError_tT1_PNSt15iterator_traitsISD_E10value_typeET2_T3_PNSE_ISJ_E10value_typeET4_T5_PSO_SP_PNS1_23onesweep_lookback_stateEbbT6_jjT7_P12ihipStream_tbENKUlT_T0_SD_SI_E_clIS7_S7_S8_S8_EEDaSW_SX_SD_SI_EUlSW_E_NS1_11comp_targetILNS1_3genE6ELNS1_11target_archE950ELNS1_3gpuE13ELNS1_3repE0EEENS1_47radix_sort_onesweep_sort_config_static_selectorELNS0_4arch9wavefront6targetE1EEEvSD_
	.globl	_ZN7rocprim17ROCPRIM_400000_NS6detail17trampoline_kernelINS0_14default_configENS1_35radix_sort_onesweep_config_selectorIjyEEZZNS1_29radix_sort_onesweep_iterationIS3_Lb0EPjS7_PyS8_jNS0_19identity_decomposerENS1_16block_id_wrapperIjLb1EEEEE10hipError_tT1_PNSt15iterator_traitsISD_E10value_typeET2_T3_PNSE_ISJ_E10value_typeET4_T5_PSO_SP_PNS1_23onesweep_lookback_stateEbbT6_jjT7_P12ihipStream_tbENKUlT_T0_SD_SI_E_clIS7_S7_S8_S8_EEDaSW_SX_SD_SI_EUlSW_E_NS1_11comp_targetILNS1_3genE6ELNS1_11target_archE950ELNS1_3gpuE13ELNS1_3repE0EEENS1_47radix_sort_onesweep_sort_config_static_selectorELNS0_4arch9wavefront6targetE1EEEvSD_
	.p2align	8
	.type	_ZN7rocprim17ROCPRIM_400000_NS6detail17trampoline_kernelINS0_14default_configENS1_35radix_sort_onesweep_config_selectorIjyEEZZNS1_29radix_sort_onesweep_iterationIS3_Lb0EPjS7_PyS8_jNS0_19identity_decomposerENS1_16block_id_wrapperIjLb1EEEEE10hipError_tT1_PNSt15iterator_traitsISD_E10value_typeET2_T3_PNSE_ISJ_E10value_typeET4_T5_PSO_SP_PNS1_23onesweep_lookback_stateEbbT6_jjT7_P12ihipStream_tbENKUlT_T0_SD_SI_E_clIS7_S7_S8_S8_EEDaSW_SX_SD_SI_EUlSW_E_NS1_11comp_targetILNS1_3genE6ELNS1_11target_archE950ELNS1_3gpuE13ELNS1_3repE0EEENS1_47radix_sort_onesweep_sort_config_static_selectorELNS0_4arch9wavefront6targetE1EEEvSD_,@function
_ZN7rocprim17ROCPRIM_400000_NS6detail17trampoline_kernelINS0_14default_configENS1_35radix_sort_onesweep_config_selectorIjyEEZZNS1_29radix_sort_onesweep_iterationIS3_Lb0EPjS7_PyS8_jNS0_19identity_decomposerENS1_16block_id_wrapperIjLb1EEEEE10hipError_tT1_PNSt15iterator_traitsISD_E10value_typeET2_T3_PNSE_ISJ_E10value_typeET4_T5_PSO_SP_PNS1_23onesweep_lookback_stateEbbT6_jjT7_P12ihipStream_tbENKUlT_T0_SD_SI_E_clIS7_S7_S8_S8_EEDaSW_SX_SD_SI_EUlSW_E_NS1_11comp_targetILNS1_3genE6ELNS1_11target_archE950ELNS1_3gpuE13ELNS1_3repE0EEENS1_47radix_sort_onesweep_sort_config_static_selectorELNS0_4arch9wavefront6targetE1EEEvSD_: ; @_ZN7rocprim17ROCPRIM_400000_NS6detail17trampoline_kernelINS0_14default_configENS1_35radix_sort_onesweep_config_selectorIjyEEZZNS1_29radix_sort_onesweep_iterationIS3_Lb0EPjS7_PyS8_jNS0_19identity_decomposerENS1_16block_id_wrapperIjLb1EEEEE10hipError_tT1_PNSt15iterator_traitsISD_E10value_typeET2_T3_PNSE_ISJ_E10value_typeET4_T5_PSO_SP_PNS1_23onesweep_lookback_stateEbbT6_jjT7_P12ihipStream_tbENKUlT_T0_SD_SI_E_clIS7_S7_S8_S8_EEDaSW_SX_SD_SI_EUlSW_E_NS1_11comp_targetILNS1_3genE6ELNS1_11target_archE950ELNS1_3gpuE13ELNS1_3repE0EEENS1_47radix_sort_onesweep_sort_config_static_selectorELNS0_4arch9wavefront6targetE1EEEvSD_
; %bb.0:
	.section	.rodata,"a",@progbits
	.p2align	6, 0x0
	.amdhsa_kernel _ZN7rocprim17ROCPRIM_400000_NS6detail17trampoline_kernelINS0_14default_configENS1_35radix_sort_onesweep_config_selectorIjyEEZZNS1_29radix_sort_onesweep_iterationIS3_Lb0EPjS7_PyS8_jNS0_19identity_decomposerENS1_16block_id_wrapperIjLb1EEEEE10hipError_tT1_PNSt15iterator_traitsISD_E10value_typeET2_T3_PNSE_ISJ_E10value_typeET4_T5_PSO_SP_PNS1_23onesweep_lookback_stateEbbT6_jjT7_P12ihipStream_tbENKUlT_T0_SD_SI_E_clIS7_S7_S8_S8_EEDaSW_SX_SD_SI_EUlSW_E_NS1_11comp_targetILNS1_3genE6ELNS1_11target_archE950ELNS1_3gpuE13ELNS1_3repE0EEENS1_47radix_sort_onesweep_sort_config_static_selectorELNS0_4arch9wavefront6targetE1EEEvSD_
		.amdhsa_group_segment_fixed_size 0
		.amdhsa_private_segment_fixed_size 0
		.amdhsa_kernarg_size 88
		.amdhsa_user_sgpr_count 6
		.amdhsa_user_sgpr_private_segment_buffer 1
		.amdhsa_user_sgpr_dispatch_ptr 0
		.amdhsa_user_sgpr_queue_ptr 0
		.amdhsa_user_sgpr_kernarg_segment_ptr 1
		.amdhsa_user_sgpr_dispatch_id 0
		.amdhsa_user_sgpr_flat_scratch_init 0
		.amdhsa_user_sgpr_kernarg_preload_length 0
		.amdhsa_user_sgpr_kernarg_preload_offset 0
		.amdhsa_user_sgpr_private_segment_size 0
		.amdhsa_uses_dynamic_stack 0
		.amdhsa_system_sgpr_private_segment_wavefront_offset 0
		.amdhsa_system_sgpr_workgroup_id_x 1
		.amdhsa_system_sgpr_workgroup_id_y 0
		.amdhsa_system_sgpr_workgroup_id_z 0
		.amdhsa_system_sgpr_workgroup_info 0
		.amdhsa_system_vgpr_workitem_id 0
		.amdhsa_next_free_vgpr 1
		.amdhsa_next_free_sgpr 0
		.amdhsa_accum_offset 4
		.amdhsa_reserve_vcc 0
		.amdhsa_reserve_flat_scratch 0
		.amdhsa_float_round_mode_32 0
		.amdhsa_float_round_mode_16_64 0
		.amdhsa_float_denorm_mode_32 3
		.amdhsa_float_denorm_mode_16_64 3
		.amdhsa_dx10_clamp 1
		.amdhsa_ieee_mode 1
		.amdhsa_fp16_overflow 0
		.amdhsa_tg_split 0
		.amdhsa_exception_fp_ieee_invalid_op 0
		.amdhsa_exception_fp_denorm_src 0
		.amdhsa_exception_fp_ieee_div_zero 0
		.amdhsa_exception_fp_ieee_overflow 0
		.amdhsa_exception_fp_ieee_underflow 0
		.amdhsa_exception_fp_ieee_inexact 0
		.amdhsa_exception_int_div_zero 0
	.end_amdhsa_kernel
	.section	.text._ZN7rocprim17ROCPRIM_400000_NS6detail17trampoline_kernelINS0_14default_configENS1_35radix_sort_onesweep_config_selectorIjyEEZZNS1_29radix_sort_onesweep_iterationIS3_Lb0EPjS7_PyS8_jNS0_19identity_decomposerENS1_16block_id_wrapperIjLb1EEEEE10hipError_tT1_PNSt15iterator_traitsISD_E10value_typeET2_T3_PNSE_ISJ_E10value_typeET4_T5_PSO_SP_PNS1_23onesweep_lookback_stateEbbT6_jjT7_P12ihipStream_tbENKUlT_T0_SD_SI_E_clIS7_S7_S8_S8_EEDaSW_SX_SD_SI_EUlSW_E_NS1_11comp_targetILNS1_3genE6ELNS1_11target_archE950ELNS1_3gpuE13ELNS1_3repE0EEENS1_47radix_sort_onesweep_sort_config_static_selectorELNS0_4arch9wavefront6targetE1EEEvSD_,"axG",@progbits,_ZN7rocprim17ROCPRIM_400000_NS6detail17trampoline_kernelINS0_14default_configENS1_35radix_sort_onesweep_config_selectorIjyEEZZNS1_29radix_sort_onesweep_iterationIS3_Lb0EPjS7_PyS8_jNS0_19identity_decomposerENS1_16block_id_wrapperIjLb1EEEEE10hipError_tT1_PNSt15iterator_traitsISD_E10value_typeET2_T3_PNSE_ISJ_E10value_typeET4_T5_PSO_SP_PNS1_23onesweep_lookback_stateEbbT6_jjT7_P12ihipStream_tbENKUlT_T0_SD_SI_E_clIS7_S7_S8_S8_EEDaSW_SX_SD_SI_EUlSW_E_NS1_11comp_targetILNS1_3genE6ELNS1_11target_archE950ELNS1_3gpuE13ELNS1_3repE0EEENS1_47radix_sort_onesweep_sort_config_static_selectorELNS0_4arch9wavefront6targetE1EEEvSD_,comdat
.Lfunc_end545:
	.size	_ZN7rocprim17ROCPRIM_400000_NS6detail17trampoline_kernelINS0_14default_configENS1_35radix_sort_onesweep_config_selectorIjyEEZZNS1_29radix_sort_onesweep_iterationIS3_Lb0EPjS7_PyS8_jNS0_19identity_decomposerENS1_16block_id_wrapperIjLb1EEEEE10hipError_tT1_PNSt15iterator_traitsISD_E10value_typeET2_T3_PNSE_ISJ_E10value_typeET4_T5_PSO_SP_PNS1_23onesweep_lookback_stateEbbT6_jjT7_P12ihipStream_tbENKUlT_T0_SD_SI_E_clIS7_S7_S8_S8_EEDaSW_SX_SD_SI_EUlSW_E_NS1_11comp_targetILNS1_3genE6ELNS1_11target_archE950ELNS1_3gpuE13ELNS1_3repE0EEENS1_47radix_sort_onesweep_sort_config_static_selectorELNS0_4arch9wavefront6targetE1EEEvSD_, .Lfunc_end545-_ZN7rocprim17ROCPRIM_400000_NS6detail17trampoline_kernelINS0_14default_configENS1_35radix_sort_onesweep_config_selectorIjyEEZZNS1_29radix_sort_onesweep_iterationIS3_Lb0EPjS7_PyS8_jNS0_19identity_decomposerENS1_16block_id_wrapperIjLb1EEEEE10hipError_tT1_PNSt15iterator_traitsISD_E10value_typeET2_T3_PNSE_ISJ_E10value_typeET4_T5_PSO_SP_PNS1_23onesweep_lookback_stateEbbT6_jjT7_P12ihipStream_tbENKUlT_T0_SD_SI_E_clIS7_S7_S8_S8_EEDaSW_SX_SD_SI_EUlSW_E_NS1_11comp_targetILNS1_3genE6ELNS1_11target_archE950ELNS1_3gpuE13ELNS1_3repE0EEENS1_47radix_sort_onesweep_sort_config_static_selectorELNS0_4arch9wavefront6targetE1EEEvSD_
                                        ; -- End function
	.section	.AMDGPU.csdata,"",@progbits
; Kernel info:
; codeLenInByte = 0
; NumSgprs: 4
; NumVgprs: 0
; NumAgprs: 0
; TotalNumVgprs: 0
; ScratchSize: 0
; MemoryBound: 0
; FloatMode: 240
; IeeeMode: 1
; LDSByteSize: 0 bytes/workgroup (compile time only)
; SGPRBlocks: 0
; VGPRBlocks: 0
; NumSGPRsForWavesPerEU: 4
; NumVGPRsForWavesPerEU: 1
; AccumOffset: 4
; Occupancy: 8
; WaveLimiterHint : 0
; COMPUTE_PGM_RSRC2:SCRATCH_EN: 0
; COMPUTE_PGM_RSRC2:USER_SGPR: 6
; COMPUTE_PGM_RSRC2:TRAP_HANDLER: 0
; COMPUTE_PGM_RSRC2:TGID_X_EN: 1
; COMPUTE_PGM_RSRC2:TGID_Y_EN: 0
; COMPUTE_PGM_RSRC2:TGID_Z_EN: 0
; COMPUTE_PGM_RSRC2:TIDIG_COMP_CNT: 0
; COMPUTE_PGM_RSRC3_GFX90A:ACCUM_OFFSET: 0
; COMPUTE_PGM_RSRC3_GFX90A:TG_SPLIT: 0
	.section	.text._ZN7rocprim17ROCPRIM_400000_NS6detail17trampoline_kernelINS0_14default_configENS1_35radix_sort_onesweep_config_selectorIjyEEZZNS1_29radix_sort_onesweep_iterationIS3_Lb0EPjS7_PyS8_jNS0_19identity_decomposerENS1_16block_id_wrapperIjLb1EEEEE10hipError_tT1_PNSt15iterator_traitsISD_E10value_typeET2_T3_PNSE_ISJ_E10value_typeET4_T5_PSO_SP_PNS1_23onesweep_lookback_stateEbbT6_jjT7_P12ihipStream_tbENKUlT_T0_SD_SI_E_clIS7_S7_S8_S8_EEDaSW_SX_SD_SI_EUlSW_E_NS1_11comp_targetILNS1_3genE5ELNS1_11target_archE942ELNS1_3gpuE9ELNS1_3repE0EEENS1_47radix_sort_onesweep_sort_config_static_selectorELNS0_4arch9wavefront6targetE1EEEvSD_,"axG",@progbits,_ZN7rocprim17ROCPRIM_400000_NS6detail17trampoline_kernelINS0_14default_configENS1_35radix_sort_onesweep_config_selectorIjyEEZZNS1_29radix_sort_onesweep_iterationIS3_Lb0EPjS7_PyS8_jNS0_19identity_decomposerENS1_16block_id_wrapperIjLb1EEEEE10hipError_tT1_PNSt15iterator_traitsISD_E10value_typeET2_T3_PNSE_ISJ_E10value_typeET4_T5_PSO_SP_PNS1_23onesweep_lookback_stateEbbT6_jjT7_P12ihipStream_tbENKUlT_T0_SD_SI_E_clIS7_S7_S8_S8_EEDaSW_SX_SD_SI_EUlSW_E_NS1_11comp_targetILNS1_3genE5ELNS1_11target_archE942ELNS1_3gpuE9ELNS1_3repE0EEENS1_47radix_sort_onesweep_sort_config_static_selectorELNS0_4arch9wavefront6targetE1EEEvSD_,comdat
	.protected	_ZN7rocprim17ROCPRIM_400000_NS6detail17trampoline_kernelINS0_14default_configENS1_35radix_sort_onesweep_config_selectorIjyEEZZNS1_29radix_sort_onesweep_iterationIS3_Lb0EPjS7_PyS8_jNS0_19identity_decomposerENS1_16block_id_wrapperIjLb1EEEEE10hipError_tT1_PNSt15iterator_traitsISD_E10value_typeET2_T3_PNSE_ISJ_E10value_typeET4_T5_PSO_SP_PNS1_23onesweep_lookback_stateEbbT6_jjT7_P12ihipStream_tbENKUlT_T0_SD_SI_E_clIS7_S7_S8_S8_EEDaSW_SX_SD_SI_EUlSW_E_NS1_11comp_targetILNS1_3genE5ELNS1_11target_archE942ELNS1_3gpuE9ELNS1_3repE0EEENS1_47radix_sort_onesweep_sort_config_static_selectorELNS0_4arch9wavefront6targetE1EEEvSD_ ; -- Begin function _ZN7rocprim17ROCPRIM_400000_NS6detail17trampoline_kernelINS0_14default_configENS1_35radix_sort_onesweep_config_selectorIjyEEZZNS1_29radix_sort_onesweep_iterationIS3_Lb0EPjS7_PyS8_jNS0_19identity_decomposerENS1_16block_id_wrapperIjLb1EEEEE10hipError_tT1_PNSt15iterator_traitsISD_E10value_typeET2_T3_PNSE_ISJ_E10value_typeET4_T5_PSO_SP_PNS1_23onesweep_lookback_stateEbbT6_jjT7_P12ihipStream_tbENKUlT_T0_SD_SI_E_clIS7_S7_S8_S8_EEDaSW_SX_SD_SI_EUlSW_E_NS1_11comp_targetILNS1_3genE5ELNS1_11target_archE942ELNS1_3gpuE9ELNS1_3repE0EEENS1_47radix_sort_onesweep_sort_config_static_selectorELNS0_4arch9wavefront6targetE1EEEvSD_
	.globl	_ZN7rocprim17ROCPRIM_400000_NS6detail17trampoline_kernelINS0_14default_configENS1_35radix_sort_onesweep_config_selectorIjyEEZZNS1_29radix_sort_onesweep_iterationIS3_Lb0EPjS7_PyS8_jNS0_19identity_decomposerENS1_16block_id_wrapperIjLb1EEEEE10hipError_tT1_PNSt15iterator_traitsISD_E10value_typeET2_T3_PNSE_ISJ_E10value_typeET4_T5_PSO_SP_PNS1_23onesweep_lookback_stateEbbT6_jjT7_P12ihipStream_tbENKUlT_T0_SD_SI_E_clIS7_S7_S8_S8_EEDaSW_SX_SD_SI_EUlSW_E_NS1_11comp_targetILNS1_3genE5ELNS1_11target_archE942ELNS1_3gpuE9ELNS1_3repE0EEENS1_47radix_sort_onesweep_sort_config_static_selectorELNS0_4arch9wavefront6targetE1EEEvSD_
	.p2align	8
	.type	_ZN7rocprim17ROCPRIM_400000_NS6detail17trampoline_kernelINS0_14default_configENS1_35radix_sort_onesweep_config_selectorIjyEEZZNS1_29radix_sort_onesweep_iterationIS3_Lb0EPjS7_PyS8_jNS0_19identity_decomposerENS1_16block_id_wrapperIjLb1EEEEE10hipError_tT1_PNSt15iterator_traitsISD_E10value_typeET2_T3_PNSE_ISJ_E10value_typeET4_T5_PSO_SP_PNS1_23onesweep_lookback_stateEbbT6_jjT7_P12ihipStream_tbENKUlT_T0_SD_SI_E_clIS7_S7_S8_S8_EEDaSW_SX_SD_SI_EUlSW_E_NS1_11comp_targetILNS1_3genE5ELNS1_11target_archE942ELNS1_3gpuE9ELNS1_3repE0EEENS1_47radix_sort_onesweep_sort_config_static_selectorELNS0_4arch9wavefront6targetE1EEEvSD_,@function
_ZN7rocprim17ROCPRIM_400000_NS6detail17trampoline_kernelINS0_14default_configENS1_35radix_sort_onesweep_config_selectorIjyEEZZNS1_29radix_sort_onesweep_iterationIS3_Lb0EPjS7_PyS8_jNS0_19identity_decomposerENS1_16block_id_wrapperIjLb1EEEEE10hipError_tT1_PNSt15iterator_traitsISD_E10value_typeET2_T3_PNSE_ISJ_E10value_typeET4_T5_PSO_SP_PNS1_23onesweep_lookback_stateEbbT6_jjT7_P12ihipStream_tbENKUlT_T0_SD_SI_E_clIS7_S7_S8_S8_EEDaSW_SX_SD_SI_EUlSW_E_NS1_11comp_targetILNS1_3genE5ELNS1_11target_archE942ELNS1_3gpuE9ELNS1_3repE0EEENS1_47radix_sort_onesweep_sort_config_static_selectorELNS0_4arch9wavefront6targetE1EEEvSD_: ; @_ZN7rocprim17ROCPRIM_400000_NS6detail17trampoline_kernelINS0_14default_configENS1_35radix_sort_onesweep_config_selectorIjyEEZZNS1_29radix_sort_onesweep_iterationIS3_Lb0EPjS7_PyS8_jNS0_19identity_decomposerENS1_16block_id_wrapperIjLb1EEEEE10hipError_tT1_PNSt15iterator_traitsISD_E10value_typeET2_T3_PNSE_ISJ_E10value_typeET4_T5_PSO_SP_PNS1_23onesweep_lookback_stateEbbT6_jjT7_P12ihipStream_tbENKUlT_T0_SD_SI_E_clIS7_S7_S8_S8_EEDaSW_SX_SD_SI_EUlSW_E_NS1_11comp_targetILNS1_3genE5ELNS1_11target_archE942ELNS1_3gpuE9ELNS1_3repE0EEENS1_47radix_sort_onesweep_sort_config_static_selectorELNS0_4arch9wavefront6targetE1EEEvSD_
; %bb.0:
	.section	.rodata,"a",@progbits
	.p2align	6, 0x0
	.amdhsa_kernel _ZN7rocprim17ROCPRIM_400000_NS6detail17trampoline_kernelINS0_14default_configENS1_35radix_sort_onesweep_config_selectorIjyEEZZNS1_29radix_sort_onesweep_iterationIS3_Lb0EPjS7_PyS8_jNS0_19identity_decomposerENS1_16block_id_wrapperIjLb1EEEEE10hipError_tT1_PNSt15iterator_traitsISD_E10value_typeET2_T3_PNSE_ISJ_E10value_typeET4_T5_PSO_SP_PNS1_23onesweep_lookback_stateEbbT6_jjT7_P12ihipStream_tbENKUlT_T0_SD_SI_E_clIS7_S7_S8_S8_EEDaSW_SX_SD_SI_EUlSW_E_NS1_11comp_targetILNS1_3genE5ELNS1_11target_archE942ELNS1_3gpuE9ELNS1_3repE0EEENS1_47radix_sort_onesweep_sort_config_static_selectorELNS0_4arch9wavefront6targetE1EEEvSD_
		.amdhsa_group_segment_fixed_size 0
		.amdhsa_private_segment_fixed_size 0
		.amdhsa_kernarg_size 88
		.amdhsa_user_sgpr_count 6
		.amdhsa_user_sgpr_private_segment_buffer 1
		.amdhsa_user_sgpr_dispatch_ptr 0
		.amdhsa_user_sgpr_queue_ptr 0
		.amdhsa_user_sgpr_kernarg_segment_ptr 1
		.amdhsa_user_sgpr_dispatch_id 0
		.amdhsa_user_sgpr_flat_scratch_init 0
		.amdhsa_user_sgpr_kernarg_preload_length 0
		.amdhsa_user_sgpr_kernarg_preload_offset 0
		.amdhsa_user_sgpr_private_segment_size 0
		.amdhsa_uses_dynamic_stack 0
		.amdhsa_system_sgpr_private_segment_wavefront_offset 0
		.amdhsa_system_sgpr_workgroup_id_x 1
		.amdhsa_system_sgpr_workgroup_id_y 0
		.amdhsa_system_sgpr_workgroup_id_z 0
		.amdhsa_system_sgpr_workgroup_info 0
		.amdhsa_system_vgpr_workitem_id 0
		.amdhsa_next_free_vgpr 1
		.amdhsa_next_free_sgpr 0
		.amdhsa_accum_offset 4
		.amdhsa_reserve_vcc 0
		.amdhsa_reserve_flat_scratch 0
		.amdhsa_float_round_mode_32 0
		.amdhsa_float_round_mode_16_64 0
		.amdhsa_float_denorm_mode_32 3
		.amdhsa_float_denorm_mode_16_64 3
		.amdhsa_dx10_clamp 1
		.amdhsa_ieee_mode 1
		.amdhsa_fp16_overflow 0
		.amdhsa_tg_split 0
		.amdhsa_exception_fp_ieee_invalid_op 0
		.amdhsa_exception_fp_denorm_src 0
		.amdhsa_exception_fp_ieee_div_zero 0
		.amdhsa_exception_fp_ieee_overflow 0
		.amdhsa_exception_fp_ieee_underflow 0
		.amdhsa_exception_fp_ieee_inexact 0
		.amdhsa_exception_int_div_zero 0
	.end_amdhsa_kernel
	.section	.text._ZN7rocprim17ROCPRIM_400000_NS6detail17trampoline_kernelINS0_14default_configENS1_35radix_sort_onesweep_config_selectorIjyEEZZNS1_29radix_sort_onesweep_iterationIS3_Lb0EPjS7_PyS8_jNS0_19identity_decomposerENS1_16block_id_wrapperIjLb1EEEEE10hipError_tT1_PNSt15iterator_traitsISD_E10value_typeET2_T3_PNSE_ISJ_E10value_typeET4_T5_PSO_SP_PNS1_23onesweep_lookback_stateEbbT6_jjT7_P12ihipStream_tbENKUlT_T0_SD_SI_E_clIS7_S7_S8_S8_EEDaSW_SX_SD_SI_EUlSW_E_NS1_11comp_targetILNS1_3genE5ELNS1_11target_archE942ELNS1_3gpuE9ELNS1_3repE0EEENS1_47radix_sort_onesweep_sort_config_static_selectorELNS0_4arch9wavefront6targetE1EEEvSD_,"axG",@progbits,_ZN7rocprim17ROCPRIM_400000_NS6detail17trampoline_kernelINS0_14default_configENS1_35radix_sort_onesweep_config_selectorIjyEEZZNS1_29radix_sort_onesweep_iterationIS3_Lb0EPjS7_PyS8_jNS0_19identity_decomposerENS1_16block_id_wrapperIjLb1EEEEE10hipError_tT1_PNSt15iterator_traitsISD_E10value_typeET2_T3_PNSE_ISJ_E10value_typeET4_T5_PSO_SP_PNS1_23onesweep_lookback_stateEbbT6_jjT7_P12ihipStream_tbENKUlT_T0_SD_SI_E_clIS7_S7_S8_S8_EEDaSW_SX_SD_SI_EUlSW_E_NS1_11comp_targetILNS1_3genE5ELNS1_11target_archE942ELNS1_3gpuE9ELNS1_3repE0EEENS1_47radix_sort_onesweep_sort_config_static_selectorELNS0_4arch9wavefront6targetE1EEEvSD_,comdat
.Lfunc_end546:
	.size	_ZN7rocprim17ROCPRIM_400000_NS6detail17trampoline_kernelINS0_14default_configENS1_35radix_sort_onesweep_config_selectorIjyEEZZNS1_29radix_sort_onesweep_iterationIS3_Lb0EPjS7_PyS8_jNS0_19identity_decomposerENS1_16block_id_wrapperIjLb1EEEEE10hipError_tT1_PNSt15iterator_traitsISD_E10value_typeET2_T3_PNSE_ISJ_E10value_typeET4_T5_PSO_SP_PNS1_23onesweep_lookback_stateEbbT6_jjT7_P12ihipStream_tbENKUlT_T0_SD_SI_E_clIS7_S7_S8_S8_EEDaSW_SX_SD_SI_EUlSW_E_NS1_11comp_targetILNS1_3genE5ELNS1_11target_archE942ELNS1_3gpuE9ELNS1_3repE0EEENS1_47radix_sort_onesweep_sort_config_static_selectorELNS0_4arch9wavefront6targetE1EEEvSD_, .Lfunc_end546-_ZN7rocprim17ROCPRIM_400000_NS6detail17trampoline_kernelINS0_14default_configENS1_35radix_sort_onesweep_config_selectorIjyEEZZNS1_29radix_sort_onesweep_iterationIS3_Lb0EPjS7_PyS8_jNS0_19identity_decomposerENS1_16block_id_wrapperIjLb1EEEEE10hipError_tT1_PNSt15iterator_traitsISD_E10value_typeET2_T3_PNSE_ISJ_E10value_typeET4_T5_PSO_SP_PNS1_23onesweep_lookback_stateEbbT6_jjT7_P12ihipStream_tbENKUlT_T0_SD_SI_E_clIS7_S7_S8_S8_EEDaSW_SX_SD_SI_EUlSW_E_NS1_11comp_targetILNS1_3genE5ELNS1_11target_archE942ELNS1_3gpuE9ELNS1_3repE0EEENS1_47radix_sort_onesweep_sort_config_static_selectorELNS0_4arch9wavefront6targetE1EEEvSD_
                                        ; -- End function
	.section	.AMDGPU.csdata,"",@progbits
; Kernel info:
; codeLenInByte = 0
; NumSgprs: 4
; NumVgprs: 0
; NumAgprs: 0
; TotalNumVgprs: 0
; ScratchSize: 0
; MemoryBound: 0
; FloatMode: 240
; IeeeMode: 1
; LDSByteSize: 0 bytes/workgroup (compile time only)
; SGPRBlocks: 0
; VGPRBlocks: 0
; NumSGPRsForWavesPerEU: 4
; NumVGPRsForWavesPerEU: 1
; AccumOffset: 4
; Occupancy: 8
; WaveLimiterHint : 0
; COMPUTE_PGM_RSRC2:SCRATCH_EN: 0
; COMPUTE_PGM_RSRC2:USER_SGPR: 6
; COMPUTE_PGM_RSRC2:TRAP_HANDLER: 0
; COMPUTE_PGM_RSRC2:TGID_X_EN: 1
; COMPUTE_PGM_RSRC2:TGID_Y_EN: 0
; COMPUTE_PGM_RSRC2:TGID_Z_EN: 0
; COMPUTE_PGM_RSRC2:TIDIG_COMP_CNT: 0
; COMPUTE_PGM_RSRC3_GFX90A:ACCUM_OFFSET: 0
; COMPUTE_PGM_RSRC3_GFX90A:TG_SPLIT: 0
	.section	.text._ZN7rocprim17ROCPRIM_400000_NS6detail17trampoline_kernelINS0_14default_configENS1_35radix_sort_onesweep_config_selectorIjyEEZZNS1_29radix_sort_onesweep_iterationIS3_Lb0EPjS7_PyS8_jNS0_19identity_decomposerENS1_16block_id_wrapperIjLb1EEEEE10hipError_tT1_PNSt15iterator_traitsISD_E10value_typeET2_T3_PNSE_ISJ_E10value_typeET4_T5_PSO_SP_PNS1_23onesweep_lookback_stateEbbT6_jjT7_P12ihipStream_tbENKUlT_T0_SD_SI_E_clIS7_S7_S8_S8_EEDaSW_SX_SD_SI_EUlSW_E_NS1_11comp_targetILNS1_3genE2ELNS1_11target_archE906ELNS1_3gpuE6ELNS1_3repE0EEENS1_47radix_sort_onesweep_sort_config_static_selectorELNS0_4arch9wavefront6targetE1EEEvSD_,"axG",@progbits,_ZN7rocprim17ROCPRIM_400000_NS6detail17trampoline_kernelINS0_14default_configENS1_35radix_sort_onesweep_config_selectorIjyEEZZNS1_29radix_sort_onesweep_iterationIS3_Lb0EPjS7_PyS8_jNS0_19identity_decomposerENS1_16block_id_wrapperIjLb1EEEEE10hipError_tT1_PNSt15iterator_traitsISD_E10value_typeET2_T3_PNSE_ISJ_E10value_typeET4_T5_PSO_SP_PNS1_23onesweep_lookback_stateEbbT6_jjT7_P12ihipStream_tbENKUlT_T0_SD_SI_E_clIS7_S7_S8_S8_EEDaSW_SX_SD_SI_EUlSW_E_NS1_11comp_targetILNS1_3genE2ELNS1_11target_archE906ELNS1_3gpuE6ELNS1_3repE0EEENS1_47radix_sort_onesweep_sort_config_static_selectorELNS0_4arch9wavefront6targetE1EEEvSD_,comdat
	.protected	_ZN7rocprim17ROCPRIM_400000_NS6detail17trampoline_kernelINS0_14default_configENS1_35radix_sort_onesweep_config_selectorIjyEEZZNS1_29radix_sort_onesweep_iterationIS3_Lb0EPjS7_PyS8_jNS0_19identity_decomposerENS1_16block_id_wrapperIjLb1EEEEE10hipError_tT1_PNSt15iterator_traitsISD_E10value_typeET2_T3_PNSE_ISJ_E10value_typeET4_T5_PSO_SP_PNS1_23onesweep_lookback_stateEbbT6_jjT7_P12ihipStream_tbENKUlT_T0_SD_SI_E_clIS7_S7_S8_S8_EEDaSW_SX_SD_SI_EUlSW_E_NS1_11comp_targetILNS1_3genE2ELNS1_11target_archE906ELNS1_3gpuE6ELNS1_3repE0EEENS1_47radix_sort_onesweep_sort_config_static_selectorELNS0_4arch9wavefront6targetE1EEEvSD_ ; -- Begin function _ZN7rocprim17ROCPRIM_400000_NS6detail17trampoline_kernelINS0_14default_configENS1_35radix_sort_onesweep_config_selectorIjyEEZZNS1_29radix_sort_onesweep_iterationIS3_Lb0EPjS7_PyS8_jNS0_19identity_decomposerENS1_16block_id_wrapperIjLb1EEEEE10hipError_tT1_PNSt15iterator_traitsISD_E10value_typeET2_T3_PNSE_ISJ_E10value_typeET4_T5_PSO_SP_PNS1_23onesweep_lookback_stateEbbT6_jjT7_P12ihipStream_tbENKUlT_T0_SD_SI_E_clIS7_S7_S8_S8_EEDaSW_SX_SD_SI_EUlSW_E_NS1_11comp_targetILNS1_3genE2ELNS1_11target_archE906ELNS1_3gpuE6ELNS1_3repE0EEENS1_47radix_sort_onesweep_sort_config_static_selectorELNS0_4arch9wavefront6targetE1EEEvSD_
	.globl	_ZN7rocprim17ROCPRIM_400000_NS6detail17trampoline_kernelINS0_14default_configENS1_35radix_sort_onesweep_config_selectorIjyEEZZNS1_29radix_sort_onesweep_iterationIS3_Lb0EPjS7_PyS8_jNS0_19identity_decomposerENS1_16block_id_wrapperIjLb1EEEEE10hipError_tT1_PNSt15iterator_traitsISD_E10value_typeET2_T3_PNSE_ISJ_E10value_typeET4_T5_PSO_SP_PNS1_23onesweep_lookback_stateEbbT6_jjT7_P12ihipStream_tbENKUlT_T0_SD_SI_E_clIS7_S7_S8_S8_EEDaSW_SX_SD_SI_EUlSW_E_NS1_11comp_targetILNS1_3genE2ELNS1_11target_archE906ELNS1_3gpuE6ELNS1_3repE0EEENS1_47radix_sort_onesweep_sort_config_static_selectorELNS0_4arch9wavefront6targetE1EEEvSD_
	.p2align	8
	.type	_ZN7rocprim17ROCPRIM_400000_NS6detail17trampoline_kernelINS0_14default_configENS1_35radix_sort_onesweep_config_selectorIjyEEZZNS1_29radix_sort_onesweep_iterationIS3_Lb0EPjS7_PyS8_jNS0_19identity_decomposerENS1_16block_id_wrapperIjLb1EEEEE10hipError_tT1_PNSt15iterator_traitsISD_E10value_typeET2_T3_PNSE_ISJ_E10value_typeET4_T5_PSO_SP_PNS1_23onesweep_lookback_stateEbbT6_jjT7_P12ihipStream_tbENKUlT_T0_SD_SI_E_clIS7_S7_S8_S8_EEDaSW_SX_SD_SI_EUlSW_E_NS1_11comp_targetILNS1_3genE2ELNS1_11target_archE906ELNS1_3gpuE6ELNS1_3repE0EEENS1_47radix_sort_onesweep_sort_config_static_selectorELNS0_4arch9wavefront6targetE1EEEvSD_,@function
_ZN7rocprim17ROCPRIM_400000_NS6detail17trampoline_kernelINS0_14default_configENS1_35radix_sort_onesweep_config_selectorIjyEEZZNS1_29radix_sort_onesweep_iterationIS3_Lb0EPjS7_PyS8_jNS0_19identity_decomposerENS1_16block_id_wrapperIjLb1EEEEE10hipError_tT1_PNSt15iterator_traitsISD_E10value_typeET2_T3_PNSE_ISJ_E10value_typeET4_T5_PSO_SP_PNS1_23onesweep_lookback_stateEbbT6_jjT7_P12ihipStream_tbENKUlT_T0_SD_SI_E_clIS7_S7_S8_S8_EEDaSW_SX_SD_SI_EUlSW_E_NS1_11comp_targetILNS1_3genE2ELNS1_11target_archE906ELNS1_3gpuE6ELNS1_3repE0EEENS1_47radix_sort_onesweep_sort_config_static_selectorELNS0_4arch9wavefront6targetE1EEEvSD_: ; @_ZN7rocprim17ROCPRIM_400000_NS6detail17trampoline_kernelINS0_14default_configENS1_35radix_sort_onesweep_config_selectorIjyEEZZNS1_29radix_sort_onesweep_iterationIS3_Lb0EPjS7_PyS8_jNS0_19identity_decomposerENS1_16block_id_wrapperIjLb1EEEEE10hipError_tT1_PNSt15iterator_traitsISD_E10value_typeET2_T3_PNSE_ISJ_E10value_typeET4_T5_PSO_SP_PNS1_23onesweep_lookback_stateEbbT6_jjT7_P12ihipStream_tbENKUlT_T0_SD_SI_E_clIS7_S7_S8_S8_EEDaSW_SX_SD_SI_EUlSW_E_NS1_11comp_targetILNS1_3genE2ELNS1_11target_archE906ELNS1_3gpuE6ELNS1_3repE0EEENS1_47radix_sort_onesweep_sort_config_static_selectorELNS0_4arch9wavefront6targetE1EEEvSD_
; %bb.0:
	.section	.rodata,"a",@progbits
	.p2align	6, 0x0
	.amdhsa_kernel _ZN7rocprim17ROCPRIM_400000_NS6detail17trampoline_kernelINS0_14default_configENS1_35radix_sort_onesweep_config_selectorIjyEEZZNS1_29radix_sort_onesweep_iterationIS3_Lb0EPjS7_PyS8_jNS0_19identity_decomposerENS1_16block_id_wrapperIjLb1EEEEE10hipError_tT1_PNSt15iterator_traitsISD_E10value_typeET2_T3_PNSE_ISJ_E10value_typeET4_T5_PSO_SP_PNS1_23onesweep_lookback_stateEbbT6_jjT7_P12ihipStream_tbENKUlT_T0_SD_SI_E_clIS7_S7_S8_S8_EEDaSW_SX_SD_SI_EUlSW_E_NS1_11comp_targetILNS1_3genE2ELNS1_11target_archE906ELNS1_3gpuE6ELNS1_3repE0EEENS1_47radix_sort_onesweep_sort_config_static_selectorELNS0_4arch9wavefront6targetE1EEEvSD_
		.amdhsa_group_segment_fixed_size 0
		.amdhsa_private_segment_fixed_size 0
		.amdhsa_kernarg_size 88
		.amdhsa_user_sgpr_count 6
		.amdhsa_user_sgpr_private_segment_buffer 1
		.amdhsa_user_sgpr_dispatch_ptr 0
		.amdhsa_user_sgpr_queue_ptr 0
		.amdhsa_user_sgpr_kernarg_segment_ptr 1
		.amdhsa_user_sgpr_dispatch_id 0
		.amdhsa_user_sgpr_flat_scratch_init 0
		.amdhsa_user_sgpr_kernarg_preload_length 0
		.amdhsa_user_sgpr_kernarg_preload_offset 0
		.amdhsa_user_sgpr_private_segment_size 0
		.amdhsa_uses_dynamic_stack 0
		.amdhsa_system_sgpr_private_segment_wavefront_offset 0
		.amdhsa_system_sgpr_workgroup_id_x 1
		.amdhsa_system_sgpr_workgroup_id_y 0
		.amdhsa_system_sgpr_workgroup_id_z 0
		.amdhsa_system_sgpr_workgroup_info 0
		.amdhsa_system_vgpr_workitem_id 0
		.amdhsa_next_free_vgpr 1
		.amdhsa_next_free_sgpr 0
		.amdhsa_accum_offset 4
		.amdhsa_reserve_vcc 0
		.amdhsa_reserve_flat_scratch 0
		.amdhsa_float_round_mode_32 0
		.amdhsa_float_round_mode_16_64 0
		.amdhsa_float_denorm_mode_32 3
		.amdhsa_float_denorm_mode_16_64 3
		.amdhsa_dx10_clamp 1
		.amdhsa_ieee_mode 1
		.amdhsa_fp16_overflow 0
		.amdhsa_tg_split 0
		.amdhsa_exception_fp_ieee_invalid_op 0
		.amdhsa_exception_fp_denorm_src 0
		.amdhsa_exception_fp_ieee_div_zero 0
		.amdhsa_exception_fp_ieee_overflow 0
		.amdhsa_exception_fp_ieee_underflow 0
		.amdhsa_exception_fp_ieee_inexact 0
		.amdhsa_exception_int_div_zero 0
	.end_amdhsa_kernel
	.section	.text._ZN7rocprim17ROCPRIM_400000_NS6detail17trampoline_kernelINS0_14default_configENS1_35radix_sort_onesweep_config_selectorIjyEEZZNS1_29radix_sort_onesweep_iterationIS3_Lb0EPjS7_PyS8_jNS0_19identity_decomposerENS1_16block_id_wrapperIjLb1EEEEE10hipError_tT1_PNSt15iterator_traitsISD_E10value_typeET2_T3_PNSE_ISJ_E10value_typeET4_T5_PSO_SP_PNS1_23onesweep_lookback_stateEbbT6_jjT7_P12ihipStream_tbENKUlT_T0_SD_SI_E_clIS7_S7_S8_S8_EEDaSW_SX_SD_SI_EUlSW_E_NS1_11comp_targetILNS1_3genE2ELNS1_11target_archE906ELNS1_3gpuE6ELNS1_3repE0EEENS1_47radix_sort_onesweep_sort_config_static_selectorELNS0_4arch9wavefront6targetE1EEEvSD_,"axG",@progbits,_ZN7rocprim17ROCPRIM_400000_NS6detail17trampoline_kernelINS0_14default_configENS1_35radix_sort_onesweep_config_selectorIjyEEZZNS1_29radix_sort_onesweep_iterationIS3_Lb0EPjS7_PyS8_jNS0_19identity_decomposerENS1_16block_id_wrapperIjLb1EEEEE10hipError_tT1_PNSt15iterator_traitsISD_E10value_typeET2_T3_PNSE_ISJ_E10value_typeET4_T5_PSO_SP_PNS1_23onesweep_lookback_stateEbbT6_jjT7_P12ihipStream_tbENKUlT_T0_SD_SI_E_clIS7_S7_S8_S8_EEDaSW_SX_SD_SI_EUlSW_E_NS1_11comp_targetILNS1_3genE2ELNS1_11target_archE906ELNS1_3gpuE6ELNS1_3repE0EEENS1_47radix_sort_onesweep_sort_config_static_selectorELNS0_4arch9wavefront6targetE1EEEvSD_,comdat
.Lfunc_end547:
	.size	_ZN7rocprim17ROCPRIM_400000_NS6detail17trampoline_kernelINS0_14default_configENS1_35radix_sort_onesweep_config_selectorIjyEEZZNS1_29radix_sort_onesweep_iterationIS3_Lb0EPjS7_PyS8_jNS0_19identity_decomposerENS1_16block_id_wrapperIjLb1EEEEE10hipError_tT1_PNSt15iterator_traitsISD_E10value_typeET2_T3_PNSE_ISJ_E10value_typeET4_T5_PSO_SP_PNS1_23onesweep_lookback_stateEbbT6_jjT7_P12ihipStream_tbENKUlT_T0_SD_SI_E_clIS7_S7_S8_S8_EEDaSW_SX_SD_SI_EUlSW_E_NS1_11comp_targetILNS1_3genE2ELNS1_11target_archE906ELNS1_3gpuE6ELNS1_3repE0EEENS1_47radix_sort_onesweep_sort_config_static_selectorELNS0_4arch9wavefront6targetE1EEEvSD_, .Lfunc_end547-_ZN7rocprim17ROCPRIM_400000_NS6detail17trampoline_kernelINS0_14default_configENS1_35radix_sort_onesweep_config_selectorIjyEEZZNS1_29radix_sort_onesweep_iterationIS3_Lb0EPjS7_PyS8_jNS0_19identity_decomposerENS1_16block_id_wrapperIjLb1EEEEE10hipError_tT1_PNSt15iterator_traitsISD_E10value_typeET2_T3_PNSE_ISJ_E10value_typeET4_T5_PSO_SP_PNS1_23onesweep_lookback_stateEbbT6_jjT7_P12ihipStream_tbENKUlT_T0_SD_SI_E_clIS7_S7_S8_S8_EEDaSW_SX_SD_SI_EUlSW_E_NS1_11comp_targetILNS1_3genE2ELNS1_11target_archE906ELNS1_3gpuE6ELNS1_3repE0EEENS1_47radix_sort_onesweep_sort_config_static_selectorELNS0_4arch9wavefront6targetE1EEEvSD_
                                        ; -- End function
	.section	.AMDGPU.csdata,"",@progbits
; Kernel info:
; codeLenInByte = 0
; NumSgprs: 4
; NumVgprs: 0
; NumAgprs: 0
; TotalNumVgprs: 0
; ScratchSize: 0
; MemoryBound: 0
; FloatMode: 240
; IeeeMode: 1
; LDSByteSize: 0 bytes/workgroup (compile time only)
; SGPRBlocks: 0
; VGPRBlocks: 0
; NumSGPRsForWavesPerEU: 4
; NumVGPRsForWavesPerEU: 1
; AccumOffset: 4
; Occupancy: 8
; WaveLimiterHint : 0
; COMPUTE_PGM_RSRC2:SCRATCH_EN: 0
; COMPUTE_PGM_RSRC2:USER_SGPR: 6
; COMPUTE_PGM_RSRC2:TRAP_HANDLER: 0
; COMPUTE_PGM_RSRC2:TGID_X_EN: 1
; COMPUTE_PGM_RSRC2:TGID_Y_EN: 0
; COMPUTE_PGM_RSRC2:TGID_Z_EN: 0
; COMPUTE_PGM_RSRC2:TIDIG_COMP_CNT: 0
; COMPUTE_PGM_RSRC3_GFX90A:ACCUM_OFFSET: 0
; COMPUTE_PGM_RSRC3_GFX90A:TG_SPLIT: 0
	.section	.text._ZN7rocprim17ROCPRIM_400000_NS6detail17trampoline_kernelINS0_14default_configENS1_35radix_sort_onesweep_config_selectorIjyEEZZNS1_29radix_sort_onesweep_iterationIS3_Lb0EPjS7_PyS8_jNS0_19identity_decomposerENS1_16block_id_wrapperIjLb1EEEEE10hipError_tT1_PNSt15iterator_traitsISD_E10value_typeET2_T3_PNSE_ISJ_E10value_typeET4_T5_PSO_SP_PNS1_23onesweep_lookback_stateEbbT6_jjT7_P12ihipStream_tbENKUlT_T0_SD_SI_E_clIS7_S7_S8_S8_EEDaSW_SX_SD_SI_EUlSW_E_NS1_11comp_targetILNS1_3genE4ELNS1_11target_archE910ELNS1_3gpuE8ELNS1_3repE0EEENS1_47radix_sort_onesweep_sort_config_static_selectorELNS0_4arch9wavefront6targetE1EEEvSD_,"axG",@progbits,_ZN7rocprim17ROCPRIM_400000_NS6detail17trampoline_kernelINS0_14default_configENS1_35radix_sort_onesweep_config_selectorIjyEEZZNS1_29radix_sort_onesweep_iterationIS3_Lb0EPjS7_PyS8_jNS0_19identity_decomposerENS1_16block_id_wrapperIjLb1EEEEE10hipError_tT1_PNSt15iterator_traitsISD_E10value_typeET2_T3_PNSE_ISJ_E10value_typeET4_T5_PSO_SP_PNS1_23onesweep_lookback_stateEbbT6_jjT7_P12ihipStream_tbENKUlT_T0_SD_SI_E_clIS7_S7_S8_S8_EEDaSW_SX_SD_SI_EUlSW_E_NS1_11comp_targetILNS1_3genE4ELNS1_11target_archE910ELNS1_3gpuE8ELNS1_3repE0EEENS1_47radix_sort_onesweep_sort_config_static_selectorELNS0_4arch9wavefront6targetE1EEEvSD_,comdat
	.protected	_ZN7rocprim17ROCPRIM_400000_NS6detail17trampoline_kernelINS0_14default_configENS1_35radix_sort_onesweep_config_selectorIjyEEZZNS1_29radix_sort_onesweep_iterationIS3_Lb0EPjS7_PyS8_jNS0_19identity_decomposerENS1_16block_id_wrapperIjLb1EEEEE10hipError_tT1_PNSt15iterator_traitsISD_E10value_typeET2_T3_PNSE_ISJ_E10value_typeET4_T5_PSO_SP_PNS1_23onesweep_lookback_stateEbbT6_jjT7_P12ihipStream_tbENKUlT_T0_SD_SI_E_clIS7_S7_S8_S8_EEDaSW_SX_SD_SI_EUlSW_E_NS1_11comp_targetILNS1_3genE4ELNS1_11target_archE910ELNS1_3gpuE8ELNS1_3repE0EEENS1_47radix_sort_onesweep_sort_config_static_selectorELNS0_4arch9wavefront6targetE1EEEvSD_ ; -- Begin function _ZN7rocprim17ROCPRIM_400000_NS6detail17trampoline_kernelINS0_14default_configENS1_35radix_sort_onesweep_config_selectorIjyEEZZNS1_29radix_sort_onesweep_iterationIS3_Lb0EPjS7_PyS8_jNS0_19identity_decomposerENS1_16block_id_wrapperIjLb1EEEEE10hipError_tT1_PNSt15iterator_traitsISD_E10value_typeET2_T3_PNSE_ISJ_E10value_typeET4_T5_PSO_SP_PNS1_23onesweep_lookback_stateEbbT6_jjT7_P12ihipStream_tbENKUlT_T0_SD_SI_E_clIS7_S7_S8_S8_EEDaSW_SX_SD_SI_EUlSW_E_NS1_11comp_targetILNS1_3genE4ELNS1_11target_archE910ELNS1_3gpuE8ELNS1_3repE0EEENS1_47radix_sort_onesweep_sort_config_static_selectorELNS0_4arch9wavefront6targetE1EEEvSD_
	.globl	_ZN7rocprim17ROCPRIM_400000_NS6detail17trampoline_kernelINS0_14default_configENS1_35radix_sort_onesweep_config_selectorIjyEEZZNS1_29radix_sort_onesweep_iterationIS3_Lb0EPjS7_PyS8_jNS0_19identity_decomposerENS1_16block_id_wrapperIjLb1EEEEE10hipError_tT1_PNSt15iterator_traitsISD_E10value_typeET2_T3_PNSE_ISJ_E10value_typeET4_T5_PSO_SP_PNS1_23onesweep_lookback_stateEbbT6_jjT7_P12ihipStream_tbENKUlT_T0_SD_SI_E_clIS7_S7_S8_S8_EEDaSW_SX_SD_SI_EUlSW_E_NS1_11comp_targetILNS1_3genE4ELNS1_11target_archE910ELNS1_3gpuE8ELNS1_3repE0EEENS1_47radix_sort_onesweep_sort_config_static_selectorELNS0_4arch9wavefront6targetE1EEEvSD_
	.p2align	8
	.type	_ZN7rocprim17ROCPRIM_400000_NS6detail17trampoline_kernelINS0_14default_configENS1_35radix_sort_onesweep_config_selectorIjyEEZZNS1_29radix_sort_onesweep_iterationIS3_Lb0EPjS7_PyS8_jNS0_19identity_decomposerENS1_16block_id_wrapperIjLb1EEEEE10hipError_tT1_PNSt15iterator_traitsISD_E10value_typeET2_T3_PNSE_ISJ_E10value_typeET4_T5_PSO_SP_PNS1_23onesweep_lookback_stateEbbT6_jjT7_P12ihipStream_tbENKUlT_T0_SD_SI_E_clIS7_S7_S8_S8_EEDaSW_SX_SD_SI_EUlSW_E_NS1_11comp_targetILNS1_3genE4ELNS1_11target_archE910ELNS1_3gpuE8ELNS1_3repE0EEENS1_47radix_sort_onesweep_sort_config_static_selectorELNS0_4arch9wavefront6targetE1EEEvSD_,@function
_ZN7rocprim17ROCPRIM_400000_NS6detail17trampoline_kernelINS0_14default_configENS1_35radix_sort_onesweep_config_selectorIjyEEZZNS1_29radix_sort_onesweep_iterationIS3_Lb0EPjS7_PyS8_jNS0_19identity_decomposerENS1_16block_id_wrapperIjLb1EEEEE10hipError_tT1_PNSt15iterator_traitsISD_E10value_typeET2_T3_PNSE_ISJ_E10value_typeET4_T5_PSO_SP_PNS1_23onesweep_lookback_stateEbbT6_jjT7_P12ihipStream_tbENKUlT_T0_SD_SI_E_clIS7_S7_S8_S8_EEDaSW_SX_SD_SI_EUlSW_E_NS1_11comp_targetILNS1_3genE4ELNS1_11target_archE910ELNS1_3gpuE8ELNS1_3repE0EEENS1_47radix_sort_onesweep_sort_config_static_selectorELNS0_4arch9wavefront6targetE1EEEvSD_: ; @_ZN7rocprim17ROCPRIM_400000_NS6detail17trampoline_kernelINS0_14default_configENS1_35radix_sort_onesweep_config_selectorIjyEEZZNS1_29radix_sort_onesweep_iterationIS3_Lb0EPjS7_PyS8_jNS0_19identity_decomposerENS1_16block_id_wrapperIjLb1EEEEE10hipError_tT1_PNSt15iterator_traitsISD_E10value_typeET2_T3_PNSE_ISJ_E10value_typeET4_T5_PSO_SP_PNS1_23onesweep_lookback_stateEbbT6_jjT7_P12ihipStream_tbENKUlT_T0_SD_SI_E_clIS7_S7_S8_S8_EEDaSW_SX_SD_SI_EUlSW_E_NS1_11comp_targetILNS1_3genE4ELNS1_11target_archE910ELNS1_3gpuE8ELNS1_3repE0EEENS1_47radix_sort_onesweep_sort_config_static_selectorELNS0_4arch9wavefront6targetE1EEEvSD_
; %bb.0:
	s_load_dwordx4 s[52:55], s[4:5], 0x28
	s_load_dwordx2 s[42:43], s[4:5], 0x38
	s_load_dwordx4 s[56:59], s[4:5], 0x44
	v_and_b32_e32 v18, 0x3ff, v0
	v_cmp_eq_u32_e64 s[0:1], 0, v18
	s_and_saveexec_b64 s[2:3], s[0:1]
	s_cbranch_execz .LBB548_4
; %bb.1:
	s_mov_b64 s[10:11], exec
	v_mbcnt_lo_u32_b32 v1, s10, 0
	v_mbcnt_hi_u32_b32 v1, s11, v1
	v_cmp_eq_u32_e32 vcc, 0, v1
                                        ; implicit-def: $vgpr2
	s_and_saveexec_b64 s[8:9], vcc
	s_cbranch_execz .LBB548_3
; %bb.2:
	s_load_dwordx2 s[12:13], s[4:5], 0x50
	s_bcnt1_i32_b64 s7, s[10:11]
	v_mov_b32_e32 v2, 0
	v_mov_b32_e32 v3, s7
	s_waitcnt lgkmcnt(0)
	global_atomic_add v2, v2, v3, s[12:13] glc
.LBB548_3:
	s_or_b64 exec, exec, s[8:9]
	s_waitcnt vmcnt(0)
	v_readfirstlane_b32 s7, v2
	v_add_u32_e32 v1, s7, v1
	v_mov_b32_e32 v2, 0
	ds_write_b32 v2, v1 offset:10272
.LBB548_4:
	s_or_b64 exec, exec, s[2:3]
	v_mov_b32_e32 v1, 0
	s_load_dwordx8 s[44:51], s[4:5], 0x0
	s_load_dword s2, s[4:5], 0x20
	s_waitcnt lgkmcnt(0)
	s_barrier
	ds_read_b32 v1, v1 offset:10272
	v_mbcnt_lo_u32_b32 v19, -1, 0
	s_waitcnt lgkmcnt(0)
	s_barrier
	v_cmp_le_u32_e32 vcc, s58, v1
	v_readfirstlane_b32 s33, v1
	v_lshlrev_b32_e32 v1, 4, v18
	s_cbranch_vccz .LBB548_99
; %bb.5:
	s_lshl_b32 s3, s58, 13
	s_lshl_b32 s58, s33, 13
	s_mov_b32 s59, 0
	s_sub_i32 s7, s2, s3
	s_lshl_b64 s[2:3], s[58:59], 2
	v_mbcnt_hi_u32_b32 v6, -1, v19
	s_add_u32 s2, s44, s2
	v_and_b32_e32 v23, 63, v6
	s_addc_u32 s3, s45, s3
	v_lshlrev_b32_e32 v2, 2, v23
	v_and_b32_e32 v22, 0x3c00, v1
	v_mov_b32_e32 v3, s3
	v_add_co_u32_e32 v2, vcc, s2, v2
	v_addc_co_u32_e32 v3, vcc, 0, v3, vcc
	v_lshlrev_b32_e32 v4, 2, v22
	v_add_co_u32_e32 v2, vcc, v2, v4
	v_addc_co_u32_e32 v3, vcc, 0, v3, vcc
	v_or_b32_e32 v4, v23, v22
	v_cmp_gt_u32_e32 vcc, s7, v4
	v_mov_b32_e32 v24, -1
	v_mov_b32_e32 v25, -1
	s_and_saveexec_b64 s[2:3], vcc
	s_cbranch_execz .LBB548_7
; %bb.6:
	global_load_dword v25, v[2:3], off
.LBB548_7:
	s_or_b64 exec, exec, s[2:3]
	v_or_b32_e32 v5, 64, v4
	v_cmp_gt_u32_e64 s[10:11], s7, v5
	v_mov_b32_e32 v26, -1
	s_and_saveexec_b64 s[2:3], s[10:11]
	s_cbranch_execz .LBB548_9
; %bb.8:
	global_load_dword v26, v[2:3], off offset:256
.LBB548_9:
	s_or_b64 exec, exec, s[2:3]
	v_or_b32_e32 v5, 0x80, v4
	v_cmp_gt_u32_e64 s[12:13], s7, v5
	s_and_saveexec_b64 s[2:3], s[12:13]
	s_cbranch_execz .LBB548_11
; %bb.10:
	global_load_dword v24, v[2:3], off offset:512
.LBB548_11:
	s_or_b64 exec, exec, s[2:3]
	v_or_b32_e32 v5, 0xc0, v4
	v_cmp_gt_u32_e64 s[16:17], s7, v5
	v_mov_b32_e32 v27, -1
	v_mov_b32_e32 v28, -1
	s_and_saveexec_b64 s[2:3], s[16:17]
	s_cbranch_execz .LBB548_13
; %bb.12:
	global_load_dword v28, v[2:3], off offset:768
.LBB548_13:
	s_or_b64 exec, exec, s[2:3]
	v_or_b32_e32 v5, 0x100, v4
	v_cmp_gt_u32_e64 s[20:21], s7, v5
	s_and_saveexec_b64 s[2:3], s[20:21]
	s_cbranch_execz .LBB548_15
; %bb.14:
	global_load_dword v27, v[2:3], off offset:1024
.LBB548_15:
	s_or_b64 exec, exec, s[2:3]
	v_or_b32_e32 v5, 0x140, v4
	v_cmp_gt_u32_e64 s[22:23], s7, v5
	v_mov_b32_e32 v29, -1
	;; [unrolled: 18-line block ×7, first 2 shown]
	s_and_saveexec_b64 s[36:37], s[2:3]
	s_cbranch_execz .LBB548_37
; %bb.36:
	global_load_dword v39, v[2:3], off offset:3840
.LBB548_37:
	s_or_b64 exec, exec, s[36:37]
	s_load_dword s36, s[4:5], 0x64
	s_load_dword s68, s[4:5], 0x58
	s_add_u32 s37, s4, 0x58
	s_addc_u32 s40, s5, 0
	v_mov_b32_e32 v2, 0
	s_waitcnt lgkmcnt(0)
	s_lshr_b32 s41, s36, 16
	s_cmp_lt_u32 s6, s68
	s_cselect_b32 s36, 12, 18
	s_add_u32 s36, s37, s36
	s_addc_u32 s37, s40, 0
	global_load_ushort v4, v2, s[36:37]
	s_lshl_b32 s36, -1, s57
	s_waitcnt vmcnt(1)
	v_lshrrev_b32_e32 v8, s56, v25
	s_not_b32 s69, s36
	v_and_b32_e32 v8, s69, v8
	v_and_b32_e32 v10, 1, v8
	v_bfe_u32 v3, v0, 10, 10
	v_bfe_u32 v5, v0, 20, 10
	v_add_co_u32_e64 v11, s[36:37], -1, v10
	v_mad_u32_u24 v5, v5, s41, v3
	v_lshlrev_b32_e32 v3, 30, v8
	v_addc_co_u32_e64 v12, s[36:37], 0, -1, s[36:37]
	v_cmp_ne_u32_e64 s[36:37], 0, v10
	v_cmp_gt_i64_e64 s[40:41], 0, v[2:3]
	v_not_b32_e32 v10, v3
	v_lshlrev_b32_e32 v3, 29, v8
	v_xor_b32_e32 v12, s37, v12
	v_xor_b32_e32 v11, s36, v11
	v_ashrrev_i32_e32 v10, 31, v10
	v_cmp_gt_i64_e64 s[36:37], 0, v[2:3]
	v_not_b32_e32 v13, v3
	v_lshlrev_b32_e32 v3, 28, v8
	v_and_b32_e32 v12, exec_hi, v12
	v_and_b32_e32 v11, exec_lo, v11
	v_xor_b32_e32 v14, s41, v10
	v_xor_b32_e32 v10, s40, v10
	v_ashrrev_i32_e32 v13, 31, v13
	v_cmp_gt_i64_e64 s[40:41], 0, v[2:3]
	v_not_b32_e32 v15, v3
	v_lshlrev_b32_e32 v3, 27, v8
	v_and_b32_e32 v12, v12, v14
	v_and_b32_e32 v10, v11, v10
	v_xor_b32_e32 v11, s37, v13
	v_xor_b32_e32 v13, s36, v13
	v_ashrrev_i32_e32 v14, 31, v15
	v_cmp_gt_i64_e64 s[36:37], 0, v[2:3]
	v_not_b32_e32 v15, v3
	v_lshlrev_b32_e32 v3, 26, v8
	v_and_b32_e32 v11, v12, v11
	v_and_b32_e32 v10, v10, v13
	;; [unrolled: 8-line block ×3, first 2 shown]
	v_xor_b32_e32 v12, s37, v14
	v_xor_b32_e32 v13, s36, v14
	v_ashrrev_i32_e32 v14, 31, v15
	v_cmp_gt_i64_e64 s[36:37], 0, v[2:3]
	v_not_b32_e32 v15, v3
	v_lshlrev_b32_e32 v3, 24, v8
	v_lshl_add_u32 v9, v8, 3, v8
	v_and_b32_e32 v8, v11, v12
	v_and_b32_e32 v10, v10, v13
	v_xor_b32_e32 v11, s41, v14
	v_xor_b32_e32 v12, s40, v14
	v_ashrrev_i32_e32 v13, 31, v15
	v_cmp_gt_i64_e64 s[40:41], 0, v[2:3]
	v_not_b32_e32 v3, v3
	v_and_b32_e32 v8, v8, v11
	v_and_b32_e32 v10, v10, v12
	v_xor_b32_e32 v11, s37, v13
	v_xor_b32_e32 v12, s36, v13
	v_ashrrev_i32_e32 v3, 31, v3
	v_and_b32_e32 v8, v8, v11
	v_and_b32_e32 v10, v10, v12
	v_mul_u32_u24_e32 v7, 5, v18
	v_lshlrev_b32_e32 v7, 2, v7
	ds_write2_b32 v7, v2, v2 offset0:8 offset1:9
	ds_write2_b32 v7, v2, v2 offset0:10 offset1:11
	ds_write_b32 v7, v2 offset:48
	s_waitcnt lgkmcnt(0)
	s_barrier
	s_waitcnt lgkmcnt(0)
	; wave barrier
	s_waitcnt vmcnt(0)
	v_mad_u64_u32 v[4:5], s[36:37], v5, v4, v[18:19]
	v_lshrrev_b32_e32 v21, 6, v4
	v_xor_b32_e32 v4, s41, v3
	v_xor_b32_e32 v3, s40, v3
	v_and_b32_e32 v5, v8, v4
	v_and_b32_e32 v4, v10, v3
	v_mbcnt_lo_u32_b32 v3, v4, 0
	v_mbcnt_hi_u32_b32 v8, v5, v3
	v_cmp_eq_u32_e64 s[36:37], 0, v8
	v_cmp_ne_u64_e64 s[40:41], 0, v[4:5]
	v_add_lshl_u32 v12, v21, v9, 2
	s_and_b64 s[40:41], s[40:41], s[36:37]
	s_and_saveexec_b64 s[36:37], s[40:41]
	s_cbranch_execz .LBB548_39
; %bb.38:
	v_bcnt_u32_b32 v3, v4, 0
	v_bcnt_u32_b32 v3, v5, v3
	ds_write_b32 v12, v3 offset:32
.LBB548_39:
	s_or_b64 exec, exec, s[36:37]
	v_lshrrev_b32_e32 v3, s56, v26
	v_and_b32_e32 v4, s69, v3
	v_lshl_add_u32 v3, v4, 3, v4
	v_add_lshl_u32 v13, v21, v3, 2
	v_and_b32_e32 v3, 1, v4
	v_add_co_u32_e64 v5, s[36:37], -1, v3
	v_addc_co_u32_e64 v10, s[36:37], 0, -1, s[36:37]
	v_cmp_ne_u32_e64 s[36:37], 0, v3
	v_xor_b32_e32 v3, s37, v10
	v_and_b32_e32 v10, exec_hi, v3
	v_lshlrev_b32_e32 v3, 30, v4
	v_xor_b32_e32 v5, s36, v5
	v_cmp_gt_i64_e64 s[36:37], 0, v[2:3]
	v_not_b32_e32 v3, v3
	v_ashrrev_i32_e32 v3, 31, v3
	v_and_b32_e32 v5, exec_lo, v5
	v_xor_b32_e32 v11, s37, v3
	v_xor_b32_e32 v3, s36, v3
	v_and_b32_e32 v5, v5, v3
	v_lshlrev_b32_e32 v3, 29, v4
	v_cmp_gt_i64_e64 s[36:37], 0, v[2:3]
	v_not_b32_e32 v3, v3
	v_ashrrev_i32_e32 v3, 31, v3
	v_and_b32_e32 v10, v10, v11
	v_xor_b32_e32 v11, s37, v3
	v_xor_b32_e32 v3, s36, v3
	v_and_b32_e32 v5, v5, v3
	v_lshlrev_b32_e32 v3, 28, v4
	v_cmp_gt_i64_e64 s[36:37], 0, v[2:3]
	v_not_b32_e32 v3, v3
	v_ashrrev_i32_e32 v3, 31, v3
	v_and_b32_e32 v10, v10, v11
	;; [unrolled: 8-line block ×5, first 2 shown]
	v_xor_b32_e32 v11, s37, v3
	v_xor_b32_e32 v3, s36, v3
	v_and_b32_e32 v5, v5, v3
	v_lshlrev_b32_e32 v3, 24, v4
	v_cmp_gt_i64_e64 s[36:37], 0, v[2:3]
	v_not_b32_e32 v2, v3
	v_ashrrev_i32_e32 v2, 31, v2
	v_xor_b32_e32 v3, s37, v2
	v_xor_b32_e32 v2, s36, v2
	; wave barrier
	ds_read_b32 v9, v13 offset:32
	v_and_b32_e32 v10, v10, v11
	v_and_b32_e32 v2, v5, v2
	;; [unrolled: 1-line block ×3, first 2 shown]
	v_mbcnt_lo_u32_b32 v4, v2, 0
	v_mbcnt_hi_u32_b32 v10, v3, v4
	v_cmp_eq_u32_e64 s[36:37], 0, v10
	v_cmp_ne_u64_e64 s[40:41], 0, v[2:3]
	s_and_b64 s[40:41], s[40:41], s[36:37]
	; wave barrier
	s_and_saveexec_b64 s[36:37], s[40:41]
	s_cbranch_execz .LBB548_41
; %bb.40:
	v_bcnt_u32_b32 v2, v2, 0
	v_bcnt_u32_b32 v2, v3, v2
	s_waitcnt lgkmcnt(0)
	v_add_u32_e32 v2, v9, v2
	ds_write_b32 v13, v2 offset:32
.LBB548_41:
	s_or_b64 exec, exec, s[36:37]
	v_lshrrev_b32_e32 v2, s56, v24
	v_and_b32_e32 v4, s69, v2
	v_and_b32_e32 v3, 1, v4
	v_add_co_u32_e64 v5, s[36:37], -1, v3
	v_addc_co_u32_e64 v14, s[36:37], 0, -1, s[36:37]
	v_cmp_ne_u32_e64 s[36:37], 0, v3
	v_lshl_add_u32 v2, v4, 3, v4
	v_xor_b32_e32 v3, s37, v14
	v_add_lshl_u32 v16, v21, v2, 2
	v_mov_b32_e32 v2, 0
	v_and_b32_e32 v14, exec_hi, v3
	v_lshlrev_b32_e32 v3, 30, v4
	v_xor_b32_e32 v5, s36, v5
	v_cmp_gt_i64_e64 s[36:37], 0, v[2:3]
	v_not_b32_e32 v3, v3
	v_ashrrev_i32_e32 v3, 31, v3
	v_and_b32_e32 v5, exec_lo, v5
	v_xor_b32_e32 v15, s37, v3
	v_xor_b32_e32 v3, s36, v3
	v_and_b32_e32 v5, v5, v3
	v_lshlrev_b32_e32 v3, 29, v4
	v_cmp_gt_i64_e64 s[36:37], 0, v[2:3]
	v_not_b32_e32 v3, v3
	v_ashrrev_i32_e32 v3, 31, v3
	v_and_b32_e32 v14, v14, v15
	v_xor_b32_e32 v15, s37, v3
	v_xor_b32_e32 v3, s36, v3
	v_and_b32_e32 v5, v5, v3
	v_lshlrev_b32_e32 v3, 28, v4
	v_cmp_gt_i64_e64 s[36:37], 0, v[2:3]
	v_not_b32_e32 v3, v3
	v_ashrrev_i32_e32 v3, 31, v3
	v_and_b32_e32 v14, v14, v15
	;; [unrolled: 8-line block ×5, first 2 shown]
	v_xor_b32_e32 v15, s37, v3
	v_xor_b32_e32 v3, s36, v3
	v_and_b32_e32 v14, v14, v15
	v_and_b32_e32 v15, v5, v3
	v_lshlrev_b32_e32 v3, 24, v4
	v_cmp_gt_i64_e64 s[36:37], 0, v[2:3]
	v_not_b32_e32 v3, v3
	v_ashrrev_i32_e32 v3, 31, v3
	v_xor_b32_e32 v4, s37, v3
	v_xor_b32_e32 v3, s36, v3
	; wave barrier
	ds_read_b32 v11, v16 offset:32
	v_and_b32_e32 v5, v14, v4
	v_and_b32_e32 v4, v15, v3
	v_mbcnt_lo_u32_b32 v3, v4, 0
	v_mbcnt_hi_u32_b32 v14, v5, v3
	v_cmp_eq_u32_e64 s[36:37], 0, v14
	v_cmp_ne_u64_e64 s[40:41], 0, v[4:5]
	s_and_b64 s[40:41], s[40:41], s[36:37]
	; wave barrier
	s_and_saveexec_b64 s[36:37], s[40:41]
	s_cbranch_execz .LBB548_43
; %bb.42:
	v_bcnt_u32_b32 v3, v4, 0
	v_bcnt_u32_b32 v3, v5, v3
	s_waitcnt lgkmcnt(0)
	v_add_u32_e32 v3, v11, v3
	ds_write_b32 v16, v3 offset:32
.LBB548_43:
	s_or_b64 exec, exec, s[36:37]
	v_lshrrev_b32_e32 v3, s56, v28
	v_and_b32_e32 v4, s69, v3
	v_lshl_add_u32 v3, v4, 3, v4
	v_add_lshl_u32 v40, v21, v3, 2
	v_and_b32_e32 v3, 1, v4
	v_add_co_u32_e64 v5, s[36:37], -1, v3
	v_addc_co_u32_e64 v17, s[36:37], 0, -1, s[36:37]
	v_cmp_ne_u32_e64 s[36:37], 0, v3
	v_xor_b32_e32 v3, s37, v17
	v_and_b32_e32 v17, exec_hi, v3
	v_lshlrev_b32_e32 v3, 30, v4
	v_xor_b32_e32 v5, s36, v5
	v_cmp_gt_i64_e64 s[36:37], 0, v[2:3]
	v_not_b32_e32 v3, v3
	v_ashrrev_i32_e32 v3, 31, v3
	v_and_b32_e32 v5, exec_lo, v5
	v_xor_b32_e32 v20, s37, v3
	v_xor_b32_e32 v3, s36, v3
	v_and_b32_e32 v5, v5, v3
	v_lshlrev_b32_e32 v3, 29, v4
	v_cmp_gt_i64_e64 s[36:37], 0, v[2:3]
	v_not_b32_e32 v3, v3
	v_ashrrev_i32_e32 v3, 31, v3
	v_and_b32_e32 v17, v17, v20
	v_xor_b32_e32 v20, s37, v3
	v_xor_b32_e32 v3, s36, v3
	v_and_b32_e32 v5, v5, v3
	v_lshlrev_b32_e32 v3, 28, v4
	v_cmp_gt_i64_e64 s[36:37], 0, v[2:3]
	v_not_b32_e32 v3, v3
	v_ashrrev_i32_e32 v3, 31, v3
	v_and_b32_e32 v17, v17, v20
	v_xor_b32_e32 v20, s37, v3
	v_xor_b32_e32 v3, s36, v3
	v_and_b32_e32 v5, v5, v3
	v_lshlrev_b32_e32 v3, 27, v4
	v_cmp_gt_i64_e64 s[36:37], 0, v[2:3]
	v_not_b32_e32 v3, v3
	v_ashrrev_i32_e32 v3, 31, v3
	v_and_b32_e32 v17, v17, v20
	v_xor_b32_e32 v20, s37, v3
	v_xor_b32_e32 v3, s36, v3
	v_and_b32_e32 v5, v5, v3
	v_lshlrev_b32_e32 v3, 26, v4
	v_cmp_gt_i64_e64 s[36:37], 0, v[2:3]
	v_not_b32_e32 v3, v3
	v_ashrrev_i32_e32 v3, 31, v3
	v_and_b32_e32 v17, v17, v20
	v_xor_b32_e32 v20, s37, v3
	v_xor_b32_e32 v3, s36, v3
	v_and_b32_e32 v5, v5, v3
	v_lshlrev_b32_e32 v3, 25, v4
	v_cmp_gt_i64_e64 s[36:37], 0, v[2:3]
	v_not_b32_e32 v3, v3
	v_ashrrev_i32_e32 v3, 31, v3
	v_and_b32_e32 v17, v17, v20
	v_xor_b32_e32 v20, s37, v3
	v_xor_b32_e32 v3, s36, v3
	v_and_b32_e32 v5, v5, v3
	v_lshlrev_b32_e32 v3, 24, v4
	v_cmp_gt_i64_e64 s[36:37], 0, v[2:3]
	v_not_b32_e32 v2, v3
	v_ashrrev_i32_e32 v2, 31, v2
	v_xor_b32_e32 v3, s37, v2
	v_xor_b32_e32 v2, s36, v2
	; wave barrier
	ds_read_b32 v15, v40 offset:32
	v_and_b32_e32 v17, v17, v20
	v_and_b32_e32 v2, v5, v2
	;; [unrolled: 1-line block ×3, first 2 shown]
	v_mbcnt_lo_u32_b32 v4, v2, 0
	v_mbcnt_hi_u32_b32 v17, v3, v4
	v_cmp_eq_u32_e64 s[36:37], 0, v17
	v_cmp_ne_u64_e64 s[40:41], 0, v[2:3]
	s_and_b64 s[40:41], s[40:41], s[36:37]
	; wave barrier
	s_and_saveexec_b64 s[36:37], s[40:41]
	s_cbranch_execz .LBB548_45
; %bb.44:
	v_bcnt_u32_b32 v2, v2, 0
	v_bcnt_u32_b32 v2, v3, v2
	s_waitcnt lgkmcnt(0)
	v_add_u32_e32 v2, v15, v2
	ds_write_b32 v40, v2 offset:32
.LBB548_45:
	s_or_b64 exec, exec, s[36:37]
	v_lshrrev_b32_e32 v2, s56, v27
	v_and_b32_e32 v4, s69, v2
	v_and_b32_e32 v3, 1, v4
	v_add_co_u32_e64 v5, s[36:37], -1, v3
	v_addc_co_u32_e64 v41, s[36:37], 0, -1, s[36:37]
	v_cmp_ne_u32_e64 s[36:37], 0, v3
	v_lshl_add_u32 v2, v4, 3, v4
	v_xor_b32_e32 v3, s37, v41
	v_add_lshl_u32 v43, v21, v2, 2
	v_mov_b32_e32 v2, 0
	v_and_b32_e32 v41, exec_hi, v3
	v_lshlrev_b32_e32 v3, 30, v4
	v_xor_b32_e32 v5, s36, v5
	v_cmp_gt_i64_e64 s[36:37], 0, v[2:3]
	v_not_b32_e32 v3, v3
	v_ashrrev_i32_e32 v3, 31, v3
	v_and_b32_e32 v5, exec_lo, v5
	v_xor_b32_e32 v42, s37, v3
	v_xor_b32_e32 v3, s36, v3
	v_and_b32_e32 v5, v5, v3
	v_lshlrev_b32_e32 v3, 29, v4
	v_cmp_gt_i64_e64 s[36:37], 0, v[2:3]
	v_not_b32_e32 v3, v3
	v_ashrrev_i32_e32 v3, 31, v3
	v_and_b32_e32 v41, v41, v42
	v_xor_b32_e32 v42, s37, v3
	v_xor_b32_e32 v3, s36, v3
	v_and_b32_e32 v5, v5, v3
	v_lshlrev_b32_e32 v3, 28, v4
	v_cmp_gt_i64_e64 s[36:37], 0, v[2:3]
	v_not_b32_e32 v3, v3
	v_ashrrev_i32_e32 v3, 31, v3
	v_and_b32_e32 v41, v41, v42
	v_xor_b32_e32 v42, s37, v3
	v_xor_b32_e32 v3, s36, v3
	v_and_b32_e32 v5, v5, v3
	v_lshlrev_b32_e32 v3, 27, v4
	v_cmp_gt_i64_e64 s[36:37], 0, v[2:3]
	v_not_b32_e32 v3, v3
	v_ashrrev_i32_e32 v3, 31, v3
	v_and_b32_e32 v41, v41, v42
	v_xor_b32_e32 v42, s37, v3
	v_xor_b32_e32 v3, s36, v3
	v_and_b32_e32 v5, v5, v3
	v_lshlrev_b32_e32 v3, 26, v4
	v_cmp_gt_i64_e64 s[36:37], 0, v[2:3]
	v_not_b32_e32 v3, v3
	v_ashrrev_i32_e32 v3, 31, v3
	v_and_b32_e32 v41, v41, v42
	v_xor_b32_e32 v42, s37, v3
	v_xor_b32_e32 v3, s36, v3
	v_and_b32_e32 v5, v5, v3
	v_lshlrev_b32_e32 v3, 25, v4
	v_cmp_gt_i64_e64 s[36:37], 0, v[2:3]
	v_not_b32_e32 v3, v3
	v_ashrrev_i32_e32 v3, 31, v3
	v_and_b32_e32 v41, v41, v42
	v_xor_b32_e32 v42, s37, v3
	v_xor_b32_e32 v3, s36, v3
	v_and_b32_e32 v41, v41, v42
	v_and_b32_e32 v42, v5, v3
	v_lshlrev_b32_e32 v3, 24, v4
	v_cmp_gt_i64_e64 s[36:37], 0, v[2:3]
	v_not_b32_e32 v3, v3
	v_ashrrev_i32_e32 v3, 31, v3
	v_xor_b32_e32 v4, s37, v3
	v_xor_b32_e32 v3, s36, v3
	; wave barrier
	ds_read_b32 v20, v43 offset:32
	v_and_b32_e32 v5, v41, v4
	v_and_b32_e32 v4, v42, v3
	v_mbcnt_lo_u32_b32 v3, v4, 0
	v_mbcnt_hi_u32_b32 v41, v5, v3
	v_cmp_eq_u32_e64 s[36:37], 0, v41
	v_cmp_ne_u64_e64 s[40:41], 0, v[4:5]
	s_and_b64 s[40:41], s[40:41], s[36:37]
	; wave barrier
	s_and_saveexec_b64 s[36:37], s[40:41]
	s_cbranch_execz .LBB548_47
; %bb.46:
	v_bcnt_u32_b32 v3, v4, 0
	v_bcnt_u32_b32 v3, v5, v3
	s_waitcnt lgkmcnt(0)
	v_add_u32_e32 v3, v20, v3
	ds_write_b32 v43, v3 offset:32
.LBB548_47:
	s_or_b64 exec, exec, s[36:37]
	v_lshrrev_b32_e32 v3, s56, v30
	v_and_b32_e32 v4, s69, v3
	v_lshl_add_u32 v3, v4, 3, v4
	v_add_lshl_u32 v46, v21, v3, 2
	v_and_b32_e32 v3, 1, v4
	v_add_co_u32_e64 v5, s[36:37], -1, v3
	v_addc_co_u32_e64 v44, s[36:37], 0, -1, s[36:37]
	v_cmp_ne_u32_e64 s[36:37], 0, v3
	v_xor_b32_e32 v3, s37, v44
	v_and_b32_e32 v44, exec_hi, v3
	v_lshlrev_b32_e32 v3, 30, v4
	v_xor_b32_e32 v5, s36, v5
	v_cmp_gt_i64_e64 s[36:37], 0, v[2:3]
	v_not_b32_e32 v3, v3
	v_ashrrev_i32_e32 v3, 31, v3
	v_and_b32_e32 v5, exec_lo, v5
	v_xor_b32_e32 v45, s37, v3
	v_xor_b32_e32 v3, s36, v3
	v_and_b32_e32 v5, v5, v3
	v_lshlrev_b32_e32 v3, 29, v4
	v_cmp_gt_i64_e64 s[36:37], 0, v[2:3]
	v_not_b32_e32 v3, v3
	v_ashrrev_i32_e32 v3, 31, v3
	v_and_b32_e32 v44, v44, v45
	v_xor_b32_e32 v45, s37, v3
	v_xor_b32_e32 v3, s36, v3
	v_and_b32_e32 v5, v5, v3
	v_lshlrev_b32_e32 v3, 28, v4
	v_cmp_gt_i64_e64 s[36:37], 0, v[2:3]
	v_not_b32_e32 v3, v3
	v_ashrrev_i32_e32 v3, 31, v3
	v_and_b32_e32 v44, v44, v45
	;; [unrolled: 8-line block ×5, first 2 shown]
	v_xor_b32_e32 v45, s37, v3
	v_xor_b32_e32 v3, s36, v3
	v_and_b32_e32 v5, v5, v3
	v_lshlrev_b32_e32 v3, 24, v4
	v_cmp_gt_i64_e64 s[36:37], 0, v[2:3]
	v_not_b32_e32 v2, v3
	v_ashrrev_i32_e32 v2, 31, v2
	v_xor_b32_e32 v3, s37, v2
	v_xor_b32_e32 v2, s36, v2
	; wave barrier
	ds_read_b32 v42, v46 offset:32
	v_and_b32_e32 v44, v44, v45
	v_and_b32_e32 v2, v5, v2
	;; [unrolled: 1-line block ×3, first 2 shown]
	v_mbcnt_lo_u32_b32 v4, v2, 0
	v_mbcnt_hi_u32_b32 v44, v3, v4
	v_cmp_eq_u32_e64 s[36:37], 0, v44
	v_cmp_ne_u64_e64 s[40:41], 0, v[2:3]
	s_and_b64 s[40:41], s[40:41], s[36:37]
	; wave barrier
	s_and_saveexec_b64 s[36:37], s[40:41]
	s_cbranch_execz .LBB548_49
; %bb.48:
	v_bcnt_u32_b32 v2, v2, 0
	v_bcnt_u32_b32 v2, v3, v2
	s_waitcnt lgkmcnt(0)
	v_add_u32_e32 v2, v42, v2
	ds_write_b32 v46, v2 offset:32
.LBB548_49:
	s_or_b64 exec, exec, s[36:37]
	v_lshrrev_b32_e32 v2, s56, v29
	v_and_b32_e32 v4, s69, v2
	v_and_b32_e32 v3, 1, v4
	v_add_co_u32_e64 v5, s[36:37], -1, v3
	v_addc_co_u32_e64 v47, s[36:37], 0, -1, s[36:37]
	v_cmp_ne_u32_e64 s[36:37], 0, v3
	v_lshl_add_u32 v2, v4, 3, v4
	v_xor_b32_e32 v3, s37, v47
	v_add_lshl_u32 v49, v21, v2, 2
	v_mov_b32_e32 v2, 0
	v_and_b32_e32 v47, exec_hi, v3
	v_lshlrev_b32_e32 v3, 30, v4
	v_xor_b32_e32 v5, s36, v5
	v_cmp_gt_i64_e64 s[36:37], 0, v[2:3]
	v_not_b32_e32 v3, v3
	v_ashrrev_i32_e32 v3, 31, v3
	v_and_b32_e32 v5, exec_lo, v5
	v_xor_b32_e32 v48, s37, v3
	v_xor_b32_e32 v3, s36, v3
	v_and_b32_e32 v5, v5, v3
	v_lshlrev_b32_e32 v3, 29, v4
	v_cmp_gt_i64_e64 s[36:37], 0, v[2:3]
	v_not_b32_e32 v3, v3
	v_ashrrev_i32_e32 v3, 31, v3
	v_and_b32_e32 v47, v47, v48
	v_xor_b32_e32 v48, s37, v3
	v_xor_b32_e32 v3, s36, v3
	v_and_b32_e32 v5, v5, v3
	v_lshlrev_b32_e32 v3, 28, v4
	v_cmp_gt_i64_e64 s[36:37], 0, v[2:3]
	v_not_b32_e32 v3, v3
	v_ashrrev_i32_e32 v3, 31, v3
	v_and_b32_e32 v47, v47, v48
	;; [unrolled: 8-line block ×5, first 2 shown]
	v_xor_b32_e32 v48, s37, v3
	v_xor_b32_e32 v3, s36, v3
	v_and_b32_e32 v47, v47, v48
	v_and_b32_e32 v48, v5, v3
	v_lshlrev_b32_e32 v3, 24, v4
	v_cmp_gt_i64_e64 s[36:37], 0, v[2:3]
	v_not_b32_e32 v3, v3
	v_ashrrev_i32_e32 v3, 31, v3
	v_xor_b32_e32 v4, s37, v3
	v_xor_b32_e32 v3, s36, v3
	; wave barrier
	ds_read_b32 v45, v49 offset:32
	v_and_b32_e32 v5, v47, v4
	v_and_b32_e32 v4, v48, v3
	v_mbcnt_lo_u32_b32 v3, v4, 0
	v_mbcnt_hi_u32_b32 v47, v5, v3
	v_cmp_eq_u32_e64 s[36:37], 0, v47
	v_cmp_ne_u64_e64 s[40:41], 0, v[4:5]
	s_and_b64 s[40:41], s[40:41], s[36:37]
	; wave barrier
	s_and_saveexec_b64 s[36:37], s[40:41]
	s_cbranch_execz .LBB548_51
; %bb.50:
	v_bcnt_u32_b32 v3, v4, 0
	v_bcnt_u32_b32 v3, v5, v3
	s_waitcnt lgkmcnt(0)
	v_add_u32_e32 v3, v45, v3
	ds_write_b32 v49, v3 offset:32
.LBB548_51:
	s_or_b64 exec, exec, s[36:37]
	v_lshrrev_b32_e32 v3, s56, v32
	v_and_b32_e32 v4, s69, v3
	v_lshl_add_u32 v3, v4, 3, v4
	v_add_lshl_u32 v52, v21, v3, 2
	v_and_b32_e32 v3, 1, v4
	v_add_co_u32_e64 v5, s[36:37], -1, v3
	v_addc_co_u32_e64 v50, s[36:37], 0, -1, s[36:37]
	v_cmp_ne_u32_e64 s[36:37], 0, v3
	v_xor_b32_e32 v3, s37, v50
	v_and_b32_e32 v50, exec_hi, v3
	v_lshlrev_b32_e32 v3, 30, v4
	v_xor_b32_e32 v5, s36, v5
	v_cmp_gt_i64_e64 s[36:37], 0, v[2:3]
	v_not_b32_e32 v3, v3
	v_ashrrev_i32_e32 v3, 31, v3
	v_and_b32_e32 v5, exec_lo, v5
	v_xor_b32_e32 v51, s37, v3
	v_xor_b32_e32 v3, s36, v3
	v_and_b32_e32 v5, v5, v3
	v_lshlrev_b32_e32 v3, 29, v4
	v_cmp_gt_i64_e64 s[36:37], 0, v[2:3]
	v_not_b32_e32 v3, v3
	v_ashrrev_i32_e32 v3, 31, v3
	v_and_b32_e32 v50, v50, v51
	v_xor_b32_e32 v51, s37, v3
	v_xor_b32_e32 v3, s36, v3
	v_and_b32_e32 v5, v5, v3
	v_lshlrev_b32_e32 v3, 28, v4
	v_cmp_gt_i64_e64 s[36:37], 0, v[2:3]
	v_not_b32_e32 v3, v3
	v_ashrrev_i32_e32 v3, 31, v3
	v_and_b32_e32 v50, v50, v51
	;; [unrolled: 8-line block ×5, first 2 shown]
	v_xor_b32_e32 v51, s37, v3
	v_xor_b32_e32 v3, s36, v3
	v_and_b32_e32 v5, v5, v3
	v_lshlrev_b32_e32 v3, 24, v4
	v_cmp_gt_i64_e64 s[36:37], 0, v[2:3]
	v_not_b32_e32 v2, v3
	v_ashrrev_i32_e32 v2, 31, v2
	v_xor_b32_e32 v3, s37, v2
	v_xor_b32_e32 v2, s36, v2
	; wave barrier
	ds_read_b32 v48, v52 offset:32
	v_and_b32_e32 v50, v50, v51
	v_and_b32_e32 v2, v5, v2
	;; [unrolled: 1-line block ×3, first 2 shown]
	v_mbcnt_lo_u32_b32 v4, v2, 0
	v_mbcnt_hi_u32_b32 v50, v3, v4
	v_cmp_eq_u32_e64 s[36:37], 0, v50
	v_cmp_ne_u64_e64 s[40:41], 0, v[2:3]
	s_and_b64 s[40:41], s[40:41], s[36:37]
	; wave barrier
	s_and_saveexec_b64 s[36:37], s[40:41]
	s_cbranch_execz .LBB548_53
; %bb.52:
	v_bcnt_u32_b32 v2, v2, 0
	v_bcnt_u32_b32 v2, v3, v2
	s_waitcnt lgkmcnt(0)
	v_add_u32_e32 v2, v48, v2
	ds_write_b32 v52, v2 offset:32
.LBB548_53:
	s_or_b64 exec, exec, s[36:37]
	v_lshrrev_b32_e32 v2, s56, v31
	v_and_b32_e32 v4, s69, v2
	v_and_b32_e32 v3, 1, v4
	v_add_co_u32_e64 v5, s[36:37], -1, v3
	v_addc_co_u32_e64 v53, s[36:37], 0, -1, s[36:37]
	v_cmp_ne_u32_e64 s[36:37], 0, v3
	v_lshl_add_u32 v2, v4, 3, v4
	v_xor_b32_e32 v3, s37, v53
	v_add_lshl_u32 v55, v21, v2, 2
	v_mov_b32_e32 v2, 0
	v_and_b32_e32 v53, exec_hi, v3
	v_lshlrev_b32_e32 v3, 30, v4
	v_xor_b32_e32 v5, s36, v5
	v_cmp_gt_i64_e64 s[36:37], 0, v[2:3]
	v_not_b32_e32 v3, v3
	v_ashrrev_i32_e32 v3, 31, v3
	v_and_b32_e32 v5, exec_lo, v5
	v_xor_b32_e32 v54, s37, v3
	v_xor_b32_e32 v3, s36, v3
	v_and_b32_e32 v5, v5, v3
	v_lshlrev_b32_e32 v3, 29, v4
	v_cmp_gt_i64_e64 s[36:37], 0, v[2:3]
	v_not_b32_e32 v3, v3
	v_ashrrev_i32_e32 v3, 31, v3
	v_and_b32_e32 v53, v53, v54
	v_xor_b32_e32 v54, s37, v3
	v_xor_b32_e32 v3, s36, v3
	v_and_b32_e32 v5, v5, v3
	v_lshlrev_b32_e32 v3, 28, v4
	v_cmp_gt_i64_e64 s[36:37], 0, v[2:3]
	v_not_b32_e32 v3, v3
	v_ashrrev_i32_e32 v3, 31, v3
	v_and_b32_e32 v53, v53, v54
	;; [unrolled: 8-line block ×5, first 2 shown]
	v_xor_b32_e32 v54, s37, v3
	v_xor_b32_e32 v3, s36, v3
	v_and_b32_e32 v53, v53, v54
	v_and_b32_e32 v54, v5, v3
	v_lshlrev_b32_e32 v3, 24, v4
	v_cmp_gt_i64_e64 s[36:37], 0, v[2:3]
	v_not_b32_e32 v3, v3
	v_ashrrev_i32_e32 v3, 31, v3
	v_xor_b32_e32 v4, s37, v3
	v_xor_b32_e32 v3, s36, v3
	; wave barrier
	ds_read_b32 v51, v55 offset:32
	v_and_b32_e32 v5, v53, v4
	v_and_b32_e32 v4, v54, v3
	v_mbcnt_lo_u32_b32 v3, v4, 0
	v_mbcnt_hi_u32_b32 v53, v5, v3
	v_cmp_eq_u32_e64 s[36:37], 0, v53
	v_cmp_ne_u64_e64 s[40:41], 0, v[4:5]
	s_and_b64 s[40:41], s[40:41], s[36:37]
	; wave barrier
	s_and_saveexec_b64 s[36:37], s[40:41]
	s_cbranch_execz .LBB548_55
; %bb.54:
	v_bcnt_u32_b32 v3, v4, 0
	v_bcnt_u32_b32 v3, v5, v3
	s_waitcnt lgkmcnt(0)
	v_add_u32_e32 v3, v51, v3
	ds_write_b32 v55, v3 offset:32
.LBB548_55:
	s_or_b64 exec, exec, s[36:37]
	v_lshrrev_b32_e32 v3, s56, v34
	v_and_b32_e32 v4, s69, v3
	v_lshl_add_u32 v3, v4, 3, v4
	v_add_lshl_u32 v58, v21, v3, 2
	v_and_b32_e32 v3, 1, v4
	v_add_co_u32_e64 v5, s[36:37], -1, v3
	v_addc_co_u32_e64 v56, s[36:37], 0, -1, s[36:37]
	v_cmp_ne_u32_e64 s[36:37], 0, v3
	v_xor_b32_e32 v3, s37, v56
	v_and_b32_e32 v56, exec_hi, v3
	v_lshlrev_b32_e32 v3, 30, v4
	v_xor_b32_e32 v5, s36, v5
	v_cmp_gt_i64_e64 s[36:37], 0, v[2:3]
	v_not_b32_e32 v3, v3
	v_ashrrev_i32_e32 v3, 31, v3
	v_and_b32_e32 v5, exec_lo, v5
	v_xor_b32_e32 v57, s37, v3
	v_xor_b32_e32 v3, s36, v3
	v_and_b32_e32 v5, v5, v3
	v_lshlrev_b32_e32 v3, 29, v4
	v_cmp_gt_i64_e64 s[36:37], 0, v[2:3]
	v_not_b32_e32 v3, v3
	v_ashrrev_i32_e32 v3, 31, v3
	v_and_b32_e32 v56, v56, v57
	v_xor_b32_e32 v57, s37, v3
	v_xor_b32_e32 v3, s36, v3
	v_and_b32_e32 v5, v5, v3
	v_lshlrev_b32_e32 v3, 28, v4
	v_cmp_gt_i64_e64 s[36:37], 0, v[2:3]
	v_not_b32_e32 v3, v3
	v_ashrrev_i32_e32 v3, 31, v3
	v_and_b32_e32 v56, v56, v57
	;; [unrolled: 8-line block ×5, first 2 shown]
	v_xor_b32_e32 v57, s37, v3
	v_xor_b32_e32 v3, s36, v3
	v_and_b32_e32 v5, v5, v3
	v_lshlrev_b32_e32 v3, 24, v4
	v_cmp_gt_i64_e64 s[36:37], 0, v[2:3]
	v_not_b32_e32 v2, v3
	v_ashrrev_i32_e32 v2, 31, v2
	v_xor_b32_e32 v3, s37, v2
	v_xor_b32_e32 v2, s36, v2
	; wave barrier
	ds_read_b32 v54, v58 offset:32
	v_and_b32_e32 v56, v56, v57
	v_and_b32_e32 v2, v5, v2
	;; [unrolled: 1-line block ×3, first 2 shown]
	v_mbcnt_lo_u32_b32 v4, v2, 0
	v_mbcnt_hi_u32_b32 v56, v3, v4
	v_cmp_eq_u32_e64 s[36:37], 0, v56
	v_cmp_ne_u64_e64 s[40:41], 0, v[2:3]
	s_and_b64 s[40:41], s[40:41], s[36:37]
	; wave barrier
	s_and_saveexec_b64 s[36:37], s[40:41]
	s_cbranch_execz .LBB548_57
; %bb.56:
	v_bcnt_u32_b32 v2, v2, 0
	v_bcnt_u32_b32 v2, v3, v2
	s_waitcnt lgkmcnt(0)
	v_add_u32_e32 v2, v54, v2
	ds_write_b32 v58, v2 offset:32
.LBB548_57:
	s_or_b64 exec, exec, s[36:37]
	v_lshrrev_b32_e32 v2, s56, v33
	v_and_b32_e32 v4, s69, v2
	v_and_b32_e32 v3, 1, v4
	v_add_co_u32_e64 v5, s[36:37], -1, v3
	v_addc_co_u32_e64 v59, s[36:37], 0, -1, s[36:37]
	v_cmp_ne_u32_e64 s[36:37], 0, v3
	v_lshl_add_u32 v2, v4, 3, v4
	v_xor_b32_e32 v3, s37, v59
	v_add_lshl_u32 v61, v21, v2, 2
	v_mov_b32_e32 v2, 0
	v_and_b32_e32 v59, exec_hi, v3
	v_lshlrev_b32_e32 v3, 30, v4
	v_xor_b32_e32 v5, s36, v5
	v_cmp_gt_i64_e64 s[36:37], 0, v[2:3]
	v_not_b32_e32 v3, v3
	v_ashrrev_i32_e32 v3, 31, v3
	v_and_b32_e32 v5, exec_lo, v5
	v_xor_b32_e32 v60, s37, v3
	v_xor_b32_e32 v3, s36, v3
	v_and_b32_e32 v5, v5, v3
	v_lshlrev_b32_e32 v3, 29, v4
	v_cmp_gt_i64_e64 s[36:37], 0, v[2:3]
	v_not_b32_e32 v3, v3
	v_ashrrev_i32_e32 v3, 31, v3
	v_and_b32_e32 v59, v59, v60
	v_xor_b32_e32 v60, s37, v3
	v_xor_b32_e32 v3, s36, v3
	v_and_b32_e32 v5, v5, v3
	v_lshlrev_b32_e32 v3, 28, v4
	v_cmp_gt_i64_e64 s[36:37], 0, v[2:3]
	v_not_b32_e32 v3, v3
	v_ashrrev_i32_e32 v3, 31, v3
	v_and_b32_e32 v59, v59, v60
	;; [unrolled: 8-line block ×5, first 2 shown]
	v_xor_b32_e32 v60, s37, v3
	v_xor_b32_e32 v3, s36, v3
	v_and_b32_e32 v59, v59, v60
	v_and_b32_e32 v60, v5, v3
	v_lshlrev_b32_e32 v3, 24, v4
	v_cmp_gt_i64_e64 s[36:37], 0, v[2:3]
	v_not_b32_e32 v3, v3
	v_ashrrev_i32_e32 v3, 31, v3
	v_xor_b32_e32 v4, s37, v3
	v_xor_b32_e32 v3, s36, v3
	; wave barrier
	ds_read_b32 v57, v61 offset:32
	v_and_b32_e32 v5, v59, v4
	v_and_b32_e32 v4, v60, v3
	v_mbcnt_lo_u32_b32 v3, v4, 0
	v_mbcnt_hi_u32_b32 v59, v5, v3
	v_cmp_eq_u32_e64 s[36:37], 0, v59
	v_cmp_ne_u64_e64 s[40:41], 0, v[4:5]
	s_and_b64 s[40:41], s[40:41], s[36:37]
	; wave barrier
	s_and_saveexec_b64 s[36:37], s[40:41]
	s_cbranch_execz .LBB548_59
; %bb.58:
	v_bcnt_u32_b32 v3, v4, 0
	v_bcnt_u32_b32 v3, v5, v3
	s_waitcnt lgkmcnt(0)
	v_add_u32_e32 v3, v57, v3
	ds_write_b32 v61, v3 offset:32
.LBB548_59:
	s_or_b64 exec, exec, s[36:37]
	v_lshrrev_b32_e32 v3, s56, v36
	v_and_b32_e32 v4, s69, v3
	v_lshl_add_u32 v3, v4, 3, v4
	v_add_lshl_u32 v64, v21, v3, 2
	v_and_b32_e32 v3, 1, v4
	v_add_co_u32_e64 v5, s[36:37], -1, v3
	v_addc_co_u32_e64 v62, s[36:37], 0, -1, s[36:37]
	v_cmp_ne_u32_e64 s[36:37], 0, v3
	v_xor_b32_e32 v3, s37, v62
	v_and_b32_e32 v62, exec_hi, v3
	v_lshlrev_b32_e32 v3, 30, v4
	v_xor_b32_e32 v5, s36, v5
	v_cmp_gt_i64_e64 s[36:37], 0, v[2:3]
	v_not_b32_e32 v3, v3
	v_ashrrev_i32_e32 v3, 31, v3
	v_and_b32_e32 v5, exec_lo, v5
	v_xor_b32_e32 v63, s37, v3
	v_xor_b32_e32 v3, s36, v3
	v_and_b32_e32 v5, v5, v3
	v_lshlrev_b32_e32 v3, 29, v4
	v_cmp_gt_i64_e64 s[36:37], 0, v[2:3]
	v_not_b32_e32 v3, v3
	v_ashrrev_i32_e32 v3, 31, v3
	v_and_b32_e32 v62, v62, v63
	v_xor_b32_e32 v63, s37, v3
	v_xor_b32_e32 v3, s36, v3
	v_and_b32_e32 v5, v5, v3
	v_lshlrev_b32_e32 v3, 28, v4
	v_cmp_gt_i64_e64 s[36:37], 0, v[2:3]
	v_not_b32_e32 v3, v3
	v_ashrrev_i32_e32 v3, 31, v3
	v_and_b32_e32 v62, v62, v63
	;; [unrolled: 8-line block ×5, first 2 shown]
	v_xor_b32_e32 v63, s37, v3
	v_xor_b32_e32 v3, s36, v3
	v_and_b32_e32 v5, v5, v3
	v_lshlrev_b32_e32 v3, 24, v4
	v_cmp_gt_i64_e64 s[36:37], 0, v[2:3]
	v_not_b32_e32 v2, v3
	v_ashrrev_i32_e32 v2, 31, v2
	v_xor_b32_e32 v3, s37, v2
	v_xor_b32_e32 v2, s36, v2
	; wave barrier
	ds_read_b32 v60, v64 offset:32
	v_and_b32_e32 v62, v62, v63
	v_and_b32_e32 v2, v5, v2
	;; [unrolled: 1-line block ×3, first 2 shown]
	v_mbcnt_lo_u32_b32 v4, v2, 0
	v_mbcnt_hi_u32_b32 v62, v3, v4
	v_cmp_eq_u32_e64 s[36:37], 0, v62
	v_cmp_ne_u64_e64 s[40:41], 0, v[2:3]
	s_and_b64 s[40:41], s[40:41], s[36:37]
	; wave barrier
	s_and_saveexec_b64 s[36:37], s[40:41]
	s_cbranch_execz .LBB548_61
; %bb.60:
	v_bcnt_u32_b32 v2, v2, 0
	v_bcnt_u32_b32 v2, v3, v2
	s_waitcnt lgkmcnt(0)
	v_add_u32_e32 v2, v60, v2
	ds_write_b32 v64, v2 offset:32
.LBB548_61:
	s_or_b64 exec, exec, s[36:37]
	v_lshrrev_b32_e32 v2, s56, v35
	v_and_b32_e32 v4, s69, v2
	v_and_b32_e32 v3, 1, v4
	v_add_co_u32_e64 v5, s[36:37], -1, v3
	v_addc_co_u32_e64 v65, s[36:37], 0, -1, s[36:37]
	v_cmp_ne_u32_e64 s[36:37], 0, v3
	v_lshl_add_u32 v2, v4, 3, v4
	v_xor_b32_e32 v3, s37, v65
	v_add_lshl_u32 v66, v21, v2, 2
	v_mov_b32_e32 v2, 0
	v_and_b32_e32 v65, exec_hi, v3
	v_lshlrev_b32_e32 v3, 30, v4
	v_xor_b32_e32 v5, s36, v5
	v_cmp_gt_i64_e64 s[36:37], 0, v[2:3]
	v_not_b32_e32 v3, v3
	v_ashrrev_i32_e32 v3, 31, v3
	v_and_b32_e32 v5, exec_lo, v5
	v_xor_b32_e32 v67, s37, v3
	v_xor_b32_e32 v3, s36, v3
	v_and_b32_e32 v5, v5, v3
	v_lshlrev_b32_e32 v3, 29, v4
	v_cmp_gt_i64_e64 s[36:37], 0, v[2:3]
	v_not_b32_e32 v3, v3
	v_ashrrev_i32_e32 v3, 31, v3
	v_and_b32_e32 v65, v65, v67
	v_xor_b32_e32 v67, s37, v3
	v_xor_b32_e32 v3, s36, v3
	v_and_b32_e32 v5, v5, v3
	v_lshlrev_b32_e32 v3, 28, v4
	v_cmp_gt_i64_e64 s[36:37], 0, v[2:3]
	v_not_b32_e32 v3, v3
	v_ashrrev_i32_e32 v3, 31, v3
	v_and_b32_e32 v65, v65, v67
	;; [unrolled: 8-line block ×5, first 2 shown]
	v_xor_b32_e32 v67, s37, v3
	v_xor_b32_e32 v3, s36, v3
	v_and_b32_e32 v65, v65, v67
	v_and_b32_e32 v67, v5, v3
	v_lshlrev_b32_e32 v3, 24, v4
	v_cmp_gt_i64_e64 s[36:37], 0, v[2:3]
	v_not_b32_e32 v3, v3
	v_ashrrev_i32_e32 v3, 31, v3
	v_xor_b32_e32 v4, s37, v3
	v_xor_b32_e32 v3, s36, v3
	; wave barrier
	ds_read_b32 v63, v66 offset:32
	v_and_b32_e32 v5, v65, v4
	v_and_b32_e32 v4, v67, v3
	v_mbcnt_lo_u32_b32 v3, v4, 0
	v_mbcnt_hi_u32_b32 v65, v5, v3
	v_cmp_eq_u32_e64 s[36:37], 0, v65
	v_cmp_ne_u64_e64 s[40:41], 0, v[4:5]
	s_and_b64 s[40:41], s[40:41], s[36:37]
	; wave barrier
	s_and_saveexec_b64 s[36:37], s[40:41]
	s_cbranch_execz .LBB548_63
; %bb.62:
	v_bcnt_u32_b32 v3, v4, 0
	v_bcnt_u32_b32 v3, v5, v3
	s_waitcnt lgkmcnt(0)
	v_add_u32_e32 v3, v63, v3
	ds_write_b32 v66, v3 offset:32
.LBB548_63:
	s_or_b64 exec, exec, s[36:37]
	v_lshrrev_b32_e32 v3, s56, v38
	v_and_b32_e32 v4, s69, v3
	v_lshl_add_u32 v3, v4, 3, v4
	v_add_lshl_u32 v70, v21, v3, 2
	v_and_b32_e32 v3, 1, v4
	v_add_co_u32_e64 v5, s[36:37], -1, v3
	v_addc_co_u32_e64 v68, s[36:37], 0, -1, s[36:37]
	v_cmp_ne_u32_e64 s[36:37], 0, v3
	v_xor_b32_e32 v3, s37, v68
	v_and_b32_e32 v68, exec_hi, v3
	v_lshlrev_b32_e32 v3, 30, v4
	v_xor_b32_e32 v5, s36, v5
	v_cmp_gt_i64_e64 s[36:37], 0, v[2:3]
	v_not_b32_e32 v3, v3
	v_ashrrev_i32_e32 v3, 31, v3
	v_and_b32_e32 v5, exec_lo, v5
	v_xor_b32_e32 v69, s37, v3
	v_xor_b32_e32 v3, s36, v3
	v_and_b32_e32 v5, v5, v3
	v_lshlrev_b32_e32 v3, 29, v4
	v_cmp_gt_i64_e64 s[36:37], 0, v[2:3]
	v_not_b32_e32 v3, v3
	v_ashrrev_i32_e32 v3, 31, v3
	v_and_b32_e32 v68, v68, v69
	v_xor_b32_e32 v69, s37, v3
	v_xor_b32_e32 v3, s36, v3
	v_and_b32_e32 v5, v5, v3
	v_lshlrev_b32_e32 v3, 28, v4
	v_cmp_gt_i64_e64 s[36:37], 0, v[2:3]
	v_not_b32_e32 v3, v3
	v_ashrrev_i32_e32 v3, 31, v3
	v_and_b32_e32 v68, v68, v69
	;; [unrolled: 8-line block ×5, first 2 shown]
	v_xor_b32_e32 v69, s37, v3
	v_xor_b32_e32 v3, s36, v3
	v_and_b32_e32 v5, v5, v3
	v_lshlrev_b32_e32 v3, 24, v4
	v_cmp_gt_i64_e64 s[36:37], 0, v[2:3]
	v_not_b32_e32 v2, v3
	v_ashrrev_i32_e32 v2, 31, v2
	v_xor_b32_e32 v3, s37, v2
	v_xor_b32_e32 v2, s36, v2
	; wave barrier
	ds_read_b32 v67, v70 offset:32
	v_and_b32_e32 v68, v68, v69
	v_and_b32_e32 v2, v5, v2
	;; [unrolled: 1-line block ×3, first 2 shown]
	v_mbcnt_lo_u32_b32 v4, v2, 0
	v_mbcnt_hi_u32_b32 v68, v3, v4
	v_cmp_eq_u32_e64 s[36:37], 0, v68
	v_cmp_ne_u64_e64 s[40:41], 0, v[2:3]
	s_and_b64 s[40:41], s[40:41], s[36:37]
	; wave barrier
	s_and_saveexec_b64 s[36:37], s[40:41]
	s_cbranch_execz .LBB548_65
; %bb.64:
	v_bcnt_u32_b32 v2, v2, 0
	v_bcnt_u32_b32 v2, v3, v2
	s_waitcnt lgkmcnt(0)
	v_add_u32_e32 v2, v67, v2
	ds_write_b32 v70, v2 offset:32
.LBB548_65:
	s_or_b64 exec, exec, s[36:37]
	v_lshrrev_b32_e32 v2, s56, v37
	v_and_b32_e32 v4, s69, v2
	v_and_b32_e32 v3, 1, v4
	v_add_co_u32_e64 v5, s[36:37], -1, v3
	v_addc_co_u32_e64 v71, s[36:37], 0, -1, s[36:37]
	v_cmp_ne_u32_e64 s[36:37], 0, v3
	v_lshl_add_u32 v2, v4, 3, v4
	v_xor_b32_e32 v3, s37, v71
	v_add_lshl_u32 v72, v21, v2, 2
	v_mov_b32_e32 v2, 0
	v_and_b32_e32 v71, exec_hi, v3
	v_lshlrev_b32_e32 v3, 30, v4
	v_xor_b32_e32 v5, s36, v5
	v_cmp_gt_i64_e64 s[36:37], 0, v[2:3]
	v_not_b32_e32 v3, v3
	v_ashrrev_i32_e32 v3, 31, v3
	v_and_b32_e32 v5, exec_lo, v5
	v_xor_b32_e32 v73, s37, v3
	v_xor_b32_e32 v3, s36, v3
	v_and_b32_e32 v5, v5, v3
	v_lshlrev_b32_e32 v3, 29, v4
	v_cmp_gt_i64_e64 s[36:37], 0, v[2:3]
	v_not_b32_e32 v3, v3
	v_ashrrev_i32_e32 v3, 31, v3
	v_and_b32_e32 v71, v71, v73
	v_xor_b32_e32 v73, s37, v3
	v_xor_b32_e32 v3, s36, v3
	v_and_b32_e32 v5, v5, v3
	v_lshlrev_b32_e32 v3, 28, v4
	v_cmp_gt_i64_e64 s[36:37], 0, v[2:3]
	v_not_b32_e32 v3, v3
	v_ashrrev_i32_e32 v3, 31, v3
	v_and_b32_e32 v71, v71, v73
	;; [unrolled: 8-line block ×5, first 2 shown]
	v_xor_b32_e32 v73, s37, v3
	v_xor_b32_e32 v3, s36, v3
	v_and_b32_e32 v71, v71, v73
	v_and_b32_e32 v73, v5, v3
	v_lshlrev_b32_e32 v3, 24, v4
	v_cmp_gt_i64_e64 s[36:37], 0, v[2:3]
	v_not_b32_e32 v3, v3
	v_ashrrev_i32_e32 v3, 31, v3
	v_xor_b32_e32 v4, s37, v3
	v_xor_b32_e32 v3, s36, v3
	; wave barrier
	ds_read_b32 v69, v72 offset:32
	v_and_b32_e32 v5, v71, v4
	v_and_b32_e32 v4, v73, v3
	v_mbcnt_lo_u32_b32 v3, v4, 0
	v_mbcnt_hi_u32_b32 v71, v5, v3
	v_cmp_eq_u32_e64 s[36:37], 0, v71
	v_cmp_ne_u64_e64 s[40:41], 0, v[4:5]
	s_and_b64 s[40:41], s[40:41], s[36:37]
	; wave barrier
	s_and_saveexec_b64 s[36:37], s[40:41]
	s_cbranch_execz .LBB548_67
; %bb.66:
	v_bcnt_u32_b32 v3, v4, 0
	v_bcnt_u32_b32 v3, v5, v3
	s_waitcnt lgkmcnt(0)
	v_add_u32_e32 v3, v69, v3
	ds_write_b32 v72, v3 offset:32
.LBB548_67:
	s_or_b64 exec, exec, s[36:37]
	v_lshrrev_b32_e32 v3, s56, v39
	v_and_b32_e32 v4, s69, v3
	v_lshl_add_u32 v3, v4, 3, v4
	v_add_lshl_u32 v74, v21, v3, 2
	v_and_b32_e32 v3, 1, v4
	v_add_co_u32_e64 v5, s[36:37], -1, v3
	v_addc_co_u32_e64 v73, s[36:37], 0, -1, s[36:37]
	v_cmp_ne_u32_e64 s[36:37], 0, v3
	v_xor_b32_e32 v3, s37, v73
	v_and_b32_e32 v73, exec_hi, v3
	v_lshlrev_b32_e32 v3, 30, v4
	v_xor_b32_e32 v5, s36, v5
	v_cmp_gt_i64_e64 s[36:37], 0, v[2:3]
	v_not_b32_e32 v3, v3
	v_ashrrev_i32_e32 v3, 31, v3
	v_and_b32_e32 v5, exec_lo, v5
	v_xor_b32_e32 v76, s37, v3
	v_xor_b32_e32 v3, s36, v3
	v_and_b32_e32 v5, v5, v3
	v_lshlrev_b32_e32 v3, 29, v4
	v_cmp_gt_i64_e64 s[36:37], 0, v[2:3]
	v_not_b32_e32 v3, v3
	v_ashrrev_i32_e32 v3, 31, v3
	v_and_b32_e32 v73, v73, v76
	v_xor_b32_e32 v76, s37, v3
	v_xor_b32_e32 v3, s36, v3
	v_and_b32_e32 v5, v5, v3
	v_lshlrev_b32_e32 v3, 28, v4
	v_cmp_gt_i64_e64 s[36:37], 0, v[2:3]
	v_not_b32_e32 v3, v3
	v_ashrrev_i32_e32 v3, 31, v3
	v_and_b32_e32 v73, v73, v76
	;; [unrolled: 8-line block ×5, first 2 shown]
	v_xor_b32_e32 v76, s37, v3
	v_xor_b32_e32 v3, s36, v3
	v_and_b32_e32 v5, v5, v3
	v_lshlrev_b32_e32 v3, 24, v4
	v_cmp_gt_i64_e64 s[36:37], 0, v[2:3]
	v_not_b32_e32 v2, v3
	v_ashrrev_i32_e32 v2, 31, v2
	v_xor_b32_e32 v3, s37, v2
	v_xor_b32_e32 v2, s36, v2
	; wave barrier
	ds_read_b32 v21, v74 offset:32
	v_and_b32_e32 v73, v73, v76
	v_and_b32_e32 v2, v5, v2
	;; [unrolled: 1-line block ×3, first 2 shown]
	v_mbcnt_lo_u32_b32 v4, v2, 0
	v_mbcnt_hi_u32_b32 v73, v3, v4
	v_cmp_eq_u32_e64 s[36:37], 0, v73
	v_cmp_ne_u64_e64 s[40:41], 0, v[2:3]
	v_add_u32_e32 v75, 32, v7
	s_and_b64 s[40:41], s[40:41], s[36:37]
	; wave barrier
	s_and_saveexec_b64 s[36:37], s[40:41]
	s_cbranch_execz .LBB548_69
; %bb.68:
	v_bcnt_u32_b32 v2, v2, 0
	v_bcnt_u32_b32 v2, v3, v2
	s_waitcnt lgkmcnt(0)
	v_add_u32_e32 v2, v21, v2
	ds_write_b32 v74, v2 offset:32
.LBB548_69:
	s_or_b64 exec, exec, s[36:37]
	; wave barrier
	s_waitcnt lgkmcnt(0)
	s_barrier
	ds_read2_b32 v[4:5], v7 offset0:8 offset1:9
	ds_read2_b32 v[2:3], v75 offset0:2 offset1:3
	ds_read_b32 v76, v75 offset:16
	s_waitcnt lgkmcnt(1)
	v_add3_u32 v77, v5, v4, v2
	s_waitcnt lgkmcnt(0)
	v_add3_u32 v76, v77, v3, v76
	v_and_b32_e32 v77, 15, v6
	v_cmp_ne_u32_e64 s[36:37], 0, v77
	v_mov_b32_dpp v78, v76 row_shr:1 row_mask:0xf bank_mask:0xf
	v_cndmask_b32_e64 v78, 0, v78, s[36:37]
	v_add_u32_e32 v76, v78, v76
	v_cmp_lt_u32_e64 s[36:37], 1, v77
	s_nop 0
	v_mov_b32_dpp v78, v76 row_shr:2 row_mask:0xf bank_mask:0xf
	v_cndmask_b32_e64 v78, 0, v78, s[36:37]
	v_add_u32_e32 v76, v76, v78
	v_cmp_lt_u32_e64 s[36:37], 3, v77
	s_nop 0
	;; [unrolled: 5-line block ×3, first 2 shown]
	v_mov_b32_dpp v78, v76 row_shr:8 row_mask:0xf bank_mask:0xf
	v_cndmask_b32_e64 v77, 0, v78, s[36:37]
	v_add_u32_e32 v76, v76, v77
	v_bfe_i32 v78, v6, 4, 1
	v_cmp_lt_u32_e64 s[36:37], 31, v6
	v_mov_b32_dpp v77, v76 row_bcast:15 row_mask:0xf bank_mask:0xf
	v_and_b32_e32 v77, v78, v77
	v_add_u32_e32 v76, v76, v77
	v_and_b32_e32 v78, 0x3c0, v18
	v_min_u32_e32 v78, 0x1c0, v78
	v_mov_b32_dpp v77, v76 row_bcast:31 row_mask:0xf bank_mask:0xf
	v_cndmask_b32_e64 v77, 0, v77, s[36:37]
	v_or_b32_e32 v78, 63, v78
	v_add_u32_e32 v76, v76, v77
	v_lshrrev_b32_e32 v77, 6, v18
	v_cmp_eq_u32_e64 s[36:37], v78, v18
	s_and_saveexec_b64 s[40:41], s[36:37]
	s_cbranch_execz .LBB548_71
; %bb.70:
	v_lshlrev_b32_e32 v78, 2, v77
	ds_write_b32 v78, v76
.LBB548_71:
	s_or_b64 exec, exec, s[40:41]
	v_cmp_gt_u32_e64 s[36:37], 8, v18
	s_waitcnt lgkmcnt(0)
	s_barrier
	s_and_saveexec_b64 s[60:61], s[36:37]
	s_cbranch_execz .LBB548_73
; %bb.72:
	v_lshlrev_b32_e32 v78, 2, v18
	ds_read_b32 v79, v78
	v_and_b32_e32 v80, 7, v6
	v_cmp_ne_u32_e64 s[36:37], 0, v80
	v_cmp_lt_u32_e64 s[40:41], 1, v80
	s_waitcnt lgkmcnt(0)
	v_mov_b32_dpp v81, v79 row_shr:1 row_mask:0xf bank_mask:0xf
	v_cndmask_b32_e64 v81, 0, v81, s[36:37]
	v_add_u32_e32 v79, v81, v79
	v_cmp_lt_u32_e64 s[36:37], 3, v80
	s_nop 0
	v_mov_b32_dpp v81, v79 row_shr:2 row_mask:0xf bank_mask:0xf
	v_cndmask_b32_e64 v81, 0, v81, s[40:41]
	v_add_u32_e32 v79, v79, v81
	s_nop 1
	v_mov_b32_dpp v81, v79 row_shr:4 row_mask:0xf bank_mask:0xf
	v_cndmask_b32_e64 v80, 0, v81, s[36:37]
	v_add_u32_e32 v79, v79, v80
	ds_write_b32 v78, v79
.LBB548_73:
	s_or_b64 exec, exec, s[60:61]
	v_cmp_lt_u32_e64 s[36:37], 63, v18
	v_mov_b32_e32 v78, 0
	s_waitcnt lgkmcnt(0)
	s_barrier
	s_and_saveexec_b64 s[40:41], s[36:37]
	s_cbranch_execz .LBB548_75
; %bb.74:
	v_lshl_add_u32 v77, v77, 2, -4
	ds_read_b32 v78, v77
.LBB548_75:
	s_or_b64 exec, exec, s[40:41]
	v_add_u32_e32 v77, -1, v6
	v_and_b32_e32 v79, 64, v6
	v_cmp_lt_i32_e64 s[36:37], v77, v79
	v_cndmask_b32_e64 v77, v77, v6, s[36:37]
	s_waitcnt lgkmcnt(0)
	v_add_u32_e32 v76, v78, v76
	v_lshlrev_b32_e32 v77, 2, v77
	ds_bpermute_b32 v76, v77, v76
	v_cmp_eq_u32_e64 s[36:37], 0, v6
	s_waitcnt lgkmcnt(0)
	v_cndmask_b32_e64 v6, v76, v78, s[36:37]
	v_cndmask_b32_e64 v6, v6, 0, s[0:1]
	v_add_u32_e32 v4, v6, v4
	v_add_u32_e32 v5, v4, v5
	;; [unrolled: 1-line block ×4, first 2 shown]
	ds_write2_b32 v7, v6, v4 offset0:8 offset1:9
	ds_write2_b32 v75, v5, v2 offset0:2 offset1:3
	ds_write_b32 v75, v3 offset:16
	s_waitcnt lgkmcnt(0)
	s_barrier
	ds_read_b32 v78, v12 offset:32
	ds_read_b32 v12, v13 offset:32
	;; [unrolled: 1-line block ×16, first 2 shown]
	s_movk_i32 s36, 0x100
	v_cmp_gt_u32_e64 s[36:37], s36, v18
                                        ; implicit-def: $vgpr55
                                        ; implicit-def: $vgpr58
	s_and_saveexec_b64 s[60:61], s[36:37]
	s_cbranch_execz .LBB548_79
; %bb.76:
	v_mul_u32_u24_e32 v2, 9, v18
	v_lshlrev_b32_e32 v3, 2, v2
	ds_read_b32 v55, v3 offset:32
	s_movk_i32 s40, 0xff
	v_cmp_ne_u32_e64 s[40:41], s40, v18
	v_mov_b32_e32 v2, 0x2000
	s_and_saveexec_b64 s[62:63], s[40:41]
	s_cbranch_execz .LBB548_78
; %bb.77:
	ds_read_b32 v2, v3 offset:68
.LBB548_78:
	s_or_b64 exec, exec, s[62:63]
	s_waitcnt lgkmcnt(0)
	v_sub_u32_e32 v58, v2, v55
.LBB548_79:
	s_or_b64 exec, exec, s[60:61]
	s_waitcnt lgkmcnt(0)
	s_barrier
	s_and_saveexec_b64 s[60:61], s[36:37]
	s_cbranch_execz .LBB548_89
; %bb.80:
	v_lshl_or_b32 v2, s33, 8, v18
	v_mov_b32_e32 v3, 0
	v_lshlrev_b64 v[4:5], 2, v[2:3]
	v_mov_b32_e32 v40, s43
	v_add_co_u32_e64 v4, s[40:41], s42, v4
	v_addc_co_u32_e64 v5, s[40:41], v40, v5, s[40:41]
	v_or_b32_e32 v2, 2.0, v58
	s_mov_b64 s[62:63], 0
	s_brev_b32 s70, 1
	s_mov_b32 s71, s33
	v_mov_b32_e32 v43, 0
	global_store_dword v[4:5], v2, off
                                        ; implicit-def: $sgpr40_sgpr41
	s_branch .LBB548_82
.LBB548_81:                             ;   in Loop: Header=BB548_82 Depth=1
	s_or_b64 exec, exec, s[64:65]
	v_and_b32_e32 v6, 0x3fffffff, v61
	v_add_u32_e32 v43, v6, v43
	v_cmp_eq_u32_e64 s[40:41], s70, v2
	s_and_b64 s[64:65], exec, s[40:41]
	s_or_b64 s[62:63], s[64:65], s[62:63]
	s_andn2_b64 exec, exec, s[62:63]
	s_cbranch_execz .LBB548_88
.LBB548_82:                             ; =>This Loop Header: Depth=1
                                        ;     Child Loop BB548_85 Depth 2
	s_or_b64 s[40:41], s[40:41], exec
	s_cmp_eq_u32 s71, 0
	s_cbranch_scc1 .LBB548_87
; %bb.83:                               ;   in Loop: Header=BB548_82 Depth=1
	s_add_i32 s71, s71, -1
	v_lshl_or_b32 v2, s71, 8, v18
	v_lshlrev_b64 v[6:7], 2, v[2:3]
	v_add_co_u32_e64 v6, s[40:41], s42, v6
	v_addc_co_u32_e64 v7, s[40:41], v40, v7, s[40:41]
	global_load_dword v61, v[6:7], off glc
	s_waitcnt vmcnt(0)
	v_and_b32_e32 v2, -2.0, v61
	v_cmp_eq_u32_e64 s[40:41], 0, v2
	s_and_saveexec_b64 s[64:65], s[40:41]
	s_cbranch_execz .LBB548_81
; %bb.84:                               ;   in Loop: Header=BB548_82 Depth=1
	s_mov_b64 s[66:67], 0
.LBB548_85:                             ;   Parent Loop BB548_82 Depth=1
                                        ; =>  This Inner Loop Header: Depth=2
	global_load_dword v61, v[6:7], off glc
	s_waitcnt vmcnt(0)
	v_and_b32_e32 v2, -2.0, v61
	v_cmp_ne_u32_e64 s[40:41], 0, v2
	s_or_b64 s[66:67], s[40:41], s[66:67]
	s_andn2_b64 exec, exec, s[66:67]
	s_cbranch_execnz .LBB548_85
; %bb.86:                               ;   in Loop: Header=BB548_82 Depth=1
	s_or_b64 exec, exec, s[66:67]
	s_branch .LBB548_81
.LBB548_87:                             ;   in Loop: Header=BB548_82 Depth=1
                                        ; implicit-def: $sgpr71
	s_and_b64 s[64:65], exec, s[40:41]
	s_or_b64 s[62:63], s[64:65], s[62:63]
	s_andn2_b64 exec, exec, s[62:63]
	s_cbranch_execnz .LBB548_82
.LBB548_88:
	s_or_b64 exec, exec, s[62:63]
	v_add_u32_e32 v2, v43, v58
	v_or_b32_e32 v2, 0x80000000, v2
	global_store_dword v[4:5], v2, off
	v_lshlrev_b32_e32 v2, 2, v18
	global_load_dword v3, v2, s[52:53]
	v_sub_u32_e32 v4, v43, v55
	s_waitcnt vmcnt(0)
	v_add_u32_e32 v3, v4, v3
	ds_write_b32 v2, v3
.LBB548_89:
	s_or_b64 exec, exec, s[60:61]
	v_lshlrev_b32_e32 v40, 2, v18
	v_add_u32_e32 v61, v78, v8
	s_movk_i32 s62, 0x400
	v_add_u32_e32 v43, 0x400, v40
	v_add3_u32 v64, v73, v64, v21
	v_add3_u32 v66, v71, v66, v69
	;; [unrolled: 1-line block ×15, first 2 shown]
	s_mov_b32 s63, 0
	v_mov_b32_e32 v21, 0
	s_movk_i32 s64, 0x200
	s_movk_i32 s65, 0x600
	v_mov_b32_e32 v41, v18
	s_mov_b32 s66, 0
                                        ; implicit-def: $vgpr2_vgpr3_vgpr4_vgpr5_vgpr6_vgpr7_vgpr8_vgpr9_vgpr10_vgpr11_vgpr12_vgpr13_vgpr14_vgpr15_vgpr16_vgpr17
	s_branch .LBB548_91
.LBB548_90:                             ;   in Loop: Header=BB548_91 Depth=1
	s_or_b64 exec, exec, s[60:61]
	s_addk_i32 s66, 0xf800
	s_add_i32 s63, s63, 4
	s_cmpk_eq_i32 s66, 0xe000
	v_add_u32_e32 v41, 0x800, v41
	s_barrier
	s_cbranch_scc1 .LBB548_100
.LBB548_91:                             ; =>This Inner Loop Header: Depth=1
	v_add_u32_e32 v20, s66, v61
	v_min_u32_e32 v20, 0x800, v20
	v_lshlrev_b32_e32 v20, 2, v20
	ds_write_b32 v20, v25 offset:1024
	v_add_u32_e32 v20, s66, v71
	v_min_u32_e32 v20, 0x800, v20
	v_lshlrev_b32_e32 v20, 2, v20
	ds_write_b32 v20, v26 offset:1024
	;; [unrolled: 4-line block ×15, first 2 shown]
	v_add_u32_e32 v20, s66, v64
	v_min_u32_e32 v20, 0x800, v20
	v_lshlrev_b32_e32 v20, 2, v20
	v_cmp_gt_u32_e64 s[40:41], s7, v41
	ds_write_b32 v20, v39 offset:1024
	s_waitcnt lgkmcnt(0)
	s_barrier
	s_and_saveexec_b64 s[60:61], s[40:41]
	s_cbranch_execz .LBB548_93
; %bb.92:                               ;   in Loop: Header=BB548_91 Depth=1
	ds_read_b32 v42, v40 offset:1024
	v_mov_b32_e32 v47, s47
	s_waitcnt lgkmcnt(0)
	v_lshrrev_b32_e32 v20, s56, v42
	v_and_b32_e32 v46, s69, v20
	v_lshlrev_b32_e32 v20, 2, v46
	ds_read_b32 v20, v20
	s_waitcnt lgkmcnt(0)
	v_add_u32_e32 v20, v41, v20
	v_lshlrev_b64 v[44:45], 2, v[20:21]
	v_add_co_u32_e64 v44, s[40:41], s46, v44
	v_addc_co_u32_e64 v45, s[40:41], v47, v45, s[40:41]
	global_store_dword v[44:45], v42, off
	s_set_gpr_idx_on s63, gpr_idx(DST)
	v_mov_b32_e32 v2, v46
	s_set_gpr_idx_off
.LBB548_93:                             ;   in Loop: Header=BB548_91 Depth=1
	s_or_b64 exec, exec, s[60:61]
	v_add_u32_e32 v20, 0x200, v41
	v_cmp_gt_u32_e64 s[40:41], s7, v20
	s_and_saveexec_b64 s[60:61], s[40:41]
	s_cbranch_execz .LBB548_95
; %bb.94:                               ;   in Loop: Header=BB548_91 Depth=1
	ds_read_b32 v42, v43 offset:2048
	v_mov_b32_e32 v47, s47
	s_add_i32 s67, s63, 1
	s_waitcnt lgkmcnt(0)
	v_lshrrev_b32_e32 v20, s56, v42
	v_and_b32_e32 v46, s69, v20
	v_lshlrev_b32_e32 v20, 2, v46
	ds_read_b32 v20, v20
	s_waitcnt lgkmcnt(0)
	v_add3_u32 v20, v41, v20, s64
	v_lshlrev_b64 v[44:45], 2, v[20:21]
	v_add_co_u32_e64 v44, s[40:41], s46, v44
	v_addc_co_u32_e64 v45, s[40:41], v47, v45, s[40:41]
	global_store_dword v[44:45], v42, off
	s_set_gpr_idx_on s67, gpr_idx(DST)
	v_mov_b32_e32 v2, v46
	s_set_gpr_idx_off
.LBB548_95:                             ;   in Loop: Header=BB548_91 Depth=1
	s_or_b64 exec, exec, s[60:61]
	v_add_u32_e32 v20, 0x400, v41
	v_cmp_gt_u32_e64 s[40:41], s7, v20
	s_and_saveexec_b64 s[60:61], s[40:41]
	s_cbranch_execz .LBB548_97
; %bb.96:                               ;   in Loop: Header=BB548_91 Depth=1
	ds_read_b32 v42, v43 offset:4096
	v_mov_b32_e32 v47, s47
	s_add_i32 s67, s63, 2
	s_waitcnt lgkmcnt(0)
	v_lshrrev_b32_e32 v20, s56, v42
	v_and_b32_e32 v46, s69, v20
	v_lshlrev_b32_e32 v20, 2, v46
	ds_read_b32 v20, v20
	s_waitcnt lgkmcnt(0)
	v_add3_u32 v20, v41, v20, s62
	v_lshlrev_b64 v[44:45], 2, v[20:21]
	v_add_co_u32_e64 v44, s[40:41], s46, v44
	v_addc_co_u32_e64 v45, s[40:41], v47, v45, s[40:41]
	global_store_dword v[44:45], v42, off
	s_set_gpr_idx_on s67, gpr_idx(DST)
	v_mov_b32_e32 v2, v46
	s_set_gpr_idx_off
.LBB548_97:                             ;   in Loop: Header=BB548_91 Depth=1
	s_or_b64 exec, exec, s[60:61]
	v_add_u32_e32 v20, 0x600, v41
	v_cmp_gt_u32_e64 s[40:41], s7, v20
	s_and_saveexec_b64 s[60:61], s[40:41]
	s_cbranch_execz .LBB548_90
; %bb.98:                               ;   in Loop: Header=BB548_91 Depth=1
	ds_read_b32 v42, v43 offset:6144
	v_mov_b32_e32 v47, s47
	s_add_i32 s67, s63, 3
	s_waitcnt lgkmcnt(0)
	v_lshrrev_b32_e32 v20, s56, v42
	v_and_b32_e32 v46, s69, v20
	v_lshlrev_b32_e32 v20, 2, v46
	ds_read_b32 v20, v20
	s_waitcnt lgkmcnt(0)
	v_add3_u32 v20, v41, v20, s65
	v_lshlrev_b64 v[44:45], 2, v[20:21]
	v_add_co_u32_e64 v44, s[40:41], s46, v44
	v_addc_co_u32_e64 v45, s[40:41], v47, v45, s[40:41]
	global_store_dword v[44:45], v42, off
	s_set_gpr_idx_on s67, gpr_idx(DST)
	v_mov_b32_e32 v2, v46
	s_set_gpr_idx_off
	s_branch .LBB548_90
.LBB548_99:
	s_mov_b64 s[8:9], 0
                                        ; implicit-def: $vgpr2
	s_cbranch_execnz .LBB548_126
	s_branch .LBB548_185
.LBB548_100:
	s_lshl_b64 s[40:41], s[58:59], 3
	s_add_u32 s40, s48, s40
	s_addc_u32 s41, s49, s41
	v_lshlrev_b32_e32 v20, 3, v23
	v_mov_b32_e32 v21, s41
	v_add_co_u32_e64 v20, s[40:41], s40, v20
	v_addc_co_u32_e64 v21, s[40:41], 0, v21, s[40:41]
	v_lshlrev_b32_e32 v22, 3, v22
	v_add_co_u32_e64 v42, s[40:41], v20, v22
	v_addc_co_u32_e64 v43, s[40:41], 0, v21, s[40:41]
                                        ; implicit-def: $vgpr20_vgpr21
	s_and_saveexec_b64 s[40:41], vcc
	s_cbranch_execnz .LBB548_188
; %bb.101:
	s_or_b64 exec, exec, s[40:41]
                                        ; implicit-def: $vgpr22_vgpr23
	s_and_saveexec_b64 s[40:41], s[10:11]
	s_cbranch_execnz .LBB548_189
.LBB548_102:
	s_or_b64 exec, exec, s[40:41]
                                        ; implicit-def: $vgpr24_vgpr25
	s_and_saveexec_b64 s[10:11], s[12:13]
	s_cbranch_execnz .LBB548_190
.LBB548_103:
	s_or_b64 exec, exec, s[10:11]
                                        ; implicit-def: $vgpr26_vgpr27
	s_and_saveexec_b64 s[10:11], s[16:17]
	s_cbranch_execnz .LBB548_191
.LBB548_104:
	s_or_b64 exec, exec, s[10:11]
                                        ; implicit-def: $vgpr28_vgpr29
	s_and_saveexec_b64 s[10:11], s[20:21]
	s_cbranch_execnz .LBB548_192
.LBB548_105:
	s_or_b64 exec, exec, s[10:11]
                                        ; implicit-def: $vgpr30_vgpr31
	s_and_saveexec_b64 s[10:11], s[22:23]
	s_cbranch_execnz .LBB548_193
.LBB548_106:
	s_or_b64 exec, exec, s[10:11]
                                        ; implicit-def: $vgpr32_vgpr33
	s_and_saveexec_b64 s[10:11], s[26:27]
	s_cbranch_execnz .LBB548_194
.LBB548_107:
	s_or_b64 exec, exec, s[10:11]
                                        ; implicit-def: $vgpr34_vgpr35
	s_and_saveexec_b64 s[10:11], s[30:31]
	s_cbranch_execnz .LBB548_195
.LBB548_108:
	s_or_b64 exec, exec, s[10:11]
                                        ; implicit-def: $vgpr36_vgpr37
	s_and_saveexec_b64 s[10:11], s[34:35]
	s_cbranch_execnz .LBB548_196
.LBB548_109:
	s_or_b64 exec, exec, s[10:11]
                                        ; implicit-def: $vgpr38_vgpr39
	s_and_saveexec_b64 s[10:11], s[28:29]
	s_cbranch_execnz .LBB548_197
.LBB548_110:
	s_or_b64 exec, exec, s[10:11]
                                        ; implicit-def: $vgpr40_vgpr41
	s_and_saveexec_b64 s[10:11], s[24:25]
	s_cbranch_execnz .LBB548_198
.LBB548_111:
	s_or_b64 exec, exec, s[10:11]
                                        ; implicit-def: $vgpr44_vgpr45
	s_and_saveexec_b64 s[10:11], s[18:19]
	s_cbranch_execnz .LBB548_199
.LBB548_112:
	s_or_b64 exec, exec, s[10:11]
                                        ; implicit-def: $vgpr46_vgpr47
	s_and_saveexec_b64 s[10:11], s[14:15]
	s_cbranch_execnz .LBB548_200
.LBB548_113:
	s_or_b64 exec, exec, s[10:11]
                                        ; implicit-def: $vgpr48_vgpr49
	s_and_saveexec_b64 s[10:11], s[8:9]
	s_cbranch_execnz .LBB548_201
.LBB548_114:
	s_or_b64 exec, exec, s[10:11]
                                        ; implicit-def: $vgpr50_vgpr51
	s_and_saveexec_b64 s[8:9], s[38:39]
	s_cbranch_execnz .LBB548_202
.LBB548_115:
	s_or_b64 exec, exec, s[8:9]
                                        ; implicit-def: $vgpr52_vgpr53
	s_and_saveexec_b64 s[8:9], s[2:3]
	s_cbranch_execz .LBB548_117
.LBB548_116:
	v_add_co_u32_e32 v42, vcc, 0x1000, v42
	v_addc_co_u32_e32 v43, vcc, 0, v43, vcc
	global_load_dwordx2 v[52:53], v[42:43], off offset:3584
.LBB548_117:
	s_or_b64 exec, exec, s[8:9]
	v_lshlrev_b32_e32 v72, 3, v18
	v_add_u32_e32 v73, 0x400, v72
	s_mov_b32 s8, 0
	v_mov_b32_e32 v43, 0
	s_movk_i32 s9, 0x200
	s_mov_b32 s10, 0
	v_mov_b32_e32 v74, v18
	s_waitcnt vmcnt(0)
	s_branch .LBB548_119
.LBB548_118:                            ;   in Loop: Header=BB548_119 Depth=1
	s_or_b64 exec, exec, s[2:3]
	s_addk_i32 s10, 0xfc00
	s_add_i32 s8, s8, 2
	s_cmpk_eq_i32 s10, 0xe000
	v_add_u32_e32 v74, 0x400, v74
	s_barrier
	s_cbranch_scc1 .LBB548_123
.LBB548_119:                            ; =>This Inner Loop Header: Depth=1
	v_add_u32_e32 v42, s10, v61
	v_min_u32_e32 v42, 0x400, v42
	v_lshlrev_b32_e32 v42, 3, v42
	ds_write_b64 v42, v[20:21] offset:1024
	v_add_u32_e32 v42, s10, v71
	v_min_u32_e32 v42, 0x400, v42
	v_lshlrev_b32_e32 v42, 3, v42
	ds_write_b64 v42, v[22:23] offset:1024
	;; [unrolled: 4-line block ×15, first 2 shown]
	v_add_u32_e32 v42, s10, v64
	v_min_u32_e32 v42, 0x400, v42
	v_lshlrev_b32_e32 v42, 3, v42
	v_cmp_gt_u32_e32 vcc, s7, v74
	ds_write_b64 v42, v[52:53] offset:1024
	s_waitcnt lgkmcnt(0)
	s_barrier
	s_and_saveexec_b64 s[2:3], vcc
	s_cbranch_execz .LBB548_121
; %bb.120:                              ;   in Loop: Header=BB548_119 Depth=1
	ds_read_b64 v[76:77], v72 offset:1024
	s_set_gpr_idx_on s8, gpr_idx(SRC0)
	v_mov_b32_e32 v42, v2
	s_set_gpr_idx_off
	v_lshlrev_b32_e32 v42, 2, v42
	ds_read_b32 v42, v42
	v_mov_b32_e32 v75, s51
	s_waitcnt lgkmcnt(0)
	v_add_u32_e32 v42, v74, v42
	v_lshlrev_b64 v[78:79], 3, v[42:43]
	v_add_co_u32_e32 v78, vcc, s50, v78
	v_addc_co_u32_e32 v79, vcc, v75, v79, vcc
	global_store_dwordx2 v[78:79], v[76:77], off
.LBB548_121:                            ;   in Loop: Header=BB548_119 Depth=1
	s_or_b64 exec, exec, s[2:3]
	v_add_u32_e32 v42, 0x200, v74
	v_cmp_gt_u32_e32 vcc, s7, v42
	s_and_saveexec_b64 s[2:3], vcc
	s_cbranch_execz .LBB548_118
; %bb.122:                              ;   in Loop: Header=BB548_119 Depth=1
	s_add_i32 s11, s8, 1
	ds_read_b64 v[76:77], v73 offset:4096
	s_set_gpr_idx_on s11, gpr_idx(SRC0)
	v_mov_b32_e32 v42, v2
	s_set_gpr_idx_off
	v_lshlrev_b32_e32 v42, 2, v42
	ds_read_b32 v42, v42
	v_mov_b32_e32 v75, s51
	s_waitcnt lgkmcnt(0)
	v_add3_u32 v42, v74, v42, s9
	v_lshlrev_b64 v[78:79], 3, v[42:43]
	v_add_co_u32_e32 v78, vcc, s50, v78
	v_addc_co_u32_e32 v79, vcc, v75, v79, vcc
	global_store_dwordx2 v[78:79], v[76:77], off
	s_branch .LBB548_118
.LBB548_123:
	s_add_i32 s68, s68, -1
	s_cmp_eq_u32 s68, s33
	s_cselect_b64 s[2:3], -1, 0
	s_and_b64 s[10:11], s[36:37], s[2:3]
	s_mov_b64 s[2:3], 0
	s_mov_b64 s[8:9], 0
                                        ; implicit-def: $vgpr2
	s_and_saveexec_b64 s[12:13], s[10:11]
	s_xor_b64 s[10:11], exec, s[12:13]
; %bb.124:
	s_mov_b64 s[8:9], exec
	v_add_u32_e32 v2, v55, v58
; %bb.125:
	s_or_b64 exec, exec, s[10:11]
	s_and_b64 vcc, exec, s[2:3]
	s_cbranch_vccz .LBB548_185
.LBB548_126:
	s_lshl_b32 s10, s33, 13
	s_mov_b32 s11, 0
	v_mbcnt_hi_u32_b32 v4, -1, v19
	s_lshl_b64 s[2:3], s[10:11], 2
	v_and_b32_e32 v20, 63, v4
	s_add_u32 s2, s44, s2
	v_and_b32_e32 v19, 0x3c00, v1
	v_lshlrev_b32_e32 v1, 2, v20
	v_add_co_u32_e32 v1, vcc, s2, v1
	s_load_dword s14, s[4:5], 0x58
	s_load_dword s2, s[4:5], 0x64
	s_addc_u32 s3, s45, s3
	v_mov_b32_e32 v3, s3
	s_add_u32 s3, s4, 0x58
	v_addc_co_u32_e32 v3, vcc, 0, v3, vcc
	v_lshlrev_b32_e32 v5, 2, v19
	s_addc_u32 s4, s5, 0
	s_waitcnt lgkmcnt(0)
	s_lshr_b32 s5, s2, 16
	v_add_co_u32_e32 v6, vcc, v1, v5
	s_cmp_lt_u32 s6, s14
	v_addc_co_u32_e32 v7, vcc, 0, v3, vcc
	s_cselect_b32 s2, 12, 18
	global_load_dword v21, v[6:7], off
	s_add_u32 s2, s3, s2
	v_mov_b32_e32 v2, 0
	s_addc_u32 s3, s4, 0
	global_load_ushort v1, v2, s[2:3]
	v_mul_u32_u24_e32 v5, 5, v18
	v_lshlrev_b32_e32 v5, 2, v5
	ds_write2_b32 v5, v2, v2 offset0:8 offset1:9
	ds_write2_b32 v5, v2, v2 offset0:10 offset1:11
	ds_write_b32 v5, v2 offset:48
	global_load_dword v22, v[6:7], off offset:256
	global_load_dword v23, v[6:7], off offset:512
	;; [unrolled: 1-line block ×15, first 2 shown]
	v_bfe_u32 v3, v0, 10, 10
	v_bfe_u32 v0, v0, 20, 10
	s_lshl_b32 s2, -1, s57
	v_mad_u32_u24 v0, v0, s5, v3
	s_not_b32 s15, s2
	s_waitcnt lgkmcnt(0)
	s_barrier
	s_waitcnt lgkmcnt(0)
	; wave barrier
	s_waitcnt vmcnt(16)
	v_lshrrev_b32_e32 v3, s56, v21
	v_and_b32_e32 v6, s15, v3
	v_and_b32_e32 v8, 1, v6
	v_lshlrev_b32_e32 v3, 30, v6
	s_waitcnt vmcnt(15)
	v_mad_u64_u32 v[0:1], s[2:3], v0, v1, v[18:19]
	v_add_co_u32_e32 v1, vcc, -1, v8
	v_addc_co_u32_e64 v9, s[2:3], 0, -1, vcc
	v_cmp_ne_u32_e32 vcc, 0, v8
	v_cmp_gt_i64_e64 s[2:3], 0, v[2:3]
	v_not_b32_e32 v8, v3
	v_lshlrev_b32_e32 v3, 29, v6
	v_lshl_add_u32 v7, v6, 3, v6
	v_lshrrev_b32_e32 v16, 6, v0
	v_xor_b32_e32 v0, vcc_hi, v9
	v_xor_b32_e32 v1, vcc_lo, v1
	v_ashrrev_i32_e32 v8, 31, v8
	v_cmp_gt_i64_e32 vcc, 0, v[2:3]
	v_not_b32_e32 v10, v3
	v_lshlrev_b32_e32 v3, 28, v6
	v_add_lshl_u32 v9, v16, v7, 2
	v_and_b32_e32 v0, exec_hi, v0
	v_and_b32_e32 v1, exec_lo, v1
	v_xor_b32_e32 v7, s3, v8
	v_xor_b32_e32 v8, s2, v8
	v_ashrrev_i32_e32 v10, 31, v10
	v_cmp_gt_i64_e64 s[2:3], 0, v[2:3]
	v_not_b32_e32 v3, v3
	v_and_b32_e32 v0, v0, v7
	v_and_b32_e32 v1, v1, v8
	v_xor_b32_e32 v7, vcc_hi, v10
	v_xor_b32_e32 v8, vcc_lo, v10
	v_ashrrev_i32_e32 v3, 31, v3
	v_and_b32_e32 v0, v0, v7
	v_and_b32_e32 v1, v1, v8
	v_xor_b32_e32 v7, s3, v3
	v_xor_b32_e32 v3, s2, v3
	v_and_b32_e32 v1, v1, v3
	v_lshlrev_b32_e32 v3, 27, v6
	v_cmp_gt_i64_e32 vcc, 0, v[2:3]
	v_not_b32_e32 v3, v3
	v_ashrrev_i32_e32 v3, 31, v3
	v_and_b32_e32 v0, v0, v7
	v_xor_b32_e32 v7, vcc_hi, v3
	v_xor_b32_e32 v3, vcc_lo, v3
	v_and_b32_e32 v1, v1, v3
	v_lshlrev_b32_e32 v3, 26, v6
	v_cmp_gt_i64_e32 vcc, 0, v[2:3]
	v_not_b32_e32 v3, v3
	v_ashrrev_i32_e32 v3, 31, v3
	v_and_b32_e32 v0, v0, v7
	v_xor_b32_e32 v7, vcc_hi, v3
	v_xor_b32_e32 v3, vcc_lo, v3
	;; [unrolled: 8-line block ×3, first 2 shown]
	v_and_b32_e32 v0, v0, v7
	v_and_b32_e32 v7, v1, v3
	v_lshlrev_b32_e32 v3, 24, v6
	v_not_b32_e32 v1, v3
	v_cmp_gt_i64_e32 vcc, 0, v[2:3]
	v_ashrrev_i32_e32 v1, 31, v1
	v_xor_b32_e32 v3, vcc_hi, v1
	v_xor_b32_e32 v6, vcc_lo, v1
	v_and_b32_e32 v1, v0, v3
	v_and_b32_e32 v0, v7, v6
	v_mbcnt_lo_u32_b32 v3, v0, 0
	v_mbcnt_hi_u32_b32 v6, v1, v3
	v_cmp_eq_u32_e32 vcc, 0, v6
	v_cmp_ne_u64_e64 s[2:3], 0, v[0:1]
	s_and_b64 s[4:5], s[2:3], vcc
	s_and_saveexec_b64 s[2:3], s[4:5]
	s_cbranch_execz .LBB548_128
; %bb.127:
	v_bcnt_u32_b32 v0, v0, 0
	v_bcnt_u32_b32 v0, v1, v0
	ds_write_b32 v9, v0 offset:32
.LBB548_128:
	s_or_b64 exec, exec, s[2:3]
	s_waitcnt vmcnt(14)
	v_lshrrev_b32_e32 v0, s56, v22
	v_and_b32_e32 v0, s15, v0
	v_lshl_add_u32 v1, v0, 3, v0
	v_add_lshl_u32 v11, v16, v1, 2
	v_and_b32_e32 v1, 1, v0
	v_add_co_u32_e32 v3, vcc, -1, v1
	v_addc_co_u32_e64 v8, s[2:3], 0, -1, vcc
	v_cmp_ne_u32_e32 vcc, 0, v1
	v_xor_b32_e32 v3, vcc_lo, v3
	v_xor_b32_e32 v1, vcc_hi, v8
	v_and_b32_e32 v8, exec_lo, v3
	v_lshlrev_b32_e32 v3, 30, v0
	v_cmp_gt_i64_e32 vcc, 0, v[2:3]
	v_not_b32_e32 v3, v3
	v_ashrrev_i32_e32 v3, 31, v3
	v_xor_b32_e32 v10, vcc_hi, v3
	v_xor_b32_e32 v3, vcc_lo, v3
	v_and_b32_e32 v8, v8, v3
	v_lshlrev_b32_e32 v3, 29, v0
	v_cmp_gt_i64_e32 vcc, 0, v[2:3]
	v_not_b32_e32 v3, v3
	v_and_b32_e32 v1, exec_hi, v1
	v_ashrrev_i32_e32 v3, 31, v3
	v_and_b32_e32 v1, v1, v10
	v_xor_b32_e32 v10, vcc_hi, v3
	v_xor_b32_e32 v3, vcc_lo, v3
	v_and_b32_e32 v8, v8, v3
	v_lshlrev_b32_e32 v3, 28, v0
	v_cmp_gt_i64_e32 vcc, 0, v[2:3]
	v_not_b32_e32 v3, v3
	v_ashrrev_i32_e32 v3, 31, v3
	v_and_b32_e32 v1, v1, v10
	v_xor_b32_e32 v10, vcc_hi, v3
	v_xor_b32_e32 v3, vcc_lo, v3
	v_and_b32_e32 v8, v8, v3
	v_lshlrev_b32_e32 v3, 27, v0
	v_cmp_gt_i64_e32 vcc, 0, v[2:3]
	v_not_b32_e32 v3, v3
	;; [unrolled: 8-line block ×4, first 2 shown]
	v_ashrrev_i32_e32 v3, 31, v3
	v_and_b32_e32 v1, v1, v10
	v_xor_b32_e32 v10, vcc_hi, v3
	v_xor_b32_e32 v3, vcc_lo, v3
	v_and_b32_e32 v8, v8, v3
	v_lshlrev_b32_e32 v3, 24, v0
	v_not_b32_e32 v0, v3
	v_cmp_gt_i64_e32 vcc, 0, v[2:3]
	v_ashrrev_i32_e32 v0, 31, v0
	v_xor_b32_e32 v2, vcc_hi, v0
	v_xor_b32_e32 v0, vcc_lo, v0
	; wave barrier
	ds_read_b32 v7, v11 offset:32
	v_and_b32_e32 v1, v1, v10
	v_and_b32_e32 v0, v8, v0
	;; [unrolled: 1-line block ×3, first 2 shown]
	v_mbcnt_lo_u32_b32 v2, v0, 0
	v_mbcnt_hi_u32_b32 v8, v1, v2
	v_cmp_eq_u32_e32 vcc, 0, v8
	v_cmp_ne_u64_e64 s[2:3], 0, v[0:1]
	s_and_b64 s[4:5], s[2:3], vcc
	; wave barrier
	s_and_saveexec_b64 s[2:3], s[4:5]
	s_cbranch_execz .LBB548_130
; %bb.129:
	v_bcnt_u32_b32 v0, v0, 0
	v_bcnt_u32_b32 v0, v1, v0
	s_waitcnt lgkmcnt(0)
	v_add_u32_e32 v0, v7, v0
	ds_write_b32 v11, v0 offset:32
.LBB548_130:
	s_or_b64 exec, exec, s[2:3]
	s_waitcnt vmcnt(13)
	v_lshrrev_b32_e32 v0, s56, v23
	v_and_b32_e32 v2, s15, v0
	v_and_b32_e32 v1, 1, v2
	v_add_co_u32_e32 v3, vcc, -1, v1
	v_addc_co_u32_e64 v12, s[2:3], 0, -1, vcc
	v_cmp_ne_u32_e32 vcc, 0, v1
	v_lshl_add_u32 v0, v2, 3, v2
	v_xor_b32_e32 v1, vcc_hi, v12
	v_add_lshl_u32 v14, v16, v0, 2
	v_mov_b32_e32 v0, 0
	v_and_b32_e32 v12, exec_hi, v1
	v_lshlrev_b32_e32 v1, 30, v2
	v_xor_b32_e32 v3, vcc_lo, v3
	v_cmp_gt_i64_e32 vcc, 0, v[0:1]
	v_not_b32_e32 v1, v1
	v_ashrrev_i32_e32 v1, 31, v1
	v_and_b32_e32 v3, exec_lo, v3
	v_xor_b32_e32 v13, vcc_hi, v1
	v_xor_b32_e32 v1, vcc_lo, v1
	v_and_b32_e32 v3, v3, v1
	v_lshlrev_b32_e32 v1, 29, v2
	v_cmp_gt_i64_e32 vcc, 0, v[0:1]
	v_not_b32_e32 v1, v1
	v_ashrrev_i32_e32 v1, 31, v1
	v_and_b32_e32 v12, v12, v13
	v_xor_b32_e32 v13, vcc_hi, v1
	v_xor_b32_e32 v1, vcc_lo, v1
	v_and_b32_e32 v3, v3, v1
	v_lshlrev_b32_e32 v1, 28, v2
	v_cmp_gt_i64_e32 vcc, 0, v[0:1]
	v_not_b32_e32 v1, v1
	v_ashrrev_i32_e32 v1, 31, v1
	v_and_b32_e32 v12, v12, v13
	;; [unrolled: 8-line block ×5, first 2 shown]
	v_xor_b32_e32 v13, vcc_hi, v1
	v_xor_b32_e32 v1, vcc_lo, v1
	v_and_b32_e32 v12, v12, v13
	v_and_b32_e32 v13, v3, v1
	v_lshlrev_b32_e32 v1, 24, v2
	v_cmp_gt_i64_e32 vcc, 0, v[0:1]
	v_not_b32_e32 v1, v1
	v_ashrrev_i32_e32 v1, 31, v1
	v_xor_b32_e32 v2, vcc_hi, v1
	v_xor_b32_e32 v1, vcc_lo, v1
	; wave barrier
	ds_read_b32 v10, v14 offset:32
	v_and_b32_e32 v3, v12, v2
	v_and_b32_e32 v2, v13, v1
	v_mbcnt_lo_u32_b32 v1, v2, 0
	v_mbcnt_hi_u32_b32 v12, v3, v1
	v_cmp_eq_u32_e32 vcc, 0, v12
	v_cmp_ne_u64_e64 s[2:3], 0, v[2:3]
	s_and_b64 s[4:5], s[2:3], vcc
	; wave barrier
	s_and_saveexec_b64 s[2:3], s[4:5]
	s_cbranch_execz .LBB548_132
; %bb.131:
	v_bcnt_u32_b32 v1, v2, 0
	v_bcnt_u32_b32 v1, v3, v1
	s_waitcnt lgkmcnt(0)
	v_add_u32_e32 v1, v10, v1
	ds_write_b32 v14, v1 offset:32
.LBB548_132:
	s_or_b64 exec, exec, s[2:3]
	s_waitcnt vmcnt(12)
	v_lshrrev_b32_e32 v1, s56, v24
	v_and_b32_e32 v2, s15, v1
	v_lshl_add_u32 v1, v2, 3, v2
	v_add_lshl_u32 v37, v16, v1, 2
	v_and_b32_e32 v1, 1, v2
	v_add_co_u32_e32 v3, vcc, -1, v1
	v_addc_co_u32_e64 v15, s[2:3], 0, -1, vcc
	v_cmp_ne_u32_e32 vcc, 0, v1
	v_xor_b32_e32 v1, vcc_hi, v15
	v_and_b32_e32 v15, exec_hi, v1
	v_lshlrev_b32_e32 v1, 30, v2
	v_xor_b32_e32 v3, vcc_lo, v3
	v_cmp_gt_i64_e32 vcc, 0, v[0:1]
	v_not_b32_e32 v1, v1
	v_ashrrev_i32_e32 v1, 31, v1
	v_and_b32_e32 v3, exec_lo, v3
	v_xor_b32_e32 v17, vcc_hi, v1
	v_xor_b32_e32 v1, vcc_lo, v1
	v_and_b32_e32 v3, v3, v1
	v_lshlrev_b32_e32 v1, 29, v2
	v_cmp_gt_i64_e32 vcc, 0, v[0:1]
	v_not_b32_e32 v1, v1
	v_ashrrev_i32_e32 v1, 31, v1
	v_and_b32_e32 v15, v15, v17
	v_xor_b32_e32 v17, vcc_hi, v1
	v_xor_b32_e32 v1, vcc_lo, v1
	v_and_b32_e32 v3, v3, v1
	v_lshlrev_b32_e32 v1, 28, v2
	v_cmp_gt_i64_e32 vcc, 0, v[0:1]
	v_not_b32_e32 v1, v1
	v_ashrrev_i32_e32 v1, 31, v1
	v_and_b32_e32 v15, v15, v17
	;; [unrolled: 8-line block ×5, first 2 shown]
	v_xor_b32_e32 v17, vcc_hi, v1
	v_xor_b32_e32 v1, vcc_lo, v1
	v_and_b32_e32 v3, v3, v1
	v_lshlrev_b32_e32 v1, 24, v2
	v_cmp_gt_i64_e32 vcc, 0, v[0:1]
	v_not_b32_e32 v0, v1
	v_ashrrev_i32_e32 v0, 31, v0
	v_xor_b32_e32 v1, vcc_hi, v0
	v_xor_b32_e32 v0, vcc_lo, v0
	; wave barrier
	ds_read_b32 v13, v37 offset:32
	v_and_b32_e32 v15, v15, v17
	v_and_b32_e32 v0, v3, v0
	;; [unrolled: 1-line block ×3, first 2 shown]
	v_mbcnt_lo_u32_b32 v2, v0, 0
	v_mbcnt_hi_u32_b32 v15, v1, v2
	v_cmp_eq_u32_e32 vcc, 0, v15
	v_cmp_ne_u64_e64 s[2:3], 0, v[0:1]
	s_and_b64 s[4:5], s[2:3], vcc
	; wave barrier
	s_and_saveexec_b64 s[2:3], s[4:5]
	s_cbranch_execz .LBB548_134
; %bb.133:
	v_bcnt_u32_b32 v0, v0, 0
	v_bcnt_u32_b32 v0, v1, v0
	s_waitcnt lgkmcnt(0)
	v_add_u32_e32 v0, v13, v0
	ds_write_b32 v37, v0 offset:32
.LBB548_134:
	s_or_b64 exec, exec, s[2:3]
	s_waitcnt vmcnt(11)
	v_lshrrev_b32_e32 v0, s56, v25
	v_and_b32_e32 v2, s15, v0
	v_and_b32_e32 v1, 1, v2
	v_add_co_u32_e32 v3, vcc, -1, v1
	v_addc_co_u32_e64 v38, s[2:3], 0, -1, vcc
	v_cmp_ne_u32_e32 vcc, 0, v1
	v_lshl_add_u32 v0, v2, 3, v2
	v_xor_b32_e32 v1, vcc_hi, v38
	v_add_lshl_u32 v40, v16, v0, 2
	v_mov_b32_e32 v0, 0
	v_and_b32_e32 v38, exec_hi, v1
	v_lshlrev_b32_e32 v1, 30, v2
	v_xor_b32_e32 v3, vcc_lo, v3
	v_cmp_gt_i64_e32 vcc, 0, v[0:1]
	v_not_b32_e32 v1, v1
	v_ashrrev_i32_e32 v1, 31, v1
	v_and_b32_e32 v3, exec_lo, v3
	v_xor_b32_e32 v39, vcc_hi, v1
	v_xor_b32_e32 v1, vcc_lo, v1
	v_and_b32_e32 v3, v3, v1
	v_lshlrev_b32_e32 v1, 29, v2
	v_cmp_gt_i64_e32 vcc, 0, v[0:1]
	v_not_b32_e32 v1, v1
	v_ashrrev_i32_e32 v1, 31, v1
	v_and_b32_e32 v38, v38, v39
	v_xor_b32_e32 v39, vcc_hi, v1
	v_xor_b32_e32 v1, vcc_lo, v1
	v_and_b32_e32 v3, v3, v1
	v_lshlrev_b32_e32 v1, 28, v2
	v_cmp_gt_i64_e32 vcc, 0, v[0:1]
	v_not_b32_e32 v1, v1
	v_ashrrev_i32_e32 v1, 31, v1
	v_and_b32_e32 v38, v38, v39
	;; [unrolled: 8-line block ×5, first 2 shown]
	v_xor_b32_e32 v39, vcc_hi, v1
	v_xor_b32_e32 v1, vcc_lo, v1
	v_and_b32_e32 v38, v38, v39
	v_and_b32_e32 v39, v3, v1
	v_lshlrev_b32_e32 v1, 24, v2
	v_cmp_gt_i64_e32 vcc, 0, v[0:1]
	v_not_b32_e32 v1, v1
	v_ashrrev_i32_e32 v1, 31, v1
	v_xor_b32_e32 v2, vcc_hi, v1
	v_xor_b32_e32 v1, vcc_lo, v1
	; wave barrier
	ds_read_b32 v17, v40 offset:32
	v_and_b32_e32 v3, v38, v2
	v_and_b32_e32 v2, v39, v1
	v_mbcnt_lo_u32_b32 v1, v2, 0
	v_mbcnt_hi_u32_b32 v38, v3, v1
	v_cmp_eq_u32_e32 vcc, 0, v38
	v_cmp_ne_u64_e64 s[2:3], 0, v[2:3]
	s_and_b64 s[4:5], s[2:3], vcc
	; wave barrier
	s_and_saveexec_b64 s[2:3], s[4:5]
	s_cbranch_execz .LBB548_136
; %bb.135:
	v_bcnt_u32_b32 v1, v2, 0
	v_bcnt_u32_b32 v1, v3, v1
	s_waitcnt lgkmcnt(0)
	v_add_u32_e32 v1, v17, v1
	ds_write_b32 v40, v1 offset:32
.LBB548_136:
	s_or_b64 exec, exec, s[2:3]
	s_waitcnt vmcnt(10)
	v_lshrrev_b32_e32 v1, s56, v26
	v_and_b32_e32 v2, s15, v1
	v_lshl_add_u32 v1, v2, 3, v2
	v_add_lshl_u32 v43, v16, v1, 2
	v_and_b32_e32 v1, 1, v2
	v_add_co_u32_e32 v3, vcc, -1, v1
	v_addc_co_u32_e64 v41, s[2:3], 0, -1, vcc
	v_cmp_ne_u32_e32 vcc, 0, v1
	v_xor_b32_e32 v1, vcc_hi, v41
	v_and_b32_e32 v41, exec_hi, v1
	v_lshlrev_b32_e32 v1, 30, v2
	v_xor_b32_e32 v3, vcc_lo, v3
	v_cmp_gt_i64_e32 vcc, 0, v[0:1]
	v_not_b32_e32 v1, v1
	v_ashrrev_i32_e32 v1, 31, v1
	v_and_b32_e32 v3, exec_lo, v3
	v_xor_b32_e32 v42, vcc_hi, v1
	v_xor_b32_e32 v1, vcc_lo, v1
	v_and_b32_e32 v3, v3, v1
	v_lshlrev_b32_e32 v1, 29, v2
	v_cmp_gt_i64_e32 vcc, 0, v[0:1]
	v_not_b32_e32 v1, v1
	v_ashrrev_i32_e32 v1, 31, v1
	v_and_b32_e32 v41, v41, v42
	v_xor_b32_e32 v42, vcc_hi, v1
	v_xor_b32_e32 v1, vcc_lo, v1
	v_and_b32_e32 v3, v3, v1
	v_lshlrev_b32_e32 v1, 28, v2
	v_cmp_gt_i64_e32 vcc, 0, v[0:1]
	v_not_b32_e32 v1, v1
	v_ashrrev_i32_e32 v1, 31, v1
	v_and_b32_e32 v41, v41, v42
	;; [unrolled: 8-line block ×5, first 2 shown]
	v_xor_b32_e32 v42, vcc_hi, v1
	v_xor_b32_e32 v1, vcc_lo, v1
	v_and_b32_e32 v3, v3, v1
	v_lshlrev_b32_e32 v1, 24, v2
	v_cmp_gt_i64_e32 vcc, 0, v[0:1]
	v_not_b32_e32 v0, v1
	v_ashrrev_i32_e32 v0, 31, v0
	v_xor_b32_e32 v1, vcc_hi, v0
	v_xor_b32_e32 v0, vcc_lo, v0
	; wave barrier
	ds_read_b32 v39, v43 offset:32
	v_and_b32_e32 v41, v41, v42
	v_and_b32_e32 v0, v3, v0
	;; [unrolled: 1-line block ×3, first 2 shown]
	v_mbcnt_lo_u32_b32 v2, v0, 0
	v_mbcnt_hi_u32_b32 v41, v1, v2
	v_cmp_eq_u32_e32 vcc, 0, v41
	v_cmp_ne_u64_e64 s[2:3], 0, v[0:1]
	s_and_b64 s[4:5], s[2:3], vcc
	; wave barrier
	s_and_saveexec_b64 s[2:3], s[4:5]
	s_cbranch_execz .LBB548_138
; %bb.137:
	v_bcnt_u32_b32 v0, v0, 0
	v_bcnt_u32_b32 v0, v1, v0
	s_waitcnt lgkmcnt(0)
	v_add_u32_e32 v0, v39, v0
	ds_write_b32 v43, v0 offset:32
.LBB548_138:
	s_or_b64 exec, exec, s[2:3]
	s_waitcnt vmcnt(9)
	v_lshrrev_b32_e32 v0, s56, v27
	v_and_b32_e32 v2, s15, v0
	v_and_b32_e32 v1, 1, v2
	v_add_co_u32_e32 v3, vcc, -1, v1
	v_addc_co_u32_e64 v44, s[2:3], 0, -1, vcc
	v_cmp_ne_u32_e32 vcc, 0, v1
	v_lshl_add_u32 v0, v2, 3, v2
	v_xor_b32_e32 v1, vcc_hi, v44
	v_add_lshl_u32 v46, v16, v0, 2
	v_mov_b32_e32 v0, 0
	v_and_b32_e32 v44, exec_hi, v1
	v_lshlrev_b32_e32 v1, 30, v2
	v_xor_b32_e32 v3, vcc_lo, v3
	v_cmp_gt_i64_e32 vcc, 0, v[0:1]
	v_not_b32_e32 v1, v1
	v_ashrrev_i32_e32 v1, 31, v1
	v_and_b32_e32 v3, exec_lo, v3
	v_xor_b32_e32 v45, vcc_hi, v1
	v_xor_b32_e32 v1, vcc_lo, v1
	v_and_b32_e32 v3, v3, v1
	v_lshlrev_b32_e32 v1, 29, v2
	v_cmp_gt_i64_e32 vcc, 0, v[0:1]
	v_not_b32_e32 v1, v1
	v_ashrrev_i32_e32 v1, 31, v1
	v_and_b32_e32 v44, v44, v45
	v_xor_b32_e32 v45, vcc_hi, v1
	v_xor_b32_e32 v1, vcc_lo, v1
	v_and_b32_e32 v3, v3, v1
	v_lshlrev_b32_e32 v1, 28, v2
	v_cmp_gt_i64_e32 vcc, 0, v[0:1]
	v_not_b32_e32 v1, v1
	v_ashrrev_i32_e32 v1, 31, v1
	v_and_b32_e32 v44, v44, v45
	;; [unrolled: 8-line block ×5, first 2 shown]
	v_xor_b32_e32 v45, vcc_hi, v1
	v_xor_b32_e32 v1, vcc_lo, v1
	v_and_b32_e32 v44, v44, v45
	v_and_b32_e32 v45, v3, v1
	v_lshlrev_b32_e32 v1, 24, v2
	v_cmp_gt_i64_e32 vcc, 0, v[0:1]
	v_not_b32_e32 v1, v1
	v_ashrrev_i32_e32 v1, 31, v1
	v_xor_b32_e32 v2, vcc_hi, v1
	v_xor_b32_e32 v1, vcc_lo, v1
	; wave barrier
	ds_read_b32 v42, v46 offset:32
	v_and_b32_e32 v3, v44, v2
	v_and_b32_e32 v2, v45, v1
	v_mbcnt_lo_u32_b32 v1, v2, 0
	v_mbcnt_hi_u32_b32 v44, v3, v1
	v_cmp_eq_u32_e32 vcc, 0, v44
	v_cmp_ne_u64_e64 s[2:3], 0, v[2:3]
	s_and_b64 s[4:5], s[2:3], vcc
	; wave barrier
	s_and_saveexec_b64 s[2:3], s[4:5]
	s_cbranch_execz .LBB548_140
; %bb.139:
	v_bcnt_u32_b32 v1, v2, 0
	v_bcnt_u32_b32 v1, v3, v1
	s_waitcnt lgkmcnt(0)
	v_add_u32_e32 v1, v42, v1
	ds_write_b32 v46, v1 offset:32
.LBB548_140:
	s_or_b64 exec, exec, s[2:3]
	s_waitcnt vmcnt(8)
	v_lshrrev_b32_e32 v1, s56, v28
	v_and_b32_e32 v2, s15, v1
	v_lshl_add_u32 v1, v2, 3, v2
	v_add_lshl_u32 v49, v16, v1, 2
	v_and_b32_e32 v1, 1, v2
	v_add_co_u32_e32 v3, vcc, -1, v1
	v_addc_co_u32_e64 v47, s[2:3], 0, -1, vcc
	v_cmp_ne_u32_e32 vcc, 0, v1
	v_xor_b32_e32 v1, vcc_hi, v47
	v_and_b32_e32 v47, exec_hi, v1
	v_lshlrev_b32_e32 v1, 30, v2
	v_xor_b32_e32 v3, vcc_lo, v3
	v_cmp_gt_i64_e32 vcc, 0, v[0:1]
	v_not_b32_e32 v1, v1
	v_ashrrev_i32_e32 v1, 31, v1
	v_and_b32_e32 v3, exec_lo, v3
	v_xor_b32_e32 v48, vcc_hi, v1
	v_xor_b32_e32 v1, vcc_lo, v1
	v_and_b32_e32 v3, v3, v1
	v_lshlrev_b32_e32 v1, 29, v2
	v_cmp_gt_i64_e32 vcc, 0, v[0:1]
	v_not_b32_e32 v1, v1
	v_ashrrev_i32_e32 v1, 31, v1
	v_and_b32_e32 v47, v47, v48
	v_xor_b32_e32 v48, vcc_hi, v1
	v_xor_b32_e32 v1, vcc_lo, v1
	v_and_b32_e32 v3, v3, v1
	v_lshlrev_b32_e32 v1, 28, v2
	v_cmp_gt_i64_e32 vcc, 0, v[0:1]
	v_not_b32_e32 v1, v1
	v_ashrrev_i32_e32 v1, 31, v1
	v_and_b32_e32 v47, v47, v48
	;; [unrolled: 8-line block ×5, first 2 shown]
	v_xor_b32_e32 v48, vcc_hi, v1
	v_xor_b32_e32 v1, vcc_lo, v1
	v_and_b32_e32 v3, v3, v1
	v_lshlrev_b32_e32 v1, 24, v2
	v_cmp_gt_i64_e32 vcc, 0, v[0:1]
	v_not_b32_e32 v0, v1
	v_ashrrev_i32_e32 v0, 31, v0
	v_xor_b32_e32 v1, vcc_hi, v0
	v_xor_b32_e32 v0, vcc_lo, v0
	; wave barrier
	ds_read_b32 v45, v49 offset:32
	v_and_b32_e32 v47, v47, v48
	v_and_b32_e32 v0, v3, v0
	;; [unrolled: 1-line block ×3, first 2 shown]
	v_mbcnt_lo_u32_b32 v2, v0, 0
	v_mbcnt_hi_u32_b32 v47, v1, v2
	v_cmp_eq_u32_e32 vcc, 0, v47
	v_cmp_ne_u64_e64 s[2:3], 0, v[0:1]
	s_and_b64 s[4:5], s[2:3], vcc
	; wave barrier
	s_and_saveexec_b64 s[2:3], s[4:5]
	s_cbranch_execz .LBB548_142
; %bb.141:
	v_bcnt_u32_b32 v0, v0, 0
	v_bcnt_u32_b32 v0, v1, v0
	s_waitcnt lgkmcnt(0)
	v_add_u32_e32 v0, v45, v0
	ds_write_b32 v49, v0 offset:32
.LBB548_142:
	s_or_b64 exec, exec, s[2:3]
	s_waitcnt vmcnt(7)
	v_lshrrev_b32_e32 v0, s56, v29
	v_and_b32_e32 v2, s15, v0
	v_and_b32_e32 v1, 1, v2
	v_add_co_u32_e32 v3, vcc, -1, v1
	v_addc_co_u32_e64 v50, s[2:3], 0, -1, vcc
	v_cmp_ne_u32_e32 vcc, 0, v1
	v_lshl_add_u32 v0, v2, 3, v2
	v_xor_b32_e32 v1, vcc_hi, v50
	v_add_lshl_u32 v52, v16, v0, 2
	v_mov_b32_e32 v0, 0
	v_and_b32_e32 v50, exec_hi, v1
	v_lshlrev_b32_e32 v1, 30, v2
	v_xor_b32_e32 v3, vcc_lo, v3
	v_cmp_gt_i64_e32 vcc, 0, v[0:1]
	v_not_b32_e32 v1, v1
	v_ashrrev_i32_e32 v1, 31, v1
	v_and_b32_e32 v3, exec_lo, v3
	v_xor_b32_e32 v51, vcc_hi, v1
	v_xor_b32_e32 v1, vcc_lo, v1
	v_and_b32_e32 v3, v3, v1
	v_lshlrev_b32_e32 v1, 29, v2
	v_cmp_gt_i64_e32 vcc, 0, v[0:1]
	v_not_b32_e32 v1, v1
	v_ashrrev_i32_e32 v1, 31, v1
	v_and_b32_e32 v50, v50, v51
	v_xor_b32_e32 v51, vcc_hi, v1
	v_xor_b32_e32 v1, vcc_lo, v1
	v_and_b32_e32 v3, v3, v1
	v_lshlrev_b32_e32 v1, 28, v2
	v_cmp_gt_i64_e32 vcc, 0, v[0:1]
	v_not_b32_e32 v1, v1
	v_ashrrev_i32_e32 v1, 31, v1
	v_and_b32_e32 v50, v50, v51
	;; [unrolled: 8-line block ×5, first 2 shown]
	v_xor_b32_e32 v51, vcc_hi, v1
	v_xor_b32_e32 v1, vcc_lo, v1
	v_and_b32_e32 v50, v50, v51
	v_and_b32_e32 v51, v3, v1
	v_lshlrev_b32_e32 v1, 24, v2
	v_cmp_gt_i64_e32 vcc, 0, v[0:1]
	v_not_b32_e32 v1, v1
	v_ashrrev_i32_e32 v1, 31, v1
	v_xor_b32_e32 v2, vcc_hi, v1
	v_xor_b32_e32 v1, vcc_lo, v1
	; wave barrier
	ds_read_b32 v48, v52 offset:32
	v_and_b32_e32 v3, v50, v2
	v_and_b32_e32 v2, v51, v1
	v_mbcnt_lo_u32_b32 v1, v2, 0
	v_mbcnt_hi_u32_b32 v50, v3, v1
	v_cmp_eq_u32_e32 vcc, 0, v50
	v_cmp_ne_u64_e64 s[2:3], 0, v[2:3]
	s_and_b64 s[4:5], s[2:3], vcc
	; wave barrier
	s_and_saveexec_b64 s[2:3], s[4:5]
	s_cbranch_execz .LBB548_144
; %bb.143:
	v_bcnt_u32_b32 v1, v2, 0
	v_bcnt_u32_b32 v1, v3, v1
	s_waitcnt lgkmcnt(0)
	v_add_u32_e32 v1, v48, v1
	ds_write_b32 v52, v1 offset:32
.LBB548_144:
	s_or_b64 exec, exec, s[2:3]
	s_waitcnt vmcnt(6)
	v_lshrrev_b32_e32 v1, s56, v30
	v_and_b32_e32 v2, s15, v1
	v_lshl_add_u32 v1, v2, 3, v2
	v_add_lshl_u32 v55, v16, v1, 2
	v_and_b32_e32 v1, 1, v2
	v_add_co_u32_e32 v3, vcc, -1, v1
	v_addc_co_u32_e64 v53, s[2:3], 0, -1, vcc
	v_cmp_ne_u32_e32 vcc, 0, v1
	v_xor_b32_e32 v1, vcc_hi, v53
	v_and_b32_e32 v53, exec_hi, v1
	v_lshlrev_b32_e32 v1, 30, v2
	v_xor_b32_e32 v3, vcc_lo, v3
	v_cmp_gt_i64_e32 vcc, 0, v[0:1]
	v_not_b32_e32 v1, v1
	v_ashrrev_i32_e32 v1, 31, v1
	v_and_b32_e32 v3, exec_lo, v3
	v_xor_b32_e32 v54, vcc_hi, v1
	v_xor_b32_e32 v1, vcc_lo, v1
	v_and_b32_e32 v3, v3, v1
	v_lshlrev_b32_e32 v1, 29, v2
	v_cmp_gt_i64_e32 vcc, 0, v[0:1]
	v_not_b32_e32 v1, v1
	v_ashrrev_i32_e32 v1, 31, v1
	v_and_b32_e32 v53, v53, v54
	v_xor_b32_e32 v54, vcc_hi, v1
	v_xor_b32_e32 v1, vcc_lo, v1
	v_and_b32_e32 v3, v3, v1
	v_lshlrev_b32_e32 v1, 28, v2
	v_cmp_gt_i64_e32 vcc, 0, v[0:1]
	v_not_b32_e32 v1, v1
	v_ashrrev_i32_e32 v1, 31, v1
	v_and_b32_e32 v53, v53, v54
	;; [unrolled: 8-line block ×5, first 2 shown]
	v_xor_b32_e32 v54, vcc_hi, v1
	v_xor_b32_e32 v1, vcc_lo, v1
	v_and_b32_e32 v3, v3, v1
	v_lshlrev_b32_e32 v1, 24, v2
	v_cmp_gt_i64_e32 vcc, 0, v[0:1]
	v_not_b32_e32 v0, v1
	v_ashrrev_i32_e32 v0, 31, v0
	v_xor_b32_e32 v1, vcc_hi, v0
	v_xor_b32_e32 v0, vcc_lo, v0
	; wave barrier
	ds_read_b32 v51, v55 offset:32
	v_and_b32_e32 v53, v53, v54
	v_and_b32_e32 v0, v3, v0
	;; [unrolled: 1-line block ×3, first 2 shown]
	v_mbcnt_lo_u32_b32 v2, v0, 0
	v_mbcnt_hi_u32_b32 v53, v1, v2
	v_cmp_eq_u32_e32 vcc, 0, v53
	v_cmp_ne_u64_e64 s[2:3], 0, v[0:1]
	s_and_b64 s[4:5], s[2:3], vcc
	; wave barrier
	s_and_saveexec_b64 s[2:3], s[4:5]
	s_cbranch_execz .LBB548_146
; %bb.145:
	v_bcnt_u32_b32 v0, v0, 0
	v_bcnt_u32_b32 v0, v1, v0
	s_waitcnt lgkmcnt(0)
	v_add_u32_e32 v0, v51, v0
	ds_write_b32 v55, v0 offset:32
.LBB548_146:
	s_or_b64 exec, exec, s[2:3]
	s_waitcnt vmcnt(5)
	v_lshrrev_b32_e32 v0, s56, v31
	v_and_b32_e32 v2, s15, v0
	v_and_b32_e32 v1, 1, v2
	v_add_co_u32_e32 v3, vcc, -1, v1
	v_addc_co_u32_e64 v56, s[2:3], 0, -1, vcc
	v_cmp_ne_u32_e32 vcc, 0, v1
	v_lshl_add_u32 v0, v2, 3, v2
	v_xor_b32_e32 v1, vcc_hi, v56
	v_add_lshl_u32 v58, v16, v0, 2
	v_mov_b32_e32 v0, 0
	v_and_b32_e32 v56, exec_hi, v1
	v_lshlrev_b32_e32 v1, 30, v2
	v_xor_b32_e32 v3, vcc_lo, v3
	v_cmp_gt_i64_e32 vcc, 0, v[0:1]
	v_not_b32_e32 v1, v1
	v_ashrrev_i32_e32 v1, 31, v1
	v_and_b32_e32 v3, exec_lo, v3
	v_xor_b32_e32 v57, vcc_hi, v1
	v_xor_b32_e32 v1, vcc_lo, v1
	v_and_b32_e32 v3, v3, v1
	v_lshlrev_b32_e32 v1, 29, v2
	v_cmp_gt_i64_e32 vcc, 0, v[0:1]
	v_not_b32_e32 v1, v1
	v_ashrrev_i32_e32 v1, 31, v1
	v_and_b32_e32 v56, v56, v57
	v_xor_b32_e32 v57, vcc_hi, v1
	v_xor_b32_e32 v1, vcc_lo, v1
	v_and_b32_e32 v3, v3, v1
	v_lshlrev_b32_e32 v1, 28, v2
	v_cmp_gt_i64_e32 vcc, 0, v[0:1]
	v_not_b32_e32 v1, v1
	v_ashrrev_i32_e32 v1, 31, v1
	v_and_b32_e32 v56, v56, v57
	;; [unrolled: 8-line block ×5, first 2 shown]
	v_xor_b32_e32 v57, vcc_hi, v1
	v_xor_b32_e32 v1, vcc_lo, v1
	v_and_b32_e32 v56, v56, v57
	v_and_b32_e32 v57, v3, v1
	v_lshlrev_b32_e32 v1, 24, v2
	v_cmp_gt_i64_e32 vcc, 0, v[0:1]
	v_not_b32_e32 v1, v1
	v_ashrrev_i32_e32 v1, 31, v1
	v_xor_b32_e32 v2, vcc_hi, v1
	v_xor_b32_e32 v1, vcc_lo, v1
	; wave barrier
	ds_read_b32 v54, v58 offset:32
	v_and_b32_e32 v3, v56, v2
	v_and_b32_e32 v2, v57, v1
	v_mbcnt_lo_u32_b32 v1, v2, 0
	v_mbcnt_hi_u32_b32 v56, v3, v1
	v_cmp_eq_u32_e32 vcc, 0, v56
	v_cmp_ne_u64_e64 s[2:3], 0, v[2:3]
	s_and_b64 s[4:5], s[2:3], vcc
	; wave barrier
	s_and_saveexec_b64 s[2:3], s[4:5]
	s_cbranch_execz .LBB548_148
; %bb.147:
	v_bcnt_u32_b32 v1, v2, 0
	v_bcnt_u32_b32 v1, v3, v1
	s_waitcnt lgkmcnt(0)
	v_add_u32_e32 v1, v54, v1
	ds_write_b32 v58, v1 offset:32
.LBB548_148:
	s_or_b64 exec, exec, s[2:3]
	s_waitcnt vmcnt(4)
	v_lshrrev_b32_e32 v1, s56, v32
	v_and_b32_e32 v2, s15, v1
	v_lshl_add_u32 v1, v2, 3, v2
	v_add_lshl_u32 v61, v16, v1, 2
	v_and_b32_e32 v1, 1, v2
	v_add_co_u32_e32 v3, vcc, -1, v1
	v_addc_co_u32_e64 v59, s[2:3], 0, -1, vcc
	v_cmp_ne_u32_e32 vcc, 0, v1
	v_xor_b32_e32 v1, vcc_hi, v59
	v_and_b32_e32 v59, exec_hi, v1
	v_lshlrev_b32_e32 v1, 30, v2
	v_xor_b32_e32 v3, vcc_lo, v3
	v_cmp_gt_i64_e32 vcc, 0, v[0:1]
	v_not_b32_e32 v1, v1
	v_ashrrev_i32_e32 v1, 31, v1
	v_and_b32_e32 v3, exec_lo, v3
	v_xor_b32_e32 v60, vcc_hi, v1
	v_xor_b32_e32 v1, vcc_lo, v1
	v_and_b32_e32 v3, v3, v1
	v_lshlrev_b32_e32 v1, 29, v2
	v_cmp_gt_i64_e32 vcc, 0, v[0:1]
	v_not_b32_e32 v1, v1
	v_ashrrev_i32_e32 v1, 31, v1
	v_and_b32_e32 v59, v59, v60
	v_xor_b32_e32 v60, vcc_hi, v1
	v_xor_b32_e32 v1, vcc_lo, v1
	v_and_b32_e32 v3, v3, v1
	v_lshlrev_b32_e32 v1, 28, v2
	v_cmp_gt_i64_e32 vcc, 0, v[0:1]
	v_not_b32_e32 v1, v1
	v_ashrrev_i32_e32 v1, 31, v1
	v_and_b32_e32 v59, v59, v60
	;; [unrolled: 8-line block ×5, first 2 shown]
	v_xor_b32_e32 v60, vcc_hi, v1
	v_xor_b32_e32 v1, vcc_lo, v1
	v_and_b32_e32 v3, v3, v1
	v_lshlrev_b32_e32 v1, 24, v2
	v_cmp_gt_i64_e32 vcc, 0, v[0:1]
	v_not_b32_e32 v0, v1
	v_ashrrev_i32_e32 v0, 31, v0
	v_xor_b32_e32 v1, vcc_hi, v0
	v_xor_b32_e32 v0, vcc_lo, v0
	; wave barrier
	ds_read_b32 v57, v61 offset:32
	v_and_b32_e32 v59, v59, v60
	v_and_b32_e32 v0, v3, v0
	;; [unrolled: 1-line block ×3, first 2 shown]
	v_mbcnt_lo_u32_b32 v2, v0, 0
	v_mbcnt_hi_u32_b32 v59, v1, v2
	v_cmp_eq_u32_e32 vcc, 0, v59
	v_cmp_ne_u64_e64 s[2:3], 0, v[0:1]
	s_and_b64 s[4:5], s[2:3], vcc
	; wave barrier
	s_and_saveexec_b64 s[2:3], s[4:5]
	s_cbranch_execz .LBB548_150
; %bb.149:
	v_bcnt_u32_b32 v0, v0, 0
	v_bcnt_u32_b32 v0, v1, v0
	s_waitcnt lgkmcnt(0)
	v_add_u32_e32 v0, v57, v0
	ds_write_b32 v61, v0 offset:32
.LBB548_150:
	s_or_b64 exec, exec, s[2:3]
	s_waitcnt vmcnt(3)
	v_lshrrev_b32_e32 v0, s56, v33
	v_and_b32_e32 v2, s15, v0
	v_and_b32_e32 v1, 1, v2
	v_add_co_u32_e32 v3, vcc, -1, v1
	v_addc_co_u32_e64 v62, s[2:3], 0, -1, vcc
	v_cmp_ne_u32_e32 vcc, 0, v1
	v_lshl_add_u32 v0, v2, 3, v2
	v_xor_b32_e32 v1, vcc_hi, v62
	v_add_lshl_u32 v63, v16, v0, 2
	v_mov_b32_e32 v0, 0
	v_and_b32_e32 v62, exec_hi, v1
	v_lshlrev_b32_e32 v1, 30, v2
	v_xor_b32_e32 v3, vcc_lo, v3
	v_cmp_gt_i64_e32 vcc, 0, v[0:1]
	v_not_b32_e32 v1, v1
	v_ashrrev_i32_e32 v1, 31, v1
	v_and_b32_e32 v3, exec_lo, v3
	v_xor_b32_e32 v64, vcc_hi, v1
	v_xor_b32_e32 v1, vcc_lo, v1
	v_and_b32_e32 v3, v3, v1
	v_lshlrev_b32_e32 v1, 29, v2
	v_cmp_gt_i64_e32 vcc, 0, v[0:1]
	v_not_b32_e32 v1, v1
	v_ashrrev_i32_e32 v1, 31, v1
	v_and_b32_e32 v62, v62, v64
	v_xor_b32_e32 v64, vcc_hi, v1
	v_xor_b32_e32 v1, vcc_lo, v1
	v_and_b32_e32 v3, v3, v1
	v_lshlrev_b32_e32 v1, 28, v2
	v_cmp_gt_i64_e32 vcc, 0, v[0:1]
	v_not_b32_e32 v1, v1
	v_ashrrev_i32_e32 v1, 31, v1
	v_and_b32_e32 v62, v62, v64
	;; [unrolled: 8-line block ×5, first 2 shown]
	v_xor_b32_e32 v64, vcc_hi, v1
	v_xor_b32_e32 v1, vcc_lo, v1
	v_and_b32_e32 v62, v62, v64
	v_and_b32_e32 v64, v3, v1
	v_lshlrev_b32_e32 v1, 24, v2
	v_cmp_gt_i64_e32 vcc, 0, v[0:1]
	v_not_b32_e32 v1, v1
	v_ashrrev_i32_e32 v1, 31, v1
	v_xor_b32_e32 v2, vcc_hi, v1
	v_xor_b32_e32 v1, vcc_lo, v1
	; wave barrier
	ds_read_b32 v60, v63 offset:32
	v_and_b32_e32 v3, v62, v2
	v_and_b32_e32 v2, v64, v1
	v_mbcnt_lo_u32_b32 v1, v2, 0
	v_mbcnt_hi_u32_b32 v62, v3, v1
	v_cmp_eq_u32_e32 vcc, 0, v62
	v_cmp_ne_u64_e64 s[2:3], 0, v[2:3]
	s_and_b64 s[4:5], s[2:3], vcc
	; wave barrier
	s_and_saveexec_b64 s[2:3], s[4:5]
	s_cbranch_execz .LBB548_152
; %bb.151:
	v_bcnt_u32_b32 v1, v2, 0
	v_bcnt_u32_b32 v1, v3, v1
	s_waitcnt lgkmcnt(0)
	v_add_u32_e32 v1, v60, v1
	ds_write_b32 v63, v1 offset:32
.LBB548_152:
	s_or_b64 exec, exec, s[2:3]
	s_waitcnt vmcnt(2)
	v_lshrrev_b32_e32 v1, s56, v34
	v_and_b32_e32 v2, s15, v1
	v_lshl_add_u32 v1, v2, 3, v2
	v_add_lshl_u32 v67, v16, v1, 2
	v_and_b32_e32 v1, 1, v2
	v_add_co_u32_e32 v3, vcc, -1, v1
	v_addc_co_u32_e64 v65, s[2:3], 0, -1, vcc
	v_cmp_ne_u32_e32 vcc, 0, v1
	v_xor_b32_e32 v1, vcc_hi, v65
	v_and_b32_e32 v65, exec_hi, v1
	v_lshlrev_b32_e32 v1, 30, v2
	v_xor_b32_e32 v3, vcc_lo, v3
	v_cmp_gt_i64_e32 vcc, 0, v[0:1]
	v_not_b32_e32 v1, v1
	v_ashrrev_i32_e32 v1, 31, v1
	v_and_b32_e32 v3, exec_lo, v3
	v_xor_b32_e32 v66, vcc_hi, v1
	v_xor_b32_e32 v1, vcc_lo, v1
	v_and_b32_e32 v3, v3, v1
	v_lshlrev_b32_e32 v1, 29, v2
	v_cmp_gt_i64_e32 vcc, 0, v[0:1]
	v_not_b32_e32 v1, v1
	v_ashrrev_i32_e32 v1, 31, v1
	v_and_b32_e32 v65, v65, v66
	v_xor_b32_e32 v66, vcc_hi, v1
	v_xor_b32_e32 v1, vcc_lo, v1
	v_and_b32_e32 v3, v3, v1
	v_lshlrev_b32_e32 v1, 28, v2
	v_cmp_gt_i64_e32 vcc, 0, v[0:1]
	v_not_b32_e32 v1, v1
	v_ashrrev_i32_e32 v1, 31, v1
	v_and_b32_e32 v65, v65, v66
	;; [unrolled: 8-line block ×5, first 2 shown]
	v_xor_b32_e32 v66, vcc_hi, v1
	v_xor_b32_e32 v1, vcc_lo, v1
	v_and_b32_e32 v3, v3, v1
	v_lshlrev_b32_e32 v1, 24, v2
	v_cmp_gt_i64_e32 vcc, 0, v[0:1]
	v_not_b32_e32 v0, v1
	v_ashrrev_i32_e32 v0, 31, v0
	v_xor_b32_e32 v1, vcc_hi, v0
	v_xor_b32_e32 v0, vcc_lo, v0
	; wave barrier
	ds_read_b32 v64, v67 offset:32
	v_and_b32_e32 v65, v65, v66
	v_and_b32_e32 v0, v3, v0
	;; [unrolled: 1-line block ×3, first 2 shown]
	v_mbcnt_lo_u32_b32 v2, v0, 0
	v_mbcnt_hi_u32_b32 v65, v1, v2
	v_cmp_eq_u32_e32 vcc, 0, v65
	v_cmp_ne_u64_e64 s[2:3], 0, v[0:1]
	s_and_b64 s[4:5], s[2:3], vcc
	; wave barrier
	s_and_saveexec_b64 s[2:3], s[4:5]
	s_cbranch_execz .LBB548_154
; %bb.153:
	v_bcnt_u32_b32 v0, v0, 0
	v_bcnt_u32_b32 v0, v1, v0
	s_waitcnt lgkmcnt(0)
	v_add_u32_e32 v0, v64, v0
	ds_write_b32 v67, v0 offset:32
.LBB548_154:
	s_or_b64 exec, exec, s[2:3]
	s_waitcnt vmcnt(1)
	v_lshrrev_b32_e32 v0, s56, v35
	v_and_b32_e32 v2, s15, v0
	v_and_b32_e32 v1, 1, v2
	v_add_co_u32_e32 v3, vcc, -1, v1
	v_addc_co_u32_e64 v68, s[2:3], 0, -1, vcc
	v_cmp_ne_u32_e32 vcc, 0, v1
	v_lshl_add_u32 v0, v2, 3, v2
	v_xor_b32_e32 v1, vcc_hi, v68
	v_add_lshl_u32 v69, v16, v0, 2
	v_mov_b32_e32 v0, 0
	v_and_b32_e32 v68, exec_hi, v1
	v_lshlrev_b32_e32 v1, 30, v2
	v_xor_b32_e32 v3, vcc_lo, v3
	v_cmp_gt_i64_e32 vcc, 0, v[0:1]
	v_not_b32_e32 v1, v1
	v_ashrrev_i32_e32 v1, 31, v1
	v_and_b32_e32 v3, exec_lo, v3
	v_xor_b32_e32 v70, vcc_hi, v1
	v_xor_b32_e32 v1, vcc_lo, v1
	v_and_b32_e32 v3, v3, v1
	v_lshlrev_b32_e32 v1, 29, v2
	v_cmp_gt_i64_e32 vcc, 0, v[0:1]
	v_not_b32_e32 v1, v1
	v_ashrrev_i32_e32 v1, 31, v1
	v_and_b32_e32 v68, v68, v70
	v_xor_b32_e32 v70, vcc_hi, v1
	v_xor_b32_e32 v1, vcc_lo, v1
	v_and_b32_e32 v3, v3, v1
	v_lshlrev_b32_e32 v1, 28, v2
	v_cmp_gt_i64_e32 vcc, 0, v[0:1]
	v_not_b32_e32 v1, v1
	v_ashrrev_i32_e32 v1, 31, v1
	v_and_b32_e32 v68, v68, v70
	;; [unrolled: 8-line block ×5, first 2 shown]
	v_xor_b32_e32 v70, vcc_hi, v1
	v_xor_b32_e32 v1, vcc_lo, v1
	v_and_b32_e32 v68, v68, v70
	v_and_b32_e32 v70, v3, v1
	v_lshlrev_b32_e32 v1, 24, v2
	v_cmp_gt_i64_e32 vcc, 0, v[0:1]
	v_not_b32_e32 v1, v1
	v_ashrrev_i32_e32 v1, 31, v1
	v_xor_b32_e32 v2, vcc_hi, v1
	v_xor_b32_e32 v1, vcc_lo, v1
	; wave barrier
	ds_read_b32 v66, v69 offset:32
	v_and_b32_e32 v3, v68, v2
	v_and_b32_e32 v2, v70, v1
	v_mbcnt_lo_u32_b32 v1, v2, 0
	v_mbcnt_hi_u32_b32 v68, v3, v1
	v_cmp_eq_u32_e32 vcc, 0, v68
	v_cmp_ne_u64_e64 s[2:3], 0, v[2:3]
	s_and_b64 s[4:5], s[2:3], vcc
	; wave barrier
	s_and_saveexec_b64 s[2:3], s[4:5]
	s_cbranch_execz .LBB548_156
; %bb.155:
	v_bcnt_u32_b32 v1, v2, 0
	v_bcnt_u32_b32 v1, v3, v1
	s_waitcnt lgkmcnt(0)
	v_add_u32_e32 v1, v66, v1
	ds_write_b32 v69, v1 offset:32
.LBB548_156:
	s_or_b64 exec, exec, s[2:3]
	s_waitcnt vmcnt(0)
	v_lshrrev_b32_e32 v1, s56, v36
	v_and_b32_e32 v2, s15, v1
	v_lshl_add_u32 v1, v2, 3, v2
	v_add_lshl_u32 v71, v16, v1, 2
	v_and_b32_e32 v1, 1, v2
	v_add_co_u32_e32 v3, vcc, -1, v1
	v_addc_co_u32_e64 v70, s[2:3], 0, -1, vcc
	v_cmp_ne_u32_e32 vcc, 0, v1
	v_xor_b32_e32 v1, vcc_hi, v70
	v_and_b32_e32 v70, exec_hi, v1
	v_lshlrev_b32_e32 v1, 30, v2
	v_xor_b32_e32 v3, vcc_lo, v3
	v_cmp_gt_i64_e32 vcc, 0, v[0:1]
	v_not_b32_e32 v1, v1
	v_ashrrev_i32_e32 v1, 31, v1
	v_and_b32_e32 v3, exec_lo, v3
	v_xor_b32_e32 v73, vcc_hi, v1
	v_xor_b32_e32 v1, vcc_lo, v1
	v_and_b32_e32 v3, v3, v1
	v_lshlrev_b32_e32 v1, 29, v2
	v_cmp_gt_i64_e32 vcc, 0, v[0:1]
	v_not_b32_e32 v1, v1
	v_ashrrev_i32_e32 v1, 31, v1
	v_and_b32_e32 v70, v70, v73
	v_xor_b32_e32 v73, vcc_hi, v1
	v_xor_b32_e32 v1, vcc_lo, v1
	v_and_b32_e32 v3, v3, v1
	v_lshlrev_b32_e32 v1, 28, v2
	v_cmp_gt_i64_e32 vcc, 0, v[0:1]
	v_not_b32_e32 v1, v1
	v_ashrrev_i32_e32 v1, 31, v1
	v_and_b32_e32 v70, v70, v73
	;; [unrolled: 8-line block ×5, first 2 shown]
	v_xor_b32_e32 v73, vcc_hi, v1
	v_xor_b32_e32 v1, vcc_lo, v1
	v_and_b32_e32 v3, v3, v1
	v_lshlrev_b32_e32 v1, 24, v2
	v_cmp_gt_i64_e32 vcc, 0, v[0:1]
	v_not_b32_e32 v0, v1
	v_ashrrev_i32_e32 v0, 31, v0
	v_xor_b32_e32 v1, vcc_hi, v0
	v_xor_b32_e32 v0, vcc_lo, v0
	; wave barrier
	ds_read_b32 v16, v71 offset:32
	v_and_b32_e32 v70, v70, v73
	v_and_b32_e32 v0, v3, v0
	;; [unrolled: 1-line block ×3, first 2 shown]
	v_mbcnt_lo_u32_b32 v2, v0, 0
	v_mbcnt_hi_u32_b32 v70, v1, v2
	v_cmp_eq_u32_e32 vcc, 0, v70
	v_cmp_ne_u64_e64 s[2:3], 0, v[0:1]
	v_add_u32_e32 v72, 32, v5
	s_and_b64 s[4:5], s[2:3], vcc
	; wave barrier
	s_and_saveexec_b64 s[2:3], s[4:5]
	s_cbranch_execz .LBB548_158
; %bb.157:
	v_bcnt_u32_b32 v0, v0, 0
	v_bcnt_u32_b32 v0, v1, v0
	s_waitcnt lgkmcnt(0)
	v_add_u32_e32 v0, v16, v0
	ds_write_b32 v71, v0 offset:32
.LBB548_158:
	s_or_b64 exec, exec, s[2:3]
	; wave barrier
	s_waitcnt lgkmcnt(0)
	s_barrier
	ds_read2_b32 v[2:3], v5 offset0:8 offset1:9
	ds_read2_b32 v[0:1], v72 offset0:2 offset1:3
	ds_read_b32 v73, v72 offset:16
	s_waitcnt lgkmcnt(1)
	v_add3_u32 v74, v3, v2, v0
	s_waitcnt lgkmcnt(0)
	v_add3_u32 v73, v74, v1, v73
	v_and_b32_e32 v74, 15, v4
	v_cmp_ne_u32_e32 vcc, 0, v74
	v_mov_b32_dpp v75, v73 row_shr:1 row_mask:0xf bank_mask:0xf
	v_cndmask_b32_e32 v75, 0, v75, vcc
	v_add_u32_e32 v73, v75, v73
	v_cmp_lt_u32_e32 vcc, 1, v74
	s_nop 0
	v_mov_b32_dpp v75, v73 row_shr:2 row_mask:0xf bank_mask:0xf
	v_cndmask_b32_e32 v75, 0, v75, vcc
	v_add_u32_e32 v73, v73, v75
	v_cmp_lt_u32_e32 vcc, 3, v74
	s_nop 0
	;; [unrolled: 5-line block ×3, first 2 shown]
	v_mov_b32_dpp v75, v73 row_shr:8 row_mask:0xf bank_mask:0xf
	v_cndmask_b32_e32 v74, 0, v75, vcc
	v_add_u32_e32 v73, v73, v74
	v_bfe_i32 v75, v4, 4, 1
	v_cmp_lt_u32_e32 vcc, 31, v4
	v_mov_b32_dpp v74, v73 row_bcast:15 row_mask:0xf bank_mask:0xf
	v_and_b32_e32 v74, v75, v74
	v_add_u32_e32 v73, v73, v74
	v_and_b32_e32 v75, 0x3c0, v18
	v_min_u32_e32 v75, 0x1c0, v75
	v_mov_b32_dpp v74, v73 row_bcast:31 row_mask:0xf bank_mask:0xf
	v_cndmask_b32_e32 v74, 0, v74, vcc
	v_or_b32_e32 v75, 63, v75
	v_add_u32_e32 v73, v73, v74
	v_lshrrev_b32_e32 v74, 6, v18
	v_cmp_eq_u32_e32 vcc, v75, v18
	s_and_saveexec_b64 s[2:3], vcc
	s_cbranch_execz .LBB548_160
; %bb.159:
	v_lshlrev_b32_e32 v75, 2, v74
	ds_write_b32 v75, v73
.LBB548_160:
	s_or_b64 exec, exec, s[2:3]
	v_cmp_gt_u32_e32 vcc, 8, v18
	s_waitcnt lgkmcnt(0)
	s_barrier
	s_and_saveexec_b64 s[2:3], vcc
	s_cbranch_execz .LBB548_162
; %bb.161:
	v_lshlrev_b32_e32 v75, 2, v18
	ds_read_b32 v76, v75
	v_and_b32_e32 v77, 7, v4
	v_cmp_ne_u32_e32 vcc, 0, v77
	s_waitcnt lgkmcnt(0)
	v_mov_b32_dpp v78, v76 row_shr:1 row_mask:0xf bank_mask:0xf
	v_cndmask_b32_e32 v78, 0, v78, vcc
	v_add_u32_e32 v76, v78, v76
	v_cmp_lt_u32_e32 vcc, 1, v77
	s_nop 0
	v_mov_b32_dpp v78, v76 row_shr:2 row_mask:0xf bank_mask:0xf
	v_cndmask_b32_e32 v78, 0, v78, vcc
	v_add_u32_e32 v76, v76, v78
	v_cmp_lt_u32_e32 vcc, 3, v77
	s_nop 0
	v_mov_b32_dpp v78, v76 row_shr:4 row_mask:0xf bank_mask:0xf
	v_cndmask_b32_e32 v77, 0, v78, vcc
	v_add_u32_e32 v76, v76, v77
	ds_write_b32 v75, v76
.LBB548_162:
	s_or_b64 exec, exec, s[2:3]
	v_cmp_lt_u32_e32 vcc, 63, v18
	v_mov_b32_e32 v75, 0
	s_waitcnt lgkmcnt(0)
	s_barrier
	s_and_saveexec_b64 s[2:3], vcc
	s_cbranch_execz .LBB548_164
; %bb.163:
	v_lshl_add_u32 v74, v74, 2, -4
	ds_read_b32 v75, v74
.LBB548_164:
	s_or_b64 exec, exec, s[2:3]
	v_add_u32_e32 v74, -1, v4
	v_and_b32_e32 v76, 64, v4
	v_cmp_lt_i32_e32 vcc, v74, v76
	v_cndmask_b32_e32 v74, v74, v4, vcc
	s_waitcnt lgkmcnt(0)
	v_add_u32_e32 v73, v75, v73
	v_lshlrev_b32_e32 v74, 2, v74
	ds_bpermute_b32 v73, v74, v73
	v_cmp_eq_u32_e32 vcc, 0, v4
	s_waitcnt lgkmcnt(0)
	v_cndmask_b32_e32 v4, v73, v75, vcc
	v_cndmask_b32_e64 v4, v4, 0, s[0:1]
	v_add_u32_e32 v2, v4, v2
	v_add_u32_e32 v3, v2, v3
	;; [unrolled: 1-line block ×4, first 2 shown]
	ds_write2_b32 v5, v4, v2 offset0:8 offset1:9
	ds_write2_b32 v72, v3, v0 offset0:2 offset1:3
	ds_write_b32 v72, v1 offset:16
	s_waitcnt lgkmcnt(0)
	s_barrier
	ds_read_b32 v75, v9 offset:32
	ds_read_b32 v9, v11 offset:32
	;; [unrolled: 1-line block ×16, first 2 shown]
	s_movk_i32 s0, 0x100
	v_cmp_gt_u32_e32 vcc, s0, v18
                                        ; implicit-def: $vgpr52
                                        ; implicit-def: $vgpr55
	s_and_saveexec_b64 s[2:3], vcc
	s_cbranch_execz .LBB548_168
; %bb.165:
	v_mul_u32_u24_e32 v0, 9, v18
	v_lshlrev_b32_e32 v1, 2, v0
	ds_read_b32 v52, v1 offset:32
	s_movk_i32 s0, 0xff
	v_cmp_ne_u32_e64 s[0:1], s0, v18
	v_mov_b32_e32 v0, 0x2000
	s_and_saveexec_b64 s[4:5], s[0:1]
	s_cbranch_execz .LBB548_167
; %bb.166:
	ds_read_b32 v0, v1 offset:68
.LBB548_167:
	s_or_b64 exec, exec, s[4:5]
	s_waitcnt lgkmcnt(0)
	v_sub_u32_e32 v55, v0, v52
.LBB548_168:
	s_or_b64 exec, exec, s[2:3]
	s_waitcnt lgkmcnt(0)
	s_barrier
	s_and_saveexec_b64 s[2:3], vcc
	s_cbranch_execz .LBB548_178
; %bb.169:
	v_lshl_or_b32 v0, s33, 8, v18
	v_mov_b32_e32 v1, 0
	v_lshlrev_b64 v[2:3], 2, v[0:1]
	v_mov_b32_e32 v37, s43
	v_add_co_u32_e64 v2, s[0:1], s42, v2
	v_addc_co_u32_e64 v3, s[0:1], v37, v3, s[0:1]
	v_or_b32_e32 v0, 2.0, v55
	s_mov_b64 s[4:5], 0
	s_brev_b32 s16, 1
	s_mov_b32 s17, s33
	v_mov_b32_e32 v40, 0
	global_store_dword v[2:3], v0, off
                                        ; implicit-def: $sgpr0_sgpr1
	s_branch .LBB548_172
.LBB548_170:                            ;   in Loop: Header=BB548_172 Depth=1
	s_or_b64 exec, exec, s[12:13]
.LBB548_171:                            ;   in Loop: Header=BB548_172 Depth=1
	s_or_b64 exec, exec, s[6:7]
	v_and_b32_e32 v4, 0x3fffffff, v58
	v_add_u32_e32 v40, v4, v40
	v_cmp_eq_u32_e64 s[0:1], s16, v0
	s_and_b64 s[6:7], exec, s[0:1]
	s_or_b64 s[4:5], s[6:7], s[4:5]
	s_andn2_b64 exec, exec, s[4:5]
	s_cbranch_execz .LBB548_177
.LBB548_172:                            ; =>This Loop Header: Depth=1
                                        ;     Child Loop BB548_175 Depth 2
	s_or_b64 s[0:1], s[0:1], exec
	s_cmp_eq_u32 s17, 0
	s_cbranch_scc1 .LBB548_176
; %bb.173:                              ;   in Loop: Header=BB548_172 Depth=1
	s_add_i32 s17, s17, -1
	v_lshl_or_b32 v0, s17, 8, v18
	v_lshlrev_b64 v[4:5], 2, v[0:1]
	v_add_co_u32_e64 v4, s[0:1], s42, v4
	v_addc_co_u32_e64 v5, s[0:1], v37, v5, s[0:1]
	global_load_dword v58, v[4:5], off glc
	s_waitcnt vmcnt(0)
	v_and_b32_e32 v0, -2.0, v58
	v_cmp_eq_u32_e64 s[0:1], 0, v0
	s_and_saveexec_b64 s[6:7], s[0:1]
	s_cbranch_execz .LBB548_171
; %bb.174:                              ;   in Loop: Header=BB548_172 Depth=1
	s_mov_b64 s[12:13], 0
.LBB548_175:                            ;   Parent Loop BB548_172 Depth=1
                                        ; =>  This Inner Loop Header: Depth=2
	global_load_dword v58, v[4:5], off glc
	s_waitcnt vmcnt(0)
	v_and_b32_e32 v0, -2.0, v58
	v_cmp_ne_u32_e64 s[0:1], 0, v0
	s_or_b64 s[12:13], s[0:1], s[12:13]
	s_andn2_b64 exec, exec, s[12:13]
	s_cbranch_execnz .LBB548_175
	s_branch .LBB548_170
.LBB548_176:                            ;   in Loop: Header=BB548_172 Depth=1
                                        ; implicit-def: $sgpr17
	s_and_b64 s[6:7], exec, s[0:1]
	s_or_b64 s[4:5], s[6:7], s[4:5]
	s_andn2_b64 exec, exec, s[4:5]
	s_cbranch_execnz .LBB548_172
.LBB548_177:
	s_or_b64 exec, exec, s[4:5]
	v_add_u32_e32 v0, v40, v55
	v_or_b32_e32 v0, 0x80000000, v0
	global_store_dword v[2:3], v0, off
	v_lshlrev_b32_e32 v0, 2, v18
	global_load_dword v1, v0, s[52:53]
	v_sub_u32_e32 v2, v40, v52
	s_waitcnt vmcnt(0)
	v_add_u32_e32 v1, v2, v1
	ds_write_b32 v0, v1
.LBB548_178:
	s_or_b64 exec, exec, s[2:3]
	v_lshlrev_b32_e32 v37, 2, v18
	v_add_u32_e32 v58, v75, v6
	s_movk_i32 s2, 0x400
	v_add_u32_e32 v40, 0x400, v37
	v_add3_u32 v61, v70, v61, v16
	v_add3_u32 v63, v68, v63, v66
	;; [unrolled: 1-line block ×15, first 2 shown]
	s_mov_b32 s3, 0
	s_mov_b32 s4, 3
	s_movk_i32 s5, 0x200
	s_movk_i32 s6, 0x600
	v_mov_b32_e32 v17, 0
	v_mov_b32_e32 v38, s47
	v_mov_b32_e32 v39, v18
                                        ; implicit-def: $vgpr0
.LBB548_179:                            ; =>This Inner Loop Header: Depth=1
	v_add_u32_e32 v16, s3, v58
	v_add_u32_e32 v41, s3, v69
	;; [unrolled: 1-line block ×16, first 2 shown]
	v_min_u32_e32 v16, 0x800, v16
	v_min_u32_e32 v41, 0x800, v41
	;; [unrolled: 1-line block ×16, first 2 shown]
	v_lshlrev_b32_e32 v16, 2, v16
	v_lshlrev_b32_e32 v41, 2, v41
	;; [unrolled: 1-line block ×16, first 2 shown]
	ds_write_b32 v16, v21 offset:1024
	ds_write_b32 v41, v22 offset:1024
	;; [unrolled: 1-line block ×16, first 2 shown]
	s_waitcnt lgkmcnt(0)
	s_barrier
	ds_read_b32 v41, v37 offset:1024
	s_add_i32 s7, s4, -3
	s_add_i32 s12, s4, -2
	;; [unrolled: 1-line block ×3, first 2 shown]
	s_addk_i32 s3, 0xf800
	s_waitcnt lgkmcnt(0)
	v_lshrrev_b32_e32 v16, s56, v41
	v_and_b32_e32 v44, s15, v16
	v_lshlrev_b32_e32 v16, 2, v44
	ds_read_b32 v16, v16
	s_waitcnt lgkmcnt(0)
	v_add_u32_e32 v16, v39, v16
	v_lshlrev_b64 v[42:43], 2, v[16:17]
	v_add_co_u32_e64 v42, s[0:1], s46, v42
	v_addc_co_u32_e64 v43, s[0:1], v38, v43, s[0:1]
	global_store_dword v[42:43], v41, off
	s_set_gpr_idx_on s7, gpr_idx(DST)
	v_mov_b32_e32 v0, v44
	s_set_gpr_idx_off
	ds_read_b32 v41, v40 offset:2048
	s_waitcnt lgkmcnt(0)
	v_lshrrev_b32_e32 v16, s56, v41
	v_and_b32_e32 v44, s15, v16
	v_lshlrev_b32_e32 v16, 2, v44
	ds_read_b32 v16, v16
	s_waitcnt lgkmcnt(0)
	v_add3_u32 v16, v39, v16, s5
	v_lshlrev_b64 v[42:43], 2, v[16:17]
	v_add_co_u32_e64 v42, s[0:1], s46, v42
	v_addc_co_u32_e64 v43, s[0:1], v38, v43, s[0:1]
	global_store_dword v[42:43], v41, off
	s_set_gpr_idx_on s12, gpr_idx(DST)
	v_mov_b32_e32 v0, v44
	s_set_gpr_idx_off
	ds_read_b32 v41, v40 offset:4096
	s_waitcnt lgkmcnt(0)
	v_lshrrev_b32_e32 v16, s56, v41
	v_and_b32_e32 v44, s15, v16
	v_lshlrev_b32_e32 v16, 2, v44
	ds_read_b32 v16, v16
	s_waitcnt lgkmcnt(0)
	v_add3_u32 v16, v39, v16, s2
	;; [unrolled: 15-line block ×3, first 2 shown]
	v_lshlrev_b64 v[42:43], 2, v[16:17]
	v_add_co_u32_e64 v42, s[0:1], s46, v42
	v_addc_co_u32_e64 v43, s[0:1], v38, v43, s[0:1]
	global_store_dword v[42:43], v41, off
	s_set_gpr_idx_on s4, gpr_idx(DST)
	v_mov_b32_e32 v0, v44
	s_set_gpr_idx_off
	s_add_i32 s4, s4, 4
	v_add_u32_e32 v39, 0x800, v39
	s_cmpk_lg_i32 s3, 0xe000
	s_barrier
	s_cbranch_scc1 .LBB548_179
; %bb.180:
	s_lshl_b64 s[0:1], s[10:11], 3
	s_add_u32 s0, s48, s0
	s_addc_u32 s1, s49, s1
	v_lshlrev_b32_e32 v16, 3, v20
	v_mov_b32_e32 v17, s1
	v_add_co_u32_e64 v16, s[0:1], s0, v16
	v_addc_co_u32_e64 v17, s[0:1], 0, v17, s[0:1]
	v_lshlrev_b32_e32 v19, 3, v19
	v_add_co_u32_e64 v34, s[0:1], v16, v19
	v_addc_co_u32_e64 v35, s[0:1], 0, v17, s[0:1]
	s_movk_i32 s0, 0x1000
	v_add_co_u32_e64 v50, s[0:1], s0, v34
	v_addc_co_u32_e64 v51, s[0:1], 0, v35, s[0:1]
	global_load_dwordx2 v[16:17], v[34:35], off
	global_load_dwordx2 v[20:21], v[34:35], off offset:512
	global_load_dwordx2 v[22:23], v[34:35], off offset:1024
	;; [unrolled: 1-line block ×7, first 2 shown]
	s_nop 0
	global_load_dwordx2 v[34:35], v[50:51], off
	global_load_dwordx2 v[36:37], v[50:51], off offset:512
	global_load_dwordx2 v[38:39], v[50:51], off offset:1024
	;; [unrolled: 1-line block ×7, first 2 shown]
	v_lshlrev_b32_e32 v19, 3, v18
	s_mov_b32 s2, 0
	v_add_u32_e32 v70, 0x400, v19
	s_mov_b32 s3, 1
	s_movk_i32 s4, 0x200
	v_mov_b32_e32 v51, 0
	v_mov_b32_e32 v71, v18
	s_waitcnt vmcnt(0)
.LBB548_181:                            ; =>This Inner Loop Header: Depth=1
	v_add_u32_e32 v50, s2, v58
	v_add_u32_e32 v72, s2, v69
	;; [unrolled: 1-line block ×16, first 2 shown]
	v_min_u32_e32 v50, 0x400, v50
	v_min_u32_e32 v72, 0x400, v72
	;; [unrolled: 1-line block ×3, first 2 shown]
	s_add_i32 s0, s3, -1
	v_min_u32_e32 v74, 0x400, v74
	v_min_u32_e32 v75, 0x400, v75
	;; [unrolled: 1-line block ×13, first 2 shown]
	v_lshlrev_b32_e32 v50, 3, v50
	v_lshlrev_b32_e32 v72, 3, v72
	;; [unrolled: 1-line block ×16, first 2 shown]
	ds_write_b64 v50, v[16:17] offset:1024
	ds_write_b64 v72, v[20:21] offset:1024
	ds_write_b64 v73, v[22:23] offset:1024
	ds_write_b64 v74, v[24:25] offset:1024
	ds_write_b64 v75, v[26:27] offset:1024
	ds_write_b64 v76, v[28:29] offset:1024
	ds_write_b64 v77, v[30:31] offset:1024
	ds_write_b64 v78, v[32:33] offset:1024
	ds_write_b64 v79, v[34:35] offset:1024
	ds_write_b64 v80, v[36:37] offset:1024
	ds_write_b64 v81, v[38:39] offset:1024
	ds_write_b64 v82, v[40:41] offset:1024
	ds_write_b64 v83, v[42:43] offset:1024
	ds_write_b64 v84, v[44:45] offset:1024
	ds_write_b64 v85, v[46:47] offset:1024
	ds_write_b64 v86, v[48:49] offset:1024
	s_waitcnt lgkmcnt(0)
	s_barrier
	ds_read_b64 v[72:73], v19 offset:1024
	s_set_gpr_idx_on s0, gpr_idx(SRC0)
	v_mov_b32_e32 v50, v0
	s_set_gpr_idx_off
	v_lshlrev_b32_e32 v50, 2, v50
	ds_read_b32 v50, v50
	ds_read_b64 v[74:75], v70 offset:4096
	v_mov_b32_e32 v87, s51
	s_addk_i32 s2, 0xfc00
	s_waitcnt lgkmcnt(1)
	v_add_u32_e32 v50, v71, v50
	v_lshlrev_b64 v[76:77], 3, v[50:51]
	v_add_co_u32_e64 v76, s[0:1], s50, v76
	v_addc_co_u32_e64 v77, s[0:1], v87, v77, s[0:1]
	global_store_dwordx2 v[76:77], v[72:73], off
	s_set_gpr_idx_on s3, gpr_idx(SRC0)
	v_mov_b32_e32 v50, v0
	s_set_gpr_idx_off
	v_lshlrev_b32_e32 v50, 2, v50
	ds_read_b32 v50, v50
	s_add_i32 s3, s3, 2
	s_cmpk_lg_i32 s2, 0xe000
	s_waitcnt lgkmcnt(0)
	v_add3_u32 v50, v71, v50, s4
	v_lshlrev_b64 v[72:73], 3, v[50:51]
	v_add_co_u32_e64 v72, s[0:1], s50, v72
	v_add_u32_e32 v71, 0x400, v71
	v_addc_co_u32_e64 v73, s[0:1], v87, v73, s[0:1]
	global_store_dwordx2 v[72:73], v[74:75], off
	s_barrier
	s_cbranch_scc1 .LBB548_181
; %bb.182:
	s_add_i32 s14, s14, -1
	s_cmp_eq_u32 s14, s33
	s_cselect_b64 s[0:1], -1, 0
	s_and_b64 s[2:3], vcc, s[0:1]
                                        ; implicit-def: $vgpr2
	s_and_saveexec_b64 s[0:1], s[2:3]
; %bb.183:
	v_add_u32_e32 v2, v52, v55
	s_or_b64 s[8:9], s[8:9], exec
; %bb.184:
	s_or_b64 exec, exec, s[0:1]
.LBB548_185:
	s_and_saveexec_b64 s[0:1], s[8:9]
	s_cbranch_execnz .LBB548_187
; %bb.186:
	s_endpgm
.LBB548_187:
	v_lshlrev_b32_e32 v0, 2, v18
	ds_read_b32 v1, v0
	s_waitcnt lgkmcnt(0)
	v_add_u32_e32 v1, v1, v2
	global_store_dword v0, v1, s[54:55]
	s_endpgm
.LBB548_188:
	global_load_dwordx2 v[20:21], v[42:43], off
	s_or_b64 exec, exec, s[40:41]
                                        ; implicit-def: $vgpr22_vgpr23
	s_and_saveexec_b64 s[40:41], s[10:11]
	s_cbranch_execz .LBB548_102
.LBB548_189:
	global_load_dwordx2 v[22:23], v[42:43], off offset:512
	s_or_b64 exec, exec, s[40:41]
                                        ; implicit-def: $vgpr24_vgpr25
	s_and_saveexec_b64 s[10:11], s[12:13]
	s_cbranch_execz .LBB548_103
.LBB548_190:
	global_load_dwordx2 v[24:25], v[42:43], off offset:1024
	s_or_b64 exec, exec, s[10:11]
                                        ; implicit-def: $vgpr26_vgpr27
	s_and_saveexec_b64 s[10:11], s[16:17]
	s_cbranch_execz .LBB548_104
.LBB548_191:
	global_load_dwordx2 v[26:27], v[42:43], off offset:1536
	s_or_b64 exec, exec, s[10:11]
                                        ; implicit-def: $vgpr28_vgpr29
	s_and_saveexec_b64 s[10:11], s[20:21]
	s_cbranch_execz .LBB548_105
.LBB548_192:
	global_load_dwordx2 v[28:29], v[42:43], off offset:2048
	s_or_b64 exec, exec, s[10:11]
                                        ; implicit-def: $vgpr30_vgpr31
	s_and_saveexec_b64 s[10:11], s[22:23]
	s_cbranch_execz .LBB548_106
.LBB548_193:
	global_load_dwordx2 v[30:31], v[42:43], off offset:2560
	s_or_b64 exec, exec, s[10:11]
                                        ; implicit-def: $vgpr32_vgpr33
	s_and_saveexec_b64 s[10:11], s[26:27]
	s_cbranch_execz .LBB548_107
.LBB548_194:
	global_load_dwordx2 v[32:33], v[42:43], off offset:3072
	s_or_b64 exec, exec, s[10:11]
                                        ; implicit-def: $vgpr34_vgpr35
	s_and_saveexec_b64 s[10:11], s[30:31]
	s_cbranch_execz .LBB548_108
.LBB548_195:
	global_load_dwordx2 v[34:35], v[42:43], off offset:3584
	s_or_b64 exec, exec, s[10:11]
                                        ; implicit-def: $vgpr36_vgpr37
	s_and_saveexec_b64 s[10:11], s[34:35]
	s_cbranch_execz .LBB548_109
.LBB548_196:
	v_add_co_u32_e32 v36, vcc, 0x1000, v42
	v_addc_co_u32_e32 v37, vcc, 0, v43, vcc
	global_load_dwordx2 v[36:37], v[36:37], off
	s_or_b64 exec, exec, s[10:11]
                                        ; implicit-def: $vgpr38_vgpr39
	s_and_saveexec_b64 s[10:11], s[28:29]
	s_cbranch_execz .LBB548_110
.LBB548_197:
	v_add_co_u32_e32 v38, vcc, 0x1000, v42
	v_addc_co_u32_e32 v39, vcc, 0, v43, vcc
	global_load_dwordx2 v[38:39], v[38:39], off offset:512
	s_or_b64 exec, exec, s[10:11]
                                        ; implicit-def: $vgpr40_vgpr41
	s_and_saveexec_b64 s[10:11], s[24:25]
	s_cbranch_execz .LBB548_111
.LBB548_198:
	v_add_co_u32_e32 v40, vcc, 0x1000, v42
	v_addc_co_u32_e32 v41, vcc, 0, v43, vcc
	global_load_dwordx2 v[40:41], v[40:41], off offset:1024
	s_or_b64 exec, exec, s[10:11]
                                        ; implicit-def: $vgpr44_vgpr45
	s_and_saveexec_b64 s[10:11], s[18:19]
	s_cbranch_execz .LBB548_112
.LBB548_199:
	v_add_co_u32_e32 v44, vcc, 0x1000, v42
	v_addc_co_u32_e32 v45, vcc, 0, v43, vcc
	global_load_dwordx2 v[44:45], v[44:45], off offset:1536
	s_or_b64 exec, exec, s[10:11]
                                        ; implicit-def: $vgpr46_vgpr47
	s_and_saveexec_b64 s[10:11], s[14:15]
	s_cbranch_execz .LBB548_113
.LBB548_200:
	v_add_co_u32_e32 v46, vcc, 0x1000, v42
	v_addc_co_u32_e32 v47, vcc, 0, v43, vcc
	global_load_dwordx2 v[46:47], v[46:47], off offset:2048
	s_or_b64 exec, exec, s[10:11]
                                        ; implicit-def: $vgpr48_vgpr49
	s_and_saveexec_b64 s[10:11], s[8:9]
	s_cbranch_execz .LBB548_114
.LBB548_201:
	v_add_co_u32_e32 v48, vcc, 0x1000, v42
	v_addc_co_u32_e32 v49, vcc, 0, v43, vcc
	global_load_dwordx2 v[48:49], v[48:49], off offset:2560
	s_or_b64 exec, exec, s[10:11]
                                        ; implicit-def: $vgpr50_vgpr51
	s_and_saveexec_b64 s[8:9], s[38:39]
	s_cbranch_execz .LBB548_115
.LBB548_202:
	v_add_co_u32_e32 v50, vcc, 0x1000, v42
	v_addc_co_u32_e32 v51, vcc, 0, v43, vcc
	global_load_dwordx2 v[50:51], v[50:51], off offset:3072
	s_or_b64 exec, exec, s[8:9]
                                        ; implicit-def: $vgpr52_vgpr53
	s_and_saveexec_b64 s[8:9], s[2:3]
	s_cbranch_execnz .LBB548_116
	s_branch .LBB548_117
	.section	.rodata,"a",@progbits
	.p2align	6, 0x0
	.amdhsa_kernel _ZN7rocprim17ROCPRIM_400000_NS6detail17trampoline_kernelINS0_14default_configENS1_35radix_sort_onesweep_config_selectorIjyEEZZNS1_29radix_sort_onesweep_iterationIS3_Lb0EPjS7_PyS8_jNS0_19identity_decomposerENS1_16block_id_wrapperIjLb1EEEEE10hipError_tT1_PNSt15iterator_traitsISD_E10value_typeET2_T3_PNSE_ISJ_E10value_typeET4_T5_PSO_SP_PNS1_23onesweep_lookback_stateEbbT6_jjT7_P12ihipStream_tbENKUlT_T0_SD_SI_E_clIS7_S7_S8_S8_EEDaSW_SX_SD_SI_EUlSW_E_NS1_11comp_targetILNS1_3genE4ELNS1_11target_archE910ELNS1_3gpuE8ELNS1_3repE0EEENS1_47radix_sort_onesweep_sort_config_static_selectorELNS0_4arch9wavefront6targetE1EEEvSD_
		.amdhsa_group_segment_fixed_size 10280
		.amdhsa_private_segment_fixed_size 0
		.amdhsa_kernarg_size 344
		.amdhsa_user_sgpr_count 6
		.amdhsa_user_sgpr_private_segment_buffer 1
		.amdhsa_user_sgpr_dispatch_ptr 0
		.amdhsa_user_sgpr_queue_ptr 0
		.amdhsa_user_sgpr_kernarg_segment_ptr 1
		.amdhsa_user_sgpr_dispatch_id 0
		.amdhsa_user_sgpr_flat_scratch_init 0
		.amdhsa_user_sgpr_kernarg_preload_length 0
		.amdhsa_user_sgpr_kernarg_preload_offset 0
		.amdhsa_user_sgpr_private_segment_size 0
		.amdhsa_uses_dynamic_stack 0
		.amdhsa_system_sgpr_private_segment_wavefront_offset 0
		.amdhsa_system_sgpr_workgroup_id_x 1
		.amdhsa_system_sgpr_workgroup_id_y 0
		.amdhsa_system_sgpr_workgroup_id_z 0
		.amdhsa_system_sgpr_workgroup_info 0
		.amdhsa_system_vgpr_workitem_id 2
		.amdhsa_next_free_vgpr 88
		.amdhsa_next_free_sgpr 72
		.amdhsa_accum_offset 88
		.amdhsa_reserve_vcc 1
		.amdhsa_reserve_flat_scratch 0
		.amdhsa_float_round_mode_32 0
		.amdhsa_float_round_mode_16_64 0
		.amdhsa_float_denorm_mode_32 3
		.amdhsa_float_denorm_mode_16_64 3
		.amdhsa_dx10_clamp 1
		.amdhsa_ieee_mode 1
		.amdhsa_fp16_overflow 0
		.amdhsa_tg_split 0
		.amdhsa_exception_fp_ieee_invalid_op 0
		.amdhsa_exception_fp_denorm_src 0
		.amdhsa_exception_fp_ieee_div_zero 0
		.amdhsa_exception_fp_ieee_overflow 0
		.amdhsa_exception_fp_ieee_underflow 0
		.amdhsa_exception_fp_ieee_inexact 0
		.amdhsa_exception_int_div_zero 0
	.end_amdhsa_kernel
	.section	.text._ZN7rocprim17ROCPRIM_400000_NS6detail17trampoline_kernelINS0_14default_configENS1_35radix_sort_onesweep_config_selectorIjyEEZZNS1_29radix_sort_onesweep_iterationIS3_Lb0EPjS7_PyS8_jNS0_19identity_decomposerENS1_16block_id_wrapperIjLb1EEEEE10hipError_tT1_PNSt15iterator_traitsISD_E10value_typeET2_T3_PNSE_ISJ_E10value_typeET4_T5_PSO_SP_PNS1_23onesweep_lookback_stateEbbT6_jjT7_P12ihipStream_tbENKUlT_T0_SD_SI_E_clIS7_S7_S8_S8_EEDaSW_SX_SD_SI_EUlSW_E_NS1_11comp_targetILNS1_3genE4ELNS1_11target_archE910ELNS1_3gpuE8ELNS1_3repE0EEENS1_47radix_sort_onesweep_sort_config_static_selectorELNS0_4arch9wavefront6targetE1EEEvSD_,"axG",@progbits,_ZN7rocprim17ROCPRIM_400000_NS6detail17trampoline_kernelINS0_14default_configENS1_35radix_sort_onesweep_config_selectorIjyEEZZNS1_29radix_sort_onesweep_iterationIS3_Lb0EPjS7_PyS8_jNS0_19identity_decomposerENS1_16block_id_wrapperIjLb1EEEEE10hipError_tT1_PNSt15iterator_traitsISD_E10value_typeET2_T3_PNSE_ISJ_E10value_typeET4_T5_PSO_SP_PNS1_23onesweep_lookback_stateEbbT6_jjT7_P12ihipStream_tbENKUlT_T0_SD_SI_E_clIS7_S7_S8_S8_EEDaSW_SX_SD_SI_EUlSW_E_NS1_11comp_targetILNS1_3genE4ELNS1_11target_archE910ELNS1_3gpuE8ELNS1_3repE0EEENS1_47radix_sort_onesweep_sort_config_static_selectorELNS0_4arch9wavefront6targetE1EEEvSD_,comdat
.Lfunc_end548:
	.size	_ZN7rocprim17ROCPRIM_400000_NS6detail17trampoline_kernelINS0_14default_configENS1_35radix_sort_onesweep_config_selectorIjyEEZZNS1_29radix_sort_onesweep_iterationIS3_Lb0EPjS7_PyS8_jNS0_19identity_decomposerENS1_16block_id_wrapperIjLb1EEEEE10hipError_tT1_PNSt15iterator_traitsISD_E10value_typeET2_T3_PNSE_ISJ_E10value_typeET4_T5_PSO_SP_PNS1_23onesweep_lookback_stateEbbT6_jjT7_P12ihipStream_tbENKUlT_T0_SD_SI_E_clIS7_S7_S8_S8_EEDaSW_SX_SD_SI_EUlSW_E_NS1_11comp_targetILNS1_3genE4ELNS1_11target_archE910ELNS1_3gpuE8ELNS1_3repE0EEENS1_47radix_sort_onesweep_sort_config_static_selectorELNS0_4arch9wavefront6targetE1EEEvSD_, .Lfunc_end548-_ZN7rocprim17ROCPRIM_400000_NS6detail17trampoline_kernelINS0_14default_configENS1_35radix_sort_onesweep_config_selectorIjyEEZZNS1_29radix_sort_onesweep_iterationIS3_Lb0EPjS7_PyS8_jNS0_19identity_decomposerENS1_16block_id_wrapperIjLb1EEEEE10hipError_tT1_PNSt15iterator_traitsISD_E10value_typeET2_T3_PNSE_ISJ_E10value_typeET4_T5_PSO_SP_PNS1_23onesweep_lookback_stateEbbT6_jjT7_P12ihipStream_tbENKUlT_T0_SD_SI_E_clIS7_S7_S8_S8_EEDaSW_SX_SD_SI_EUlSW_E_NS1_11comp_targetILNS1_3genE4ELNS1_11target_archE910ELNS1_3gpuE8ELNS1_3repE0EEENS1_47radix_sort_onesweep_sort_config_static_selectorELNS0_4arch9wavefront6targetE1EEEvSD_
                                        ; -- End function
	.section	.AMDGPU.csdata,"",@progbits
; Kernel info:
; codeLenInByte = 20448
; NumSgprs: 76
; NumVgprs: 88
; NumAgprs: 0
; TotalNumVgprs: 88
; ScratchSize: 0
; MemoryBound: 0
; FloatMode: 240
; IeeeMode: 1
; LDSByteSize: 10280 bytes/workgroup (compile time only)
; SGPRBlocks: 9
; VGPRBlocks: 10
; NumSGPRsForWavesPerEU: 76
; NumVGPRsForWavesPerEU: 88
; AccumOffset: 88
; Occupancy: 5
; WaveLimiterHint : 1
; COMPUTE_PGM_RSRC2:SCRATCH_EN: 0
; COMPUTE_PGM_RSRC2:USER_SGPR: 6
; COMPUTE_PGM_RSRC2:TRAP_HANDLER: 0
; COMPUTE_PGM_RSRC2:TGID_X_EN: 1
; COMPUTE_PGM_RSRC2:TGID_Y_EN: 0
; COMPUTE_PGM_RSRC2:TGID_Z_EN: 0
; COMPUTE_PGM_RSRC2:TIDIG_COMP_CNT: 2
; COMPUTE_PGM_RSRC3_GFX90A:ACCUM_OFFSET: 21
; COMPUTE_PGM_RSRC3_GFX90A:TG_SPLIT: 0
	.section	.text._ZN7rocprim17ROCPRIM_400000_NS6detail17trampoline_kernelINS0_14default_configENS1_35radix_sort_onesweep_config_selectorIjyEEZZNS1_29radix_sort_onesweep_iterationIS3_Lb0EPjS7_PyS8_jNS0_19identity_decomposerENS1_16block_id_wrapperIjLb1EEEEE10hipError_tT1_PNSt15iterator_traitsISD_E10value_typeET2_T3_PNSE_ISJ_E10value_typeET4_T5_PSO_SP_PNS1_23onesweep_lookback_stateEbbT6_jjT7_P12ihipStream_tbENKUlT_T0_SD_SI_E_clIS7_S7_S8_S8_EEDaSW_SX_SD_SI_EUlSW_E_NS1_11comp_targetILNS1_3genE3ELNS1_11target_archE908ELNS1_3gpuE7ELNS1_3repE0EEENS1_47radix_sort_onesweep_sort_config_static_selectorELNS0_4arch9wavefront6targetE1EEEvSD_,"axG",@progbits,_ZN7rocprim17ROCPRIM_400000_NS6detail17trampoline_kernelINS0_14default_configENS1_35radix_sort_onesweep_config_selectorIjyEEZZNS1_29radix_sort_onesweep_iterationIS3_Lb0EPjS7_PyS8_jNS0_19identity_decomposerENS1_16block_id_wrapperIjLb1EEEEE10hipError_tT1_PNSt15iterator_traitsISD_E10value_typeET2_T3_PNSE_ISJ_E10value_typeET4_T5_PSO_SP_PNS1_23onesweep_lookback_stateEbbT6_jjT7_P12ihipStream_tbENKUlT_T0_SD_SI_E_clIS7_S7_S8_S8_EEDaSW_SX_SD_SI_EUlSW_E_NS1_11comp_targetILNS1_3genE3ELNS1_11target_archE908ELNS1_3gpuE7ELNS1_3repE0EEENS1_47radix_sort_onesweep_sort_config_static_selectorELNS0_4arch9wavefront6targetE1EEEvSD_,comdat
	.protected	_ZN7rocprim17ROCPRIM_400000_NS6detail17trampoline_kernelINS0_14default_configENS1_35radix_sort_onesweep_config_selectorIjyEEZZNS1_29radix_sort_onesweep_iterationIS3_Lb0EPjS7_PyS8_jNS0_19identity_decomposerENS1_16block_id_wrapperIjLb1EEEEE10hipError_tT1_PNSt15iterator_traitsISD_E10value_typeET2_T3_PNSE_ISJ_E10value_typeET4_T5_PSO_SP_PNS1_23onesweep_lookback_stateEbbT6_jjT7_P12ihipStream_tbENKUlT_T0_SD_SI_E_clIS7_S7_S8_S8_EEDaSW_SX_SD_SI_EUlSW_E_NS1_11comp_targetILNS1_3genE3ELNS1_11target_archE908ELNS1_3gpuE7ELNS1_3repE0EEENS1_47radix_sort_onesweep_sort_config_static_selectorELNS0_4arch9wavefront6targetE1EEEvSD_ ; -- Begin function _ZN7rocprim17ROCPRIM_400000_NS6detail17trampoline_kernelINS0_14default_configENS1_35radix_sort_onesweep_config_selectorIjyEEZZNS1_29radix_sort_onesweep_iterationIS3_Lb0EPjS7_PyS8_jNS0_19identity_decomposerENS1_16block_id_wrapperIjLb1EEEEE10hipError_tT1_PNSt15iterator_traitsISD_E10value_typeET2_T3_PNSE_ISJ_E10value_typeET4_T5_PSO_SP_PNS1_23onesweep_lookback_stateEbbT6_jjT7_P12ihipStream_tbENKUlT_T0_SD_SI_E_clIS7_S7_S8_S8_EEDaSW_SX_SD_SI_EUlSW_E_NS1_11comp_targetILNS1_3genE3ELNS1_11target_archE908ELNS1_3gpuE7ELNS1_3repE0EEENS1_47radix_sort_onesweep_sort_config_static_selectorELNS0_4arch9wavefront6targetE1EEEvSD_
	.globl	_ZN7rocprim17ROCPRIM_400000_NS6detail17trampoline_kernelINS0_14default_configENS1_35radix_sort_onesweep_config_selectorIjyEEZZNS1_29radix_sort_onesweep_iterationIS3_Lb0EPjS7_PyS8_jNS0_19identity_decomposerENS1_16block_id_wrapperIjLb1EEEEE10hipError_tT1_PNSt15iterator_traitsISD_E10value_typeET2_T3_PNSE_ISJ_E10value_typeET4_T5_PSO_SP_PNS1_23onesweep_lookback_stateEbbT6_jjT7_P12ihipStream_tbENKUlT_T0_SD_SI_E_clIS7_S7_S8_S8_EEDaSW_SX_SD_SI_EUlSW_E_NS1_11comp_targetILNS1_3genE3ELNS1_11target_archE908ELNS1_3gpuE7ELNS1_3repE0EEENS1_47radix_sort_onesweep_sort_config_static_selectorELNS0_4arch9wavefront6targetE1EEEvSD_
	.p2align	8
	.type	_ZN7rocprim17ROCPRIM_400000_NS6detail17trampoline_kernelINS0_14default_configENS1_35radix_sort_onesweep_config_selectorIjyEEZZNS1_29radix_sort_onesweep_iterationIS3_Lb0EPjS7_PyS8_jNS0_19identity_decomposerENS1_16block_id_wrapperIjLb1EEEEE10hipError_tT1_PNSt15iterator_traitsISD_E10value_typeET2_T3_PNSE_ISJ_E10value_typeET4_T5_PSO_SP_PNS1_23onesweep_lookback_stateEbbT6_jjT7_P12ihipStream_tbENKUlT_T0_SD_SI_E_clIS7_S7_S8_S8_EEDaSW_SX_SD_SI_EUlSW_E_NS1_11comp_targetILNS1_3genE3ELNS1_11target_archE908ELNS1_3gpuE7ELNS1_3repE0EEENS1_47radix_sort_onesweep_sort_config_static_selectorELNS0_4arch9wavefront6targetE1EEEvSD_,@function
_ZN7rocprim17ROCPRIM_400000_NS6detail17trampoline_kernelINS0_14default_configENS1_35radix_sort_onesweep_config_selectorIjyEEZZNS1_29radix_sort_onesweep_iterationIS3_Lb0EPjS7_PyS8_jNS0_19identity_decomposerENS1_16block_id_wrapperIjLb1EEEEE10hipError_tT1_PNSt15iterator_traitsISD_E10value_typeET2_T3_PNSE_ISJ_E10value_typeET4_T5_PSO_SP_PNS1_23onesweep_lookback_stateEbbT6_jjT7_P12ihipStream_tbENKUlT_T0_SD_SI_E_clIS7_S7_S8_S8_EEDaSW_SX_SD_SI_EUlSW_E_NS1_11comp_targetILNS1_3genE3ELNS1_11target_archE908ELNS1_3gpuE7ELNS1_3repE0EEENS1_47radix_sort_onesweep_sort_config_static_selectorELNS0_4arch9wavefront6targetE1EEEvSD_: ; @_ZN7rocprim17ROCPRIM_400000_NS6detail17trampoline_kernelINS0_14default_configENS1_35radix_sort_onesweep_config_selectorIjyEEZZNS1_29radix_sort_onesweep_iterationIS3_Lb0EPjS7_PyS8_jNS0_19identity_decomposerENS1_16block_id_wrapperIjLb1EEEEE10hipError_tT1_PNSt15iterator_traitsISD_E10value_typeET2_T3_PNSE_ISJ_E10value_typeET4_T5_PSO_SP_PNS1_23onesweep_lookback_stateEbbT6_jjT7_P12ihipStream_tbENKUlT_T0_SD_SI_E_clIS7_S7_S8_S8_EEDaSW_SX_SD_SI_EUlSW_E_NS1_11comp_targetILNS1_3genE3ELNS1_11target_archE908ELNS1_3gpuE7ELNS1_3repE0EEENS1_47radix_sort_onesweep_sort_config_static_selectorELNS0_4arch9wavefront6targetE1EEEvSD_
; %bb.0:
	.section	.rodata,"a",@progbits
	.p2align	6, 0x0
	.amdhsa_kernel _ZN7rocprim17ROCPRIM_400000_NS6detail17trampoline_kernelINS0_14default_configENS1_35radix_sort_onesweep_config_selectorIjyEEZZNS1_29radix_sort_onesweep_iterationIS3_Lb0EPjS7_PyS8_jNS0_19identity_decomposerENS1_16block_id_wrapperIjLb1EEEEE10hipError_tT1_PNSt15iterator_traitsISD_E10value_typeET2_T3_PNSE_ISJ_E10value_typeET4_T5_PSO_SP_PNS1_23onesweep_lookback_stateEbbT6_jjT7_P12ihipStream_tbENKUlT_T0_SD_SI_E_clIS7_S7_S8_S8_EEDaSW_SX_SD_SI_EUlSW_E_NS1_11comp_targetILNS1_3genE3ELNS1_11target_archE908ELNS1_3gpuE7ELNS1_3repE0EEENS1_47radix_sort_onesweep_sort_config_static_selectorELNS0_4arch9wavefront6targetE1EEEvSD_
		.amdhsa_group_segment_fixed_size 0
		.amdhsa_private_segment_fixed_size 0
		.amdhsa_kernarg_size 88
		.amdhsa_user_sgpr_count 6
		.amdhsa_user_sgpr_private_segment_buffer 1
		.amdhsa_user_sgpr_dispatch_ptr 0
		.amdhsa_user_sgpr_queue_ptr 0
		.amdhsa_user_sgpr_kernarg_segment_ptr 1
		.amdhsa_user_sgpr_dispatch_id 0
		.amdhsa_user_sgpr_flat_scratch_init 0
		.amdhsa_user_sgpr_kernarg_preload_length 0
		.amdhsa_user_sgpr_kernarg_preload_offset 0
		.amdhsa_user_sgpr_private_segment_size 0
		.amdhsa_uses_dynamic_stack 0
		.amdhsa_system_sgpr_private_segment_wavefront_offset 0
		.amdhsa_system_sgpr_workgroup_id_x 1
		.amdhsa_system_sgpr_workgroup_id_y 0
		.amdhsa_system_sgpr_workgroup_id_z 0
		.amdhsa_system_sgpr_workgroup_info 0
		.amdhsa_system_vgpr_workitem_id 0
		.amdhsa_next_free_vgpr 1
		.amdhsa_next_free_sgpr 0
		.amdhsa_accum_offset 4
		.amdhsa_reserve_vcc 0
		.amdhsa_reserve_flat_scratch 0
		.amdhsa_float_round_mode_32 0
		.amdhsa_float_round_mode_16_64 0
		.amdhsa_float_denorm_mode_32 3
		.amdhsa_float_denorm_mode_16_64 3
		.amdhsa_dx10_clamp 1
		.amdhsa_ieee_mode 1
		.amdhsa_fp16_overflow 0
		.amdhsa_tg_split 0
		.amdhsa_exception_fp_ieee_invalid_op 0
		.amdhsa_exception_fp_denorm_src 0
		.amdhsa_exception_fp_ieee_div_zero 0
		.amdhsa_exception_fp_ieee_overflow 0
		.amdhsa_exception_fp_ieee_underflow 0
		.amdhsa_exception_fp_ieee_inexact 0
		.amdhsa_exception_int_div_zero 0
	.end_amdhsa_kernel
	.section	.text._ZN7rocprim17ROCPRIM_400000_NS6detail17trampoline_kernelINS0_14default_configENS1_35radix_sort_onesweep_config_selectorIjyEEZZNS1_29radix_sort_onesweep_iterationIS3_Lb0EPjS7_PyS8_jNS0_19identity_decomposerENS1_16block_id_wrapperIjLb1EEEEE10hipError_tT1_PNSt15iterator_traitsISD_E10value_typeET2_T3_PNSE_ISJ_E10value_typeET4_T5_PSO_SP_PNS1_23onesweep_lookback_stateEbbT6_jjT7_P12ihipStream_tbENKUlT_T0_SD_SI_E_clIS7_S7_S8_S8_EEDaSW_SX_SD_SI_EUlSW_E_NS1_11comp_targetILNS1_3genE3ELNS1_11target_archE908ELNS1_3gpuE7ELNS1_3repE0EEENS1_47radix_sort_onesweep_sort_config_static_selectorELNS0_4arch9wavefront6targetE1EEEvSD_,"axG",@progbits,_ZN7rocprim17ROCPRIM_400000_NS6detail17trampoline_kernelINS0_14default_configENS1_35radix_sort_onesweep_config_selectorIjyEEZZNS1_29radix_sort_onesweep_iterationIS3_Lb0EPjS7_PyS8_jNS0_19identity_decomposerENS1_16block_id_wrapperIjLb1EEEEE10hipError_tT1_PNSt15iterator_traitsISD_E10value_typeET2_T3_PNSE_ISJ_E10value_typeET4_T5_PSO_SP_PNS1_23onesweep_lookback_stateEbbT6_jjT7_P12ihipStream_tbENKUlT_T0_SD_SI_E_clIS7_S7_S8_S8_EEDaSW_SX_SD_SI_EUlSW_E_NS1_11comp_targetILNS1_3genE3ELNS1_11target_archE908ELNS1_3gpuE7ELNS1_3repE0EEENS1_47radix_sort_onesweep_sort_config_static_selectorELNS0_4arch9wavefront6targetE1EEEvSD_,comdat
.Lfunc_end549:
	.size	_ZN7rocprim17ROCPRIM_400000_NS6detail17trampoline_kernelINS0_14default_configENS1_35radix_sort_onesweep_config_selectorIjyEEZZNS1_29radix_sort_onesweep_iterationIS3_Lb0EPjS7_PyS8_jNS0_19identity_decomposerENS1_16block_id_wrapperIjLb1EEEEE10hipError_tT1_PNSt15iterator_traitsISD_E10value_typeET2_T3_PNSE_ISJ_E10value_typeET4_T5_PSO_SP_PNS1_23onesweep_lookback_stateEbbT6_jjT7_P12ihipStream_tbENKUlT_T0_SD_SI_E_clIS7_S7_S8_S8_EEDaSW_SX_SD_SI_EUlSW_E_NS1_11comp_targetILNS1_3genE3ELNS1_11target_archE908ELNS1_3gpuE7ELNS1_3repE0EEENS1_47radix_sort_onesweep_sort_config_static_selectorELNS0_4arch9wavefront6targetE1EEEvSD_, .Lfunc_end549-_ZN7rocprim17ROCPRIM_400000_NS6detail17trampoline_kernelINS0_14default_configENS1_35radix_sort_onesweep_config_selectorIjyEEZZNS1_29radix_sort_onesweep_iterationIS3_Lb0EPjS7_PyS8_jNS0_19identity_decomposerENS1_16block_id_wrapperIjLb1EEEEE10hipError_tT1_PNSt15iterator_traitsISD_E10value_typeET2_T3_PNSE_ISJ_E10value_typeET4_T5_PSO_SP_PNS1_23onesweep_lookback_stateEbbT6_jjT7_P12ihipStream_tbENKUlT_T0_SD_SI_E_clIS7_S7_S8_S8_EEDaSW_SX_SD_SI_EUlSW_E_NS1_11comp_targetILNS1_3genE3ELNS1_11target_archE908ELNS1_3gpuE7ELNS1_3repE0EEENS1_47radix_sort_onesweep_sort_config_static_selectorELNS0_4arch9wavefront6targetE1EEEvSD_
                                        ; -- End function
	.section	.AMDGPU.csdata,"",@progbits
; Kernel info:
; codeLenInByte = 0
; NumSgprs: 4
; NumVgprs: 0
; NumAgprs: 0
; TotalNumVgprs: 0
; ScratchSize: 0
; MemoryBound: 0
; FloatMode: 240
; IeeeMode: 1
; LDSByteSize: 0 bytes/workgroup (compile time only)
; SGPRBlocks: 0
; VGPRBlocks: 0
; NumSGPRsForWavesPerEU: 4
; NumVGPRsForWavesPerEU: 1
; AccumOffset: 4
; Occupancy: 8
; WaveLimiterHint : 0
; COMPUTE_PGM_RSRC2:SCRATCH_EN: 0
; COMPUTE_PGM_RSRC2:USER_SGPR: 6
; COMPUTE_PGM_RSRC2:TRAP_HANDLER: 0
; COMPUTE_PGM_RSRC2:TGID_X_EN: 1
; COMPUTE_PGM_RSRC2:TGID_Y_EN: 0
; COMPUTE_PGM_RSRC2:TGID_Z_EN: 0
; COMPUTE_PGM_RSRC2:TIDIG_COMP_CNT: 0
; COMPUTE_PGM_RSRC3_GFX90A:ACCUM_OFFSET: 0
; COMPUTE_PGM_RSRC3_GFX90A:TG_SPLIT: 0
	.section	.text._ZN7rocprim17ROCPRIM_400000_NS6detail17trampoline_kernelINS0_14default_configENS1_35radix_sort_onesweep_config_selectorIjyEEZZNS1_29radix_sort_onesweep_iterationIS3_Lb0EPjS7_PyS8_jNS0_19identity_decomposerENS1_16block_id_wrapperIjLb1EEEEE10hipError_tT1_PNSt15iterator_traitsISD_E10value_typeET2_T3_PNSE_ISJ_E10value_typeET4_T5_PSO_SP_PNS1_23onesweep_lookback_stateEbbT6_jjT7_P12ihipStream_tbENKUlT_T0_SD_SI_E_clIS7_S7_S8_S8_EEDaSW_SX_SD_SI_EUlSW_E_NS1_11comp_targetILNS1_3genE10ELNS1_11target_archE1201ELNS1_3gpuE5ELNS1_3repE0EEENS1_47radix_sort_onesweep_sort_config_static_selectorELNS0_4arch9wavefront6targetE1EEEvSD_,"axG",@progbits,_ZN7rocprim17ROCPRIM_400000_NS6detail17trampoline_kernelINS0_14default_configENS1_35radix_sort_onesweep_config_selectorIjyEEZZNS1_29radix_sort_onesweep_iterationIS3_Lb0EPjS7_PyS8_jNS0_19identity_decomposerENS1_16block_id_wrapperIjLb1EEEEE10hipError_tT1_PNSt15iterator_traitsISD_E10value_typeET2_T3_PNSE_ISJ_E10value_typeET4_T5_PSO_SP_PNS1_23onesweep_lookback_stateEbbT6_jjT7_P12ihipStream_tbENKUlT_T0_SD_SI_E_clIS7_S7_S8_S8_EEDaSW_SX_SD_SI_EUlSW_E_NS1_11comp_targetILNS1_3genE10ELNS1_11target_archE1201ELNS1_3gpuE5ELNS1_3repE0EEENS1_47radix_sort_onesweep_sort_config_static_selectorELNS0_4arch9wavefront6targetE1EEEvSD_,comdat
	.protected	_ZN7rocprim17ROCPRIM_400000_NS6detail17trampoline_kernelINS0_14default_configENS1_35radix_sort_onesweep_config_selectorIjyEEZZNS1_29radix_sort_onesweep_iterationIS3_Lb0EPjS7_PyS8_jNS0_19identity_decomposerENS1_16block_id_wrapperIjLb1EEEEE10hipError_tT1_PNSt15iterator_traitsISD_E10value_typeET2_T3_PNSE_ISJ_E10value_typeET4_T5_PSO_SP_PNS1_23onesweep_lookback_stateEbbT6_jjT7_P12ihipStream_tbENKUlT_T0_SD_SI_E_clIS7_S7_S8_S8_EEDaSW_SX_SD_SI_EUlSW_E_NS1_11comp_targetILNS1_3genE10ELNS1_11target_archE1201ELNS1_3gpuE5ELNS1_3repE0EEENS1_47radix_sort_onesweep_sort_config_static_selectorELNS0_4arch9wavefront6targetE1EEEvSD_ ; -- Begin function _ZN7rocprim17ROCPRIM_400000_NS6detail17trampoline_kernelINS0_14default_configENS1_35radix_sort_onesweep_config_selectorIjyEEZZNS1_29radix_sort_onesweep_iterationIS3_Lb0EPjS7_PyS8_jNS0_19identity_decomposerENS1_16block_id_wrapperIjLb1EEEEE10hipError_tT1_PNSt15iterator_traitsISD_E10value_typeET2_T3_PNSE_ISJ_E10value_typeET4_T5_PSO_SP_PNS1_23onesweep_lookback_stateEbbT6_jjT7_P12ihipStream_tbENKUlT_T0_SD_SI_E_clIS7_S7_S8_S8_EEDaSW_SX_SD_SI_EUlSW_E_NS1_11comp_targetILNS1_3genE10ELNS1_11target_archE1201ELNS1_3gpuE5ELNS1_3repE0EEENS1_47radix_sort_onesweep_sort_config_static_selectorELNS0_4arch9wavefront6targetE1EEEvSD_
	.globl	_ZN7rocprim17ROCPRIM_400000_NS6detail17trampoline_kernelINS0_14default_configENS1_35radix_sort_onesweep_config_selectorIjyEEZZNS1_29radix_sort_onesweep_iterationIS3_Lb0EPjS7_PyS8_jNS0_19identity_decomposerENS1_16block_id_wrapperIjLb1EEEEE10hipError_tT1_PNSt15iterator_traitsISD_E10value_typeET2_T3_PNSE_ISJ_E10value_typeET4_T5_PSO_SP_PNS1_23onesweep_lookback_stateEbbT6_jjT7_P12ihipStream_tbENKUlT_T0_SD_SI_E_clIS7_S7_S8_S8_EEDaSW_SX_SD_SI_EUlSW_E_NS1_11comp_targetILNS1_3genE10ELNS1_11target_archE1201ELNS1_3gpuE5ELNS1_3repE0EEENS1_47radix_sort_onesweep_sort_config_static_selectorELNS0_4arch9wavefront6targetE1EEEvSD_
	.p2align	8
	.type	_ZN7rocprim17ROCPRIM_400000_NS6detail17trampoline_kernelINS0_14default_configENS1_35radix_sort_onesweep_config_selectorIjyEEZZNS1_29radix_sort_onesweep_iterationIS3_Lb0EPjS7_PyS8_jNS0_19identity_decomposerENS1_16block_id_wrapperIjLb1EEEEE10hipError_tT1_PNSt15iterator_traitsISD_E10value_typeET2_T3_PNSE_ISJ_E10value_typeET4_T5_PSO_SP_PNS1_23onesweep_lookback_stateEbbT6_jjT7_P12ihipStream_tbENKUlT_T0_SD_SI_E_clIS7_S7_S8_S8_EEDaSW_SX_SD_SI_EUlSW_E_NS1_11comp_targetILNS1_3genE10ELNS1_11target_archE1201ELNS1_3gpuE5ELNS1_3repE0EEENS1_47radix_sort_onesweep_sort_config_static_selectorELNS0_4arch9wavefront6targetE1EEEvSD_,@function
_ZN7rocprim17ROCPRIM_400000_NS6detail17trampoline_kernelINS0_14default_configENS1_35radix_sort_onesweep_config_selectorIjyEEZZNS1_29radix_sort_onesweep_iterationIS3_Lb0EPjS7_PyS8_jNS0_19identity_decomposerENS1_16block_id_wrapperIjLb1EEEEE10hipError_tT1_PNSt15iterator_traitsISD_E10value_typeET2_T3_PNSE_ISJ_E10value_typeET4_T5_PSO_SP_PNS1_23onesweep_lookback_stateEbbT6_jjT7_P12ihipStream_tbENKUlT_T0_SD_SI_E_clIS7_S7_S8_S8_EEDaSW_SX_SD_SI_EUlSW_E_NS1_11comp_targetILNS1_3genE10ELNS1_11target_archE1201ELNS1_3gpuE5ELNS1_3repE0EEENS1_47radix_sort_onesweep_sort_config_static_selectorELNS0_4arch9wavefront6targetE1EEEvSD_: ; @_ZN7rocprim17ROCPRIM_400000_NS6detail17trampoline_kernelINS0_14default_configENS1_35radix_sort_onesweep_config_selectorIjyEEZZNS1_29radix_sort_onesweep_iterationIS3_Lb0EPjS7_PyS8_jNS0_19identity_decomposerENS1_16block_id_wrapperIjLb1EEEEE10hipError_tT1_PNSt15iterator_traitsISD_E10value_typeET2_T3_PNSE_ISJ_E10value_typeET4_T5_PSO_SP_PNS1_23onesweep_lookback_stateEbbT6_jjT7_P12ihipStream_tbENKUlT_T0_SD_SI_E_clIS7_S7_S8_S8_EEDaSW_SX_SD_SI_EUlSW_E_NS1_11comp_targetILNS1_3genE10ELNS1_11target_archE1201ELNS1_3gpuE5ELNS1_3repE0EEENS1_47radix_sort_onesweep_sort_config_static_selectorELNS0_4arch9wavefront6targetE1EEEvSD_
; %bb.0:
	.section	.rodata,"a",@progbits
	.p2align	6, 0x0
	.amdhsa_kernel _ZN7rocprim17ROCPRIM_400000_NS6detail17trampoline_kernelINS0_14default_configENS1_35radix_sort_onesweep_config_selectorIjyEEZZNS1_29radix_sort_onesweep_iterationIS3_Lb0EPjS7_PyS8_jNS0_19identity_decomposerENS1_16block_id_wrapperIjLb1EEEEE10hipError_tT1_PNSt15iterator_traitsISD_E10value_typeET2_T3_PNSE_ISJ_E10value_typeET4_T5_PSO_SP_PNS1_23onesweep_lookback_stateEbbT6_jjT7_P12ihipStream_tbENKUlT_T0_SD_SI_E_clIS7_S7_S8_S8_EEDaSW_SX_SD_SI_EUlSW_E_NS1_11comp_targetILNS1_3genE10ELNS1_11target_archE1201ELNS1_3gpuE5ELNS1_3repE0EEENS1_47radix_sort_onesweep_sort_config_static_selectorELNS0_4arch9wavefront6targetE1EEEvSD_
		.amdhsa_group_segment_fixed_size 0
		.amdhsa_private_segment_fixed_size 0
		.amdhsa_kernarg_size 88
		.amdhsa_user_sgpr_count 6
		.amdhsa_user_sgpr_private_segment_buffer 1
		.amdhsa_user_sgpr_dispatch_ptr 0
		.amdhsa_user_sgpr_queue_ptr 0
		.amdhsa_user_sgpr_kernarg_segment_ptr 1
		.amdhsa_user_sgpr_dispatch_id 0
		.amdhsa_user_sgpr_flat_scratch_init 0
		.amdhsa_user_sgpr_kernarg_preload_length 0
		.amdhsa_user_sgpr_kernarg_preload_offset 0
		.amdhsa_user_sgpr_private_segment_size 0
		.amdhsa_uses_dynamic_stack 0
		.amdhsa_system_sgpr_private_segment_wavefront_offset 0
		.amdhsa_system_sgpr_workgroup_id_x 1
		.amdhsa_system_sgpr_workgroup_id_y 0
		.amdhsa_system_sgpr_workgroup_id_z 0
		.amdhsa_system_sgpr_workgroup_info 0
		.amdhsa_system_vgpr_workitem_id 0
		.amdhsa_next_free_vgpr 1
		.amdhsa_next_free_sgpr 0
		.amdhsa_accum_offset 4
		.amdhsa_reserve_vcc 0
		.amdhsa_reserve_flat_scratch 0
		.amdhsa_float_round_mode_32 0
		.amdhsa_float_round_mode_16_64 0
		.amdhsa_float_denorm_mode_32 3
		.amdhsa_float_denorm_mode_16_64 3
		.amdhsa_dx10_clamp 1
		.amdhsa_ieee_mode 1
		.amdhsa_fp16_overflow 0
		.amdhsa_tg_split 0
		.amdhsa_exception_fp_ieee_invalid_op 0
		.amdhsa_exception_fp_denorm_src 0
		.amdhsa_exception_fp_ieee_div_zero 0
		.amdhsa_exception_fp_ieee_overflow 0
		.amdhsa_exception_fp_ieee_underflow 0
		.amdhsa_exception_fp_ieee_inexact 0
		.amdhsa_exception_int_div_zero 0
	.end_amdhsa_kernel
	.section	.text._ZN7rocprim17ROCPRIM_400000_NS6detail17trampoline_kernelINS0_14default_configENS1_35radix_sort_onesweep_config_selectorIjyEEZZNS1_29radix_sort_onesweep_iterationIS3_Lb0EPjS7_PyS8_jNS0_19identity_decomposerENS1_16block_id_wrapperIjLb1EEEEE10hipError_tT1_PNSt15iterator_traitsISD_E10value_typeET2_T3_PNSE_ISJ_E10value_typeET4_T5_PSO_SP_PNS1_23onesweep_lookback_stateEbbT6_jjT7_P12ihipStream_tbENKUlT_T0_SD_SI_E_clIS7_S7_S8_S8_EEDaSW_SX_SD_SI_EUlSW_E_NS1_11comp_targetILNS1_3genE10ELNS1_11target_archE1201ELNS1_3gpuE5ELNS1_3repE0EEENS1_47radix_sort_onesweep_sort_config_static_selectorELNS0_4arch9wavefront6targetE1EEEvSD_,"axG",@progbits,_ZN7rocprim17ROCPRIM_400000_NS6detail17trampoline_kernelINS0_14default_configENS1_35radix_sort_onesweep_config_selectorIjyEEZZNS1_29radix_sort_onesweep_iterationIS3_Lb0EPjS7_PyS8_jNS0_19identity_decomposerENS1_16block_id_wrapperIjLb1EEEEE10hipError_tT1_PNSt15iterator_traitsISD_E10value_typeET2_T3_PNSE_ISJ_E10value_typeET4_T5_PSO_SP_PNS1_23onesweep_lookback_stateEbbT6_jjT7_P12ihipStream_tbENKUlT_T0_SD_SI_E_clIS7_S7_S8_S8_EEDaSW_SX_SD_SI_EUlSW_E_NS1_11comp_targetILNS1_3genE10ELNS1_11target_archE1201ELNS1_3gpuE5ELNS1_3repE0EEENS1_47radix_sort_onesweep_sort_config_static_selectorELNS0_4arch9wavefront6targetE1EEEvSD_,comdat
.Lfunc_end550:
	.size	_ZN7rocprim17ROCPRIM_400000_NS6detail17trampoline_kernelINS0_14default_configENS1_35radix_sort_onesweep_config_selectorIjyEEZZNS1_29radix_sort_onesweep_iterationIS3_Lb0EPjS7_PyS8_jNS0_19identity_decomposerENS1_16block_id_wrapperIjLb1EEEEE10hipError_tT1_PNSt15iterator_traitsISD_E10value_typeET2_T3_PNSE_ISJ_E10value_typeET4_T5_PSO_SP_PNS1_23onesweep_lookback_stateEbbT6_jjT7_P12ihipStream_tbENKUlT_T0_SD_SI_E_clIS7_S7_S8_S8_EEDaSW_SX_SD_SI_EUlSW_E_NS1_11comp_targetILNS1_3genE10ELNS1_11target_archE1201ELNS1_3gpuE5ELNS1_3repE0EEENS1_47radix_sort_onesweep_sort_config_static_selectorELNS0_4arch9wavefront6targetE1EEEvSD_, .Lfunc_end550-_ZN7rocprim17ROCPRIM_400000_NS6detail17trampoline_kernelINS0_14default_configENS1_35radix_sort_onesweep_config_selectorIjyEEZZNS1_29radix_sort_onesweep_iterationIS3_Lb0EPjS7_PyS8_jNS0_19identity_decomposerENS1_16block_id_wrapperIjLb1EEEEE10hipError_tT1_PNSt15iterator_traitsISD_E10value_typeET2_T3_PNSE_ISJ_E10value_typeET4_T5_PSO_SP_PNS1_23onesweep_lookback_stateEbbT6_jjT7_P12ihipStream_tbENKUlT_T0_SD_SI_E_clIS7_S7_S8_S8_EEDaSW_SX_SD_SI_EUlSW_E_NS1_11comp_targetILNS1_3genE10ELNS1_11target_archE1201ELNS1_3gpuE5ELNS1_3repE0EEENS1_47radix_sort_onesweep_sort_config_static_selectorELNS0_4arch9wavefront6targetE1EEEvSD_
                                        ; -- End function
	.section	.AMDGPU.csdata,"",@progbits
; Kernel info:
; codeLenInByte = 0
; NumSgprs: 4
; NumVgprs: 0
; NumAgprs: 0
; TotalNumVgprs: 0
; ScratchSize: 0
; MemoryBound: 0
; FloatMode: 240
; IeeeMode: 1
; LDSByteSize: 0 bytes/workgroup (compile time only)
; SGPRBlocks: 0
; VGPRBlocks: 0
; NumSGPRsForWavesPerEU: 4
; NumVGPRsForWavesPerEU: 1
; AccumOffset: 4
; Occupancy: 8
; WaveLimiterHint : 0
; COMPUTE_PGM_RSRC2:SCRATCH_EN: 0
; COMPUTE_PGM_RSRC2:USER_SGPR: 6
; COMPUTE_PGM_RSRC2:TRAP_HANDLER: 0
; COMPUTE_PGM_RSRC2:TGID_X_EN: 1
; COMPUTE_PGM_RSRC2:TGID_Y_EN: 0
; COMPUTE_PGM_RSRC2:TGID_Z_EN: 0
; COMPUTE_PGM_RSRC2:TIDIG_COMP_CNT: 0
; COMPUTE_PGM_RSRC3_GFX90A:ACCUM_OFFSET: 0
; COMPUTE_PGM_RSRC3_GFX90A:TG_SPLIT: 0
	.section	.text._ZN7rocprim17ROCPRIM_400000_NS6detail17trampoline_kernelINS0_14default_configENS1_35radix_sort_onesweep_config_selectorIjyEEZZNS1_29radix_sort_onesweep_iterationIS3_Lb0EPjS7_PyS8_jNS0_19identity_decomposerENS1_16block_id_wrapperIjLb1EEEEE10hipError_tT1_PNSt15iterator_traitsISD_E10value_typeET2_T3_PNSE_ISJ_E10value_typeET4_T5_PSO_SP_PNS1_23onesweep_lookback_stateEbbT6_jjT7_P12ihipStream_tbENKUlT_T0_SD_SI_E_clIS7_S7_S8_S8_EEDaSW_SX_SD_SI_EUlSW_E_NS1_11comp_targetILNS1_3genE9ELNS1_11target_archE1100ELNS1_3gpuE3ELNS1_3repE0EEENS1_47radix_sort_onesweep_sort_config_static_selectorELNS0_4arch9wavefront6targetE1EEEvSD_,"axG",@progbits,_ZN7rocprim17ROCPRIM_400000_NS6detail17trampoline_kernelINS0_14default_configENS1_35radix_sort_onesweep_config_selectorIjyEEZZNS1_29radix_sort_onesweep_iterationIS3_Lb0EPjS7_PyS8_jNS0_19identity_decomposerENS1_16block_id_wrapperIjLb1EEEEE10hipError_tT1_PNSt15iterator_traitsISD_E10value_typeET2_T3_PNSE_ISJ_E10value_typeET4_T5_PSO_SP_PNS1_23onesweep_lookback_stateEbbT6_jjT7_P12ihipStream_tbENKUlT_T0_SD_SI_E_clIS7_S7_S8_S8_EEDaSW_SX_SD_SI_EUlSW_E_NS1_11comp_targetILNS1_3genE9ELNS1_11target_archE1100ELNS1_3gpuE3ELNS1_3repE0EEENS1_47radix_sort_onesweep_sort_config_static_selectorELNS0_4arch9wavefront6targetE1EEEvSD_,comdat
	.protected	_ZN7rocprim17ROCPRIM_400000_NS6detail17trampoline_kernelINS0_14default_configENS1_35radix_sort_onesweep_config_selectorIjyEEZZNS1_29radix_sort_onesweep_iterationIS3_Lb0EPjS7_PyS8_jNS0_19identity_decomposerENS1_16block_id_wrapperIjLb1EEEEE10hipError_tT1_PNSt15iterator_traitsISD_E10value_typeET2_T3_PNSE_ISJ_E10value_typeET4_T5_PSO_SP_PNS1_23onesweep_lookback_stateEbbT6_jjT7_P12ihipStream_tbENKUlT_T0_SD_SI_E_clIS7_S7_S8_S8_EEDaSW_SX_SD_SI_EUlSW_E_NS1_11comp_targetILNS1_3genE9ELNS1_11target_archE1100ELNS1_3gpuE3ELNS1_3repE0EEENS1_47radix_sort_onesweep_sort_config_static_selectorELNS0_4arch9wavefront6targetE1EEEvSD_ ; -- Begin function _ZN7rocprim17ROCPRIM_400000_NS6detail17trampoline_kernelINS0_14default_configENS1_35radix_sort_onesweep_config_selectorIjyEEZZNS1_29radix_sort_onesweep_iterationIS3_Lb0EPjS7_PyS8_jNS0_19identity_decomposerENS1_16block_id_wrapperIjLb1EEEEE10hipError_tT1_PNSt15iterator_traitsISD_E10value_typeET2_T3_PNSE_ISJ_E10value_typeET4_T5_PSO_SP_PNS1_23onesweep_lookback_stateEbbT6_jjT7_P12ihipStream_tbENKUlT_T0_SD_SI_E_clIS7_S7_S8_S8_EEDaSW_SX_SD_SI_EUlSW_E_NS1_11comp_targetILNS1_3genE9ELNS1_11target_archE1100ELNS1_3gpuE3ELNS1_3repE0EEENS1_47radix_sort_onesweep_sort_config_static_selectorELNS0_4arch9wavefront6targetE1EEEvSD_
	.globl	_ZN7rocprim17ROCPRIM_400000_NS6detail17trampoline_kernelINS0_14default_configENS1_35radix_sort_onesweep_config_selectorIjyEEZZNS1_29radix_sort_onesweep_iterationIS3_Lb0EPjS7_PyS8_jNS0_19identity_decomposerENS1_16block_id_wrapperIjLb1EEEEE10hipError_tT1_PNSt15iterator_traitsISD_E10value_typeET2_T3_PNSE_ISJ_E10value_typeET4_T5_PSO_SP_PNS1_23onesweep_lookback_stateEbbT6_jjT7_P12ihipStream_tbENKUlT_T0_SD_SI_E_clIS7_S7_S8_S8_EEDaSW_SX_SD_SI_EUlSW_E_NS1_11comp_targetILNS1_3genE9ELNS1_11target_archE1100ELNS1_3gpuE3ELNS1_3repE0EEENS1_47radix_sort_onesweep_sort_config_static_selectorELNS0_4arch9wavefront6targetE1EEEvSD_
	.p2align	8
	.type	_ZN7rocprim17ROCPRIM_400000_NS6detail17trampoline_kernelINS0_14default_configENS1_35radix_sort_onesweep_config_selectorIjyEEZZNS1_29radix_sort_onesweep_iterationIS3_Lb0EPjS7_PyS8_jNS0_19identity_decomposerENS1_16block_id_wrapperIjLb1EEEEE10hipError_tT1_PNSt15iterator_traitsISD_E10value_typeET2_T3_PNSE_ISJ_E10value_typeET4_T5_PSO_SP_PNS1_23onesweep_lookback_stateEbbT6_jjT7_P12ihipStream_tbENKUlT_T0_SD_SI_E_clIS7_S7_S8_S8_EEDaSW_SX_SD_SI_EUlSW_E_NS1_11comp_targetILNS1_3genE9ELNS1_11target_archE1100ELNS1_3gpuE3ELNS1_3repE0EEENS1_47radix_sort_onesweep_sort_config_static_selectorELNS0_4arch9wavefront6targetE1EEEvSD_,@function
_ZN7rocprim17ROCPRIM_400000_NS6detail17trampoline_kernelINS0_14default_configENS1_35radix_sort_onesweep_config_selectorIjyEEZZNS1_29radix_sort_onesweep_iterationIS3_Lb0EPjS7_PyS8_jNS0_19identity_decomposerENS1_16block_id_wrapperIjLb1EEEEE10hipError_tT1_PNSt15iterator_traitsISD_E10value_typeET2_T3_PNSE_ISJ_E10value_typeET4_T5_PSO_SP_PNS1_23onesweep_lookback_stateEbbT6_jjT7_P12ihipStream_tbENKUlT_T0_SD_SI_E_clIS7_S7_S8_S8_EEDaSW_SX_SD_SI_EUlSW_E_NS1_11comp_targetILNS1_3genE9ELNS1_11target_archE1100ELNS1_3gpuE3ELNS1_3repE0EEENS1_47radix_sort_onesweep_sort_config_static_selectorELNS0_4arch9wavefront6targetE1EEEvSD_: ; @_ZN7rocprim17ROCPRIM_400000_NS6detail17trampoline_kernelINS0_14default_configENS1_35radix_sort_onesweep_config_selectorIjyEEZZNS1_29radix_sort_onesweep_iterationIS3_Lb0EPjS7_PyS8_jNS0_19identity_decomposerENS1_16block_id_wrapperIjLb1EEEEE10hipError_tT1_PNSt15iterator_traitsISD_E10value_typeET2_T3_PNSE_ISJ_E10value_typeET4_T5_PSO_SP_PNS1_23onesweep_lookback_stateEbbT6_jjT7_P12ihipStream_tbENKUlT_T0_SD_SI_E_clIS7_S7_S8_S8_EEDaSW_SX_SD_SI_EUlSW_E_NS1_11comp_targetILNS1_3genE9ELNS1_11target_archE1100ELNS1_3gpuE3ELNS1_3repE0EEENS1_47radix_sort_onesweep_sort_config_static_selectorELNS0_4arch9wavefront6targetE1EEEvSD_
; %bb.0:
	.section	.rodata,"a",@progbits
	.p2align	6, 0x0
	.amdhsa_kernel _ZN7rocprim17ROCPRIM_400000_NS6detail17trampoline_kernelINS0_14default_configENS1_35radix_sort_onesweep_config_selectorIjyEEZZNS1_29radix_sort_onesweep_iterationIS3_Lb0EPjS7_PyS8_jNS0_19identity_decomposerENS1_16block_id_wrapperIjLb1EEEEE10hipError_tT1_PNSt15iterator_traitsISD_E10value_typeET2_T3_PNSE_ISJ_E10value_typeET4_T5_PSO_SP_PNS1_23onesweep_lookback_stateEbbT6_jjT7_P12ihipStream_tbENKUlT_T0_SD_SI_E_clIS7_S7_S8_S8_EEDaSW_SX_SD_SI_EUlSW_E_NS1_11comp_targetILNS1_3genE9ELNS1_11target_archE1100ELNS1_3gpuE3ELNS1_3repE0EEENS1_47radix_sort_onesweep_sort_config_static_selectorELNS0_4arch9wavefront6targetE1EEEvSD_
		.amdhsa_group_segment_fixed_size 0
		.amdhsa_private_segment_fixed_size 0
		.amdhsa_kernarg_size 88
		.amdhsa_user_sgpr_count 6
		.amdhsa_user_sgpr_private_segment_buffer 1
		.amdhsa_user_sgpr_dispatch_ptr 0
		.amdhsa_user_sgpr_queue_ptr 0
		.amdhsa_user_sgpr_kernarg_segment_ptr 1
		.amdhsa_user_sgpr_dispatch_id 0
		.amdhsa_user_sgpr_flat_scratch_init 0
		.amdhsa_user_sgpr_kernarg_preload_length 0
		.amdhsa_user_sgpr_kernarg_preload_offset 0
		.amdhsa_user_sgpr_private_segment_size 0
		.amdhsa_uses_dynamic_stack 0
		.amdhsa_system_sgpr_private_segment_wavefront_offset 0
		.amdhsa_system_sgpr_workgroup_id_x 1
		.amdhsa_system_sgpr_workgroup_id_y 0
		.amdhsa_system_sgpr_workgroup_id_z 0
		.amdhsa_system_sgpr_workgroup_info 0
		.amdhsa_system_vgpr_workitem_id 0
		.amdhsa_next_free_vgpr 1
		.amdhsa_next_free_sgpr 0
		.amdhsa_accum_offset 4
		.amdhsa_reserve_vcc 0
		.amdhsa_reserve_flat_scratch 0
		.amdhsa_float_round_mode_32 0
		.amdhsa_float_round_mode_16_64 0
		.amdhsa_float_denorm_mode_32 3
		.amdhsa_float_denorm_mode_16_64 3
		.amdhsa_dx10_clamp 1
		.amdhsa_ieee_mode 1
		.amdhsa_fp16_overflow 0
		.amdhsa_tg_split 0
		.amdhsa_exception_fp_ieee_invalid_op 0
		.amdhsa_exception_fp_denorm_src 0
		.amdhsa_exception_fp_ieee_div_zero 0
		.amdhsa_exception_fp_ieee_overflow 0
		.amdhsa_exception_fp_ieee_underflow 0
		.amdhsa_exception_fp_ieee_inexact 0
		.amdhsa_exception_int_div_zero 0
	.end_amdhsa_kernel
	.section	.text._ZN7rocprim17ROCPRIM_400000_NS6detail17trampoline_kernelINS0_14default_configENS1_35radix_sort_onesweep_config_selectorIjyEEZZNS1_29radix_sort_onesweep_iterationIS3_Lb0EPjS7_PyS8_jNS0_19identity_decomposerENS1_16block_id_wrapperIjLb1EEEEE10hipError_tT1_PNSt15iterator_traitsISD_E10value_typeET2_T3_PNSE_ISJ_E10value_typeET4_T5_PSO_SP_PNS1_23onesweep_lookback_stateEbbT6_jjT7_P12ihipStream_tbENKUlT_T0_SD_SI_E_clIS7_S7_S8_S8_EEDaSW_SX_SD_SI_EUlSW_E_NS1_11comp_targetILNS1_3genE9ELNS1_11target_archE1100ELNS1_3gpuE3ELNS1_3repE0EEENS1_47radix_sort_onesweep_sort_config_static_selectorELNS0_4arch9wavefront6targetE1EEEvSD_,"axG",@progbits,_ZN7rocprim17ROCPRIM_400000_NS6detail17trampoline_kernelINS0_14default_configENS1_35radix_sort_onesweep_config_selectorIjyEEZZNS1_29radix_sort_onesweep_iterationIS3_Lb0EPjS7_PyS8_jNS0_19identity_decomposerENS1_16block_id_wrapperIjLb1EEEEE10hipError_tT1_PNSt15iterator_traitsISD_E10value_typeET2_T3_PNSE_ISJ_E10value_typeET4_T5_PSO_SP_PNS1_23onesweep_lookback_stateEbbT6_jjT7_P12ihipStream_tbENKUlT_T0_SD_SI_E_clIS7_S7_S8_S8_EEDaSW_SX_SD_SI_EUlSW_E_NS1_11comp_targetILNS1_3genE9ELNS1_11target_archE1100ELNS1_3gpuE3ELNS1_3repE0EEENS1_47radix_sort_onesweep_sort_config_static_selectorELNS0_4arch9wavefront6targetE1EEEvSD_,comdat
.Lfunc_end551:
	.size	_ZN7rocprim17ROCPRIM_400000_NS6detail17trampoline_kernelINS0_14default_configENS1_35radix_sort_onesweep_config_selectorIjyEEZZNS1_29radix_sort_onesweep_iterationIS3_Lb0EPjS7_PyS8_jNS0_19identity_decomposerENS1_16block_id_wrapperIjLb1EEEEE10hipError_tT1_PNSt15iterator_traitsISD_E10value_typeET2_T3_PNSE_ISJ_E10value_typeET4_T5_PSO_SP_PNS1_23onesweep_lookback_stateEbbT6_jjT7_P12ihipStream_tbENKUlT_T0_SD_SI_E_clIS7_S7_S8_S8_EEDaSW_SX_SD_SI_EUlSW_E_NS1_11comp_targetILNS1_3genE9ELNS1_11target_archE1100ELNS1_3gpuE3ELNS1_3repE0EEENS1_47radix_sort_onesweep_sort_config_static_selectorELNS0_4arch9wavefront6targetE1EEEvSD_, .Lfunc_end551-_ZN7rocprim17ROCPRIM_400000_NS6detail17trampoline_kernelINS0_14default_configENS1_35radix_sort_onesweep_config_selectorIjyEEZZNS1_29radix_sort_onesweep_iterationIS3_Lb0EPjS7_PyS8_jNS0_19identity_decomposerENS1_16block_id_wrapperIjLb1EEEEE10hipError_tT1_PNSt15iterator_traitsISD_E10value_typeET2_T3_PNSE_ISJ_E10value_typeET4_T5_PSO_SP_PNS1_23onesweep_lookback_stateEbbT6_jjT7_P12ihipStream_tbENKUlT_T0_SD_SI_E_clIS7_S7_S8_S8_EEDaSW_SX_SD_SI_EUlSW_E_NS1_11comp_targetILNS1_3genE9ELNS1_11target_archE1100ELNS1_3gpuE3ELNS1_3repE0EEENS1_47radix_sort_onesweep_sort_config_static_selectorELNS0_4arch9wavefront6targetE1EEEvSD_
                                        ; -- End function
	.section	.AMDGPU.csdata,"",@progbits
; Kernel info:
; codeLenInByte = 0
; NumSgprs: 4
; NumVgprs: 0
; NumAgprs: 0
; TotalNumVgprs: 0
; ScratchSize: 0
; MemoryBound: 0
; FloatMode: 240
; IeeeMode: 1
; LDSByteSize: 0 bytes/workgroup (compile time only)
; SGPRBlocks: 0
; VGPRBlocks: 0
; NumSGPRsForWavesPerEU: 4
; NumVGPRsForWavesPerEU: 1
; AccumOffset: 4
; Occupancy: 8
; WaveLimiterHint : 0
; COMPUTE_PGM_RSRC2:SCRATCH_EN: 0
; COMPUTE_PGM_RSRC2:USER_SGPR: 6
; COMPUTE_PGM_RSRC2:TRAP_HANDLER: 0
; COMPUTE_PGM_RSRC2:TGID_X_EN: 1
; COMPUTE_PGM_RSRC2:TGID_Y_EN: 0
; COMPUTE_PGM_RSRC2:TGID_Z_EN: 0
; COMPUTE_PGM_RSRC2:TIDIG_COMP_CNT: 0
; COMPUTE_PGM_RSRC3_GFX90A:ACCUM_OFFSET: 0
; COMPUTE_PGM_RSRC3_GFX90A:TG_SPLIT: 0
	.section	.text._ZN7rocprim17ROCPRIM_400000_NS6detail17trampoline_kernelINS0_14default_configENS1_35radix_sort_onesweep_config_selectorIjyEEZZNS1_29radix_sort_onesweep_iterationIS3_Lb0EPjS7_PyS8_jNS0_19identity_decomposerENS1_16block_id_wrapperIjLb1EEEEE10hipError_tT1_PNSt15iterator_traitsISD_E10value_typeET2_T3_PNSE_ISJ_E10value_typeET4_T5_PSO_SP_PNS1_23onesweep_lookback_stateEbbT6_jjT7_P12ihipStream_tbENKUlT_T0_SD_SI_E_clIS7_S7_S8_S8_EEDaSW_SX_SD_SI_EUlSW_E_NS1_11comp_targetILNS1_3genE8ELNS1_11target_archE1030ELNS1_3gpuE2ELNS1_3repE0EEENS1_47radix_sort_onesweep_sort_config_static_selectorELNS0_4arch9wavefront6targetE1EEEvSD_,"axG",@progbits,_ZN7rocprim17ROCPRIM_400000_NS6detail17trampoline_kernelINS0_14default_configENS1_35radix_sort_onesweep_config_selectorIjyEEZZNS1_29radix_sort_onesweep_iterationIS3_Lb0EPjS7_PyS8_jNS0_19identity_decomposerENS1_16block_id_wrapperIjLb1EEEEE10hipError_tT1_PNSt15iterator_traitsISD_E10value_typeET2_T3_PNSE_ISJ_E10value_typeET4_T5_PSO_SP_PNS1_23onesweep_lookback_stateEbbT6_jjT7_P12ihipStream_tbENKUlT_T0_SD_SI_E_clIS7_S7_S8_S8_EEDaSW_SX_SD_SI_EUlSW_E_NS1_11comp_targetILNS1_3genE8ELNS1_11target_archE1030ELNS1_3gpuE2ELNS1_3repE0EEENS1_47radix_sort_onesweep_sort_config_static_selectorELNS0_4arch9wavefront6targetE1EEEvSD_,comdat
	.protected	_ZN7rocprim17ROCPRIM_400000_NS6detail17trampoline_kernelINS0_14default_configENS1_35radix_sort_onesweep_config_selectorIjyEEZZNS1_29radix_sort_onesweep_iterationIS3_Lb0EPjS7_PyS8_jNS0_19identity_decomposerENS1_16block_id_wrapperIjLb1EEEEE10hipError_tT1_PNSt15iterator_traitsISD_E10value_typeET2_T3_PNSE_ISJ_E10value_typeET4_T5_PSO_SP_PNS1_23onesweep_lookback_stateEbbT6_jjT7_P12ihipStream_tbENKUlT_T0_SD_SI_E_clIS7_S7_S8_S8_EEDaSW_SX_SD_SI_EUlSW_E_NS1_11comp_targetILNS1_3genE8ELNS1_11target_archE1030ELNS1_3gpuE2ELNS1_3repE0EEENS1_47radix_sort_onesweep_sort_config_static_selectorELNS0_4arch9wavefront6targetE1EEEvSD_ ; -- Begin function _ZN7rocprim17ROCPRIM_400000_NS6detail17trampoline_kernelINS0_14default_configENS1_35radix_sort_onesweep_config_selectorIjyEEZZNS1_29radix_sort_onesweep_iterationIS3_Lb0EPjS7_PyS8_jNS0_19identity_decomposerENS1_16block_id_wrapperIjLb1EEEEE10hipError_tT1_PNSt15iterator_traitsISD_E10value_typeET2_T3_PNSE_ISJ_E10value_typeET4_T5_PSO_SP_PNS1_23onesweep_lookback_stateEbbT6_jjT7_P12ihipStream_tbENKUlT_T0_SD_SI_E_clIS7_S7_S8_S8_EEDaSW_SX_SD_SI_EUlSW_E_NS1_11comp_targetILNS1_3genE8ELNS1_11target_archE1030ELNS1_3gpuE2ELNS1_3repE0EEENS1_47radix_sort_onesweep_sort_config_static_selectorELNS0_4arch9wavefront6targetE1EEEvSD_
	.globl	_ZN7rocprim17ROCPRIM_400000_NS6detail17trampoline_kernelINS0_14default_configENS1_35radix_sort_onesweep_config_selectorIjyEEZZNS1_29radix_sort_onesweep_iterationIS3_Lb0EPjS7_PyS8_jNS0_19identity_decomposerENS1_16block_id_wrapperIjLb1EEEEE10hipError_tT1_PNSt15iterator_traitsISD_E10value_typeET2_T3_PNSE_ISJ_E10value_typeET4_T5_PSO_SP_PNS1_23onesweep_lookback_stateEbbT6_jjT7_P12ihipStream_tbENKUlT_T0_SD_SI_E_clIS7_S7_S8_S8_EEDaSW_SX_SD_SI_EUlSW_E_NS1_11comp_targetILNS1_3genE8ELNS1_11target_archE1030ELNS1_3gpuE2ELNS1_3repE0EEENS1_47radix_sort_onesweep_sort_config_static_selectorELNS0_4arch9wavefront6targetE1EEEvSD_
	.p2align	8
	.type	_ZN7rocprim17ROCPRIM_400000_NS6detail17trampoline_kernelINS0_14default_configENS1_35radix_sort_onesweep_config_selectorIjyEEZZNS1_29radix_sort_onesweep_iterationIS3_Lb0EPjS7_PyS8_jNS0_19identity_decomposerENS1_16block_id_wrapperIjLb1EEEEE10hipError_tT1_PNSt15iterator_traitsISD_E10value_typeET2_T3_PNSE_ISJ_E10value_typeET4_T5_PSO_SP_PNS1_23onesweep_lookback_stateEbbT6_jjT7_P12ihipStream_tbENKUlT_T0_SD_SI_E_clIS7_S7_S8_S8_EEDaSW_SX_SD_SI_EUlSW_E_NS1_11comp_targetILNS1_3genE8ELNS1_11target_archE1030ELNS1_3gpuE2ELNS1_3repE0EEENS1_47radix_sort_onesweep_sort_config_static_selectorELNS0_4arch9wavefront6targetE1EEEvSD_,@function
_ZN7rocprim17ROCPRIM_400000_NS6detail17trampoline_kernelINS0_14default_configENS1_35radix_sort_onesweep_config_selectorIjyEEZZNS1_29radix_sort_onesweep_iterationIS3_Lb0EPjS7_PyS8_jNS0_19identity_decomposerENS1_16block_id_wrapperIjLb1EEEEE10hipError_tT1_PNSt15iterator_traitsISD_E10value_typeET2_T3_PNSE_ISJ_E10value_typeET4_T5_PSO_SP_PNS1_23onesweep_lookback_stateEbbT6_jjT7_P12ihipStream_tbENKUlT_T0_SD_SI_E_clIS7_S7_S8_S8_EEDaSW_SX_SD_SI_EUlSW_E_NS1_11comp_targetILNS1_3genE8ELNS1_11target_archE1030ELNS1_3gpuE2ELNS1_3repE0EEENS1_47radix_sort_onesweep_sort_config_static_selectorELNS0_4arch9wavefront6targetE1EEEvSD_: ; @_ZN7rocprim17ROCPRIM_400000_NS6detail17trampoline_kernelINS0_14default_configENS1_35radix_sort_onesweep_config_selectorIjyEEZZNS1_29radix_sort_onesweep_iterationIS3_Lb0EPjS7_PyS8_jNS0_19identity_decomposerENS1_16block_id_wrapperIjLb1EEEEE10hipError_tT1_PNSt15iterator_traitsISD_E10value_typeET2_T3_PNSE_ISJ_E10value_typeET4_T5_PSO_SP_PNS1_23onesweep_lookback_stateEbbT6_jjT7_P12ihipStream_tbENKUlT_T0_SD_SI_E_clIS7_S7_S8_S8_EEDaSW_SX_SD_SI_EUlSW_E_NS1_11comp_targetILNS1_3genE8ELNS1_11target_archE1030ELNS1_3gpuE2ELNS1_3repE0EEENS1_47radix_sort_onesweep_sort_config_static_selectorELNS0_4arch9wavefront6targetE1EEEvSD_
; %bb.0:
	.section	.rodata,"a",@progbits
	.p2align	6, 0x0
	.amdhsa_kernel _ZN7rocprim17ROCPRIM_400000_NS6detail17trampoline_kernelINS0_14default_configENS1_35radix_sort_onesweep_config_selectorIjyEEZZNS1_29radix_sort_onesweep_iterationIS3_Lb0EPjS7_PyS8_jNS0_19identity_decomposerENS1_16block_id_wrapperIjLb1EEEEE10hipError_tT1_PNSt15iterator_traitsISD_E10value_typeET2_T3_PNSE_ISJ_E10value_typeET4_T5_PSO_SP_PNS1_23onesweep_lookback_stateEbbT6_jjT7_P12ihipStream_tbENKUlT_T0_SD_SI_E_clIS7_S7_S8_S8_EEDaSW_SX_SD_SI_EUlSW_E_NS1_11comp_targetILNS1_3genE8ELNS1_11target_archE1030ELNS1_3gpuE2ELNS1_3repE0EEENS1_47radix_sort_onesweep_sort_config_static_selectorELNS0_4arch9wavefront6targetE1EEEvSD_
		.amdhsa_group_segment_fixed_size 0
		.amdhsa_private_segment_fixed_size 0
		.amdhsa_kernarg_size 88
		.amdhsa_user_sgpr_count 6
		.amdhsa_user_sgpr_private_segment_buffer 1
		.amdhsa_user_sgpr_dispatch_ptr 0
		.amdhsa_user_sgpr_queue_ptr 0
		.amdhsa_user_sgpr_kernarg_segment_ptr 1
		.amdhsa_user_sgpr_dispatch_id 0
		.amdhsa_user_sgpr_flat_scratch_init 0
		.amdhsa_user_sgpr_kernarg_preload_length 0
		.amdhsa_user_sgpr_kernarg_preload_offset 0
		.amdhsa_user_sgpr_private_segment_size 0
		.amdhsa_uses_dynamic_stack 0
		.amdhsa_system_sgpr_private_segment_wavefront_offset 0
		.amdhsa_system_sgpr_workgroup_id_x 1
		.amdhsa_system_sgpr_workgroup_id_y 0
		.amdhsa_system_sgpr_workgroup_id_z 0
		.amdhsa_system_sgpr_workgroup_info 0
		.amdhsa_system_vgpr_workitem_id 0
		.amdhsa_next_free_vgpr 1
		.amdhsa_next_free_sgpr 0
		.amdhsa_accum_offset 4
		.amdhsa_reserve_vcc 0
		.amdhsa_reserve_flat_scratch 0
		.amdhsa_float_round_mode_32 0
		.amdhsa_float_round_mode_16_64 0
		.amdhsa_float_denorm_mode_32 3
		.amdhsa_float_denorm_mode_16_64 3
		.amdhsa_dx10_clamp 1
		.amdhsa_ieee_mode 1
		.amdhsa_fp16_overflow 0
		.amdhsa_tg_split 0
		.amdhsa_exception_fp_ieee_invalid_op 0
		.amdhsa_exception_fp_denorm_src 0
		.amdhsa_exception_fp_ieee_div_zero 0
		.amdhsa_exception_fp_ieee_overflow 0
		.amdhsa_exception_fp_ieee_underflow 0
		.amdhsa_exception_fp_ieee_inexact 0
		.amdhsa_exception_int_div_zero 0
	.end_amdhsa_kernel
	.section	.text._ZN7rocprim17ROCPRIM_400000_NS6detail17trampoline_kernelINS0_14default_configENS1_35radix_sort_onesweep_config_selectorIjyEEZZNS1_29radix_sort_onesweep_iterationIS3_Lb0EPjS7_PyS8_jNS0_19identity_decomposerENS1_16block_id_wrapperIjLb1EEEEE10hipError_tT1_PNSt15iterator_traitsISD_E10value_typeET2_T3_PNSE_ISJ_E10value_typeET4_T5_PSO_SP_PNS1_23onesweep_lookback_stateEbbT6_jjT7_P12ihipStream_tbENKUlT_T0_SD_SI_E_clIS7_S7_S8_S8_EEDaSW_SX_SD_SI_EUlSW_E_NS1_11comp_targetILNS1_3genE8ELNS1_11target_archE1030ELNS1_3gpuE2ELNS1_3repE0EEENS1_47radix_sort_onesweep_sort_config_static_selectorELNS0_4arch9wavefront6targetE1EEEvSD_,"axG",@progbits,_ZN7rocprim17ROCPRIM_400000_NS6detail17trampoline_kernelINS0_14default_configENS1_35radix_sort_onesweep_config_selectorIjyEEZZNS1_29radix_sort_onesweep_iterationIS3_Lb0EPjS7_PyS8_jNS0_19identity_decomposerENS1_16block_id_wrapperIjLb1EEEEE10hipError_tT1_PNSt15iterator_traitsISD_E10value_typeET2_T3_PNSE_ISJ_E10value_typeET4_T5_PSO_SP_PNS1_23onesweep_lookback_stateEbbT6_jjT7_P12ihipStream_tbENKUlT_T0_SD_SI_E_clIS7_S7_S8_S8_EEDaSW_SX_SD_SI_EUlSW_E_NS1_11comp_targetILNS1_3genE8ELNS1_11target_archE1030ELNS1_3gpuE2ELNS1_3repE0EEENS1_47radix_sort_onesweep_sort_config_static_selectorELNS0_4arch9wavefront6targetE1EEEvSD_,comdat
.Lfunc_end552:
	.size	_ZN7rocprim17ROCPRIM_400000_NS6detail17trampoline_kernelINS0_14default_configENS1_35radix_sort_onesweep_config_selectorIjyEEZZNS1_29radix_sort_onesweep_iterationIS3_Lb0EPjS7_PyS8_jNS0_19identity_decomposerENS1_16block_id_wrapperIjLb1EEEEE10hipError_tT1_PNSt15iterator_traitsISD_E10value_typeET2_T3_PNSE_ISJ_E10value_typeET4_T5_PSO_SP_PNS1_23onesweep_lookback_stateEbbT6_jjT7_P12ihipStream_tbENKUlT_T0_SD_SI_E_clIS7_S7_S8_S8_EEDaSW_SX_SD_SI_EUlSW_E_NS1_11comp_targetILNS1_3genE8ELNS1_11target_archE1030ELNS1_3gpuE2ELNS1_3repE0EEENS1_47radix_sort_onesweep_sort_config_static_selectorELNS0_4arch9wavefront6targetE1EEEvSD_, .Lfunc_end552-_ZN7rocprim17ROCPRIM_400000_NS6detail17trampoline_kernelINS0_14default_configENS1_35radix_sort_onesweep_config_selectorIjyEEZZNS1_29radix_sort_onesweep_iterationIS3_Lb0EPjS7_PyS8_jNS0_19identity_decomposerENS1_16block_id_wrapperIjLb1EEEEE10hipError_tT1_PNSt15iterator_traitsISD_E10value_typeET2_T3_PNSE_ISJ_E10value_typeET4_T5_PSO_SP_PNS1_23onesweep_lookback_stateEbbT6_jjT7_P12ihipStream_tbENKUlT_T0_SD_SI_E_clIS7_S7_S8_S8_EEDaSW_SX_SD_SI_EUlSW_E_NS1_11comp_targetILNS1_3genE8ELNS1_11target_archE1030ELNS1_3gpuE2ELNS1_3repE0EEENS1_47radix_sort_onesweep_sort_config_static_selectorELNS0_4arch9wavefront6targetE1EEEvSD_
                                        ; -- End function
	.section	.AMDGPU.csdata,"",@progbits
; Kernel info:
; codeLenInByte = 0
; NumSgprs: 4
; NumVgprs: 0
; NumAgprs: 0
; TotalNumVgprs: 0
; ScratchSize: 0
; MemoryBound: 0
; FloatMode: 240
; IeeeMode: 1
; LDSByteSize: 0 bytes/workgroup (compile time only)
; SGPRBlocks: 0
; VGPRBlocks: 0
; NumSGPRsForWavesPerEU: 4
; NumVGPRsForWavesPerEU: 1
; AccumOffset: 4
; Occupancy: 8
; WaveLimiterHint : 0
; COMPUTE_PGM_RSRC2:SCRATCH_EN: 0
; COMPUTE_PGM_RSRC2:USER_SGPR: 6
; COMPUTE_PGM_RSRC2:TRAP_HANDLER: 0
; COMPUTE_PGM_RSRC2:TGID_X_EN: 1
; COMPUTE_PGM_RSRC2:TGID_Y_EN: 0
; COMPUTE_PGM_RSRC2:TGID_Z_EN: 0
; COMPUTE_PGM_RSRC2:TIDIG_COMP_CNT: 0
; COMPUTE_PGM_RSRC3_GFX90A:ACCUM_OFFSET: 0
; COMPUTE_PGM_RSRC3_GFX90A:TG_SPLIT: 0
	.section	.text._ZN7rocprim17ROCPRIM_400000_NS6detail17trampoline_kernelINS0_14default_configENS1_35radix_sort_onesweep_config_selectorIjyEEZZNS1_29radix_sort_onesweep_iterationIS3_Lb0EPjS7_PyS8_jNS0_19identity_decomposerENS1_16block_id_wrapperIjLb0EEEEE10hipError_tT1_PNSt15iterator_traitsISD_E10value_typeET2_T3_PNSE_ISJ_E10value_typeET4_T5_PSO_SP_PNS1_23onesweep_lookback_stateEbbT6_jjT7_P12ihipStream_tbENKUlT_T0_SD_SI_E_clIS7_S7_S8_S8_EEDaSW_SX_SD_SI_EUlSW_E_NS1_11comp_targetILNS1_3genE0ELNS1_11target_archE4294967295ELNS1_3gpuE0ELNS1_3repE0EEENS1_47radix_sort_onesweep_sort_config_static_selectorELNS0_4arch9wavefront6targetE1EEEvSD_,"axG",@progbits,_ZN7rocprim17ROCPRIM_400000_NS6detail17trampoline_kernelINS0_14default_configENS1_35radix_sort_onesweep_config_selectorIjyEEZZNS1_29radix_sort_onesweep_iterationIS3_Lb0EPjS7_PyS8_jNS0_19identity_decomposerENS1_16block_id_wrapperIjLb0EEEEE10hipError_tT1_PNSt15iterator_traitsISD_E10value_typeET2_T3_PNSE_ISJ_E10value_typeET4_T5_PSO_SP_PNS1_23onesweep_lookback_stateEbbT6_jjT7_P12ihipStream_tbENKUlT_T0_SD_SI_E_clIS7_S7_S8_S8_EEDaSW_SX_SD_SI_EUlSW_E_NS1_11comp_targetILNS1_3genE0ELNS1_11target_archE4294967295ELNS1_3gpuE0ELNS1_3repE0EEENS1_47radix_sort_onesweep_sort_config_static_selectorELNS0_4arch9wavefront6targetE1EEEvSD_,comdat
	.protected	_ZN7rocprim17ROCPRIM_400000_NS6detail17trampoline_kernelINS0_14default_configENS1_35radix_sort_onesweep_config_selectorIjyEEZZNS1_29radix_sort_onesweep_iterationIS3_Lb0EPjS7_PyS8_jNS0_19identity_decomposerENS1_16block_id_wrapperIjLb0EEEEE10hipError_tT1_PNSt15iterator_traitsISD_E10value_typeET2_T3_PNSE_ISJ_E10value_typeET4_T5_PSO_SP_PNS1_23onesweep_lookback_stateEbbT6_jjT7_P12ihipStream_tbENKUlT_T0_SD_SI_E_clIS7_S7_S8_S8_EEDaSW_SX_SD_SI_EUlSW_E_NS1_11comp_targetILNS1_3genE0ELNS1_11target_archE4294967295ELNS1_3gpuE0ELNS1_3repE0EEENS1_47radix_sort_onesweep_sort_config_static_selectorELNS0_4arch9wavefront6targetE1EEEvSD_ ; -- Begin function _ZN7rocprim17ROCPRIM_400000_NS6detail17trampoline_kernelINS0_14default_configENS1_35radix_sort_onesweep_config_selectorIjyEEZZNS1_29radix_sort_onesweep_iterationIS3_Lb0EPjS7_PyS8_jNS0_19identity_decomposerENS1_16block_id_wrapperIjLb0EEEEE10hipError_tT1_PNSt15iterator_traitsISD_E10value_typeET2_T3_PNSE_ISJ_E10value_typeET4_T5_PSO_SP_PNS1_23onesweep_lookback_stateEbbT6_jjT7_P12ihipStream_tbENKUlT_T0_SD_SI_E_clIS7_S7_S8_S8_EEDaSW_SX_SD_SI_EUlSW_E_NS1_11comp_targetILNS1_3genE0ELNS1_11target_archE4294967295ELNS1_3gpuE0ELNS1_3repE0EEENS1_47radix_sort_onesweep_sort_config_static_selectorELNS0_4arch9wavefront6targetE1EEEvSD_
	.globl	_ZN7rocprim17ROCPRIM_400000_NS6detail17trampoline_kernelINS0_14default_configENS1_35radix_sort_onesweep_config_selectorIjyEEZZNS1_29radix_sort_onesweep_iterationIS3_Lb0EPjS7_PyS8_jNS0_19identity_decomposerENS1_16block_id_wrapperIjLb0EEEEE10hipError_tT1_PNSt15iterator_traitsISD_E10value_typeET2_T3_PNSE_ISJ_E10value_typeET4_T5_PSO_SP_PNS1_23onesweep_lookback_stateEbbT6_jjT7_P12ihipStream_tbENKUlT_T0_SD_SI_E_clIS7_S7_S8_S8_EEDaSW_SX_SD_SI_EUlSW_E_NS1_11comp_targetILNS1_3genE0ELNS1_11target_archE4294967295ELNS1_3gpuE0ELNS1_3repE0EEENS1_47radix_sort_onesweep_sort_config_static_selectorELNS0_4arch9wavefront6targetE1EEEvSD_
	.p2align	8
	.type	_ZN7rocprim17ROCPRIM_400000_NS6detail17trampoline_kernelINS0_14default_configENS1_35radix_sort_onesweep_config_selectorIjyEEZZNS1_29radix_sort_onesweep_iterationIS3_Lb0EPjS7_PyS8_jNS0_19identity_decomposerENS1_16block_id_wrapperIjLb0EEEEE10hipError_tT1_PNSt15iterator_traitsISD_E10value_typeET2_T3_PNSE_ISJ_E10value_typeET4_T5_PSO_SP_PNS1_23onesweep_lookback_stateEbbT6_jjT7_P12ihipStream_tbENKUlT_T0_SD_SI_E_clIS7_S7_S8_S8_EEDaSW_SX_SD_SI_EUlSW_E_NS1_11comp_targetILNS1_3genE0ELNS1_11target_archE4294967295ELNS1_3gpuE0ELNS1_3repE0EEENS1_47radix_sort_onesweep_sort_config_static_selectorELNS0_4arch9wavefront6targetE1EEEvSD_,@function
_ZN7rocprim17ROCPRIM_400000_NS6detail17trampoline_kernelINS0_14default_configENS1_35radix_sort_onesweep_config_selectorIjyEEZZNS1_29radix_sort_onesweep_iterationIS3_Lb0EPjS7_PyS8_jNS0_19identity_decomposerENS1_16block_id_wrapperIjLb0EEEEE10hipError_tT1_PNSt15iterator_traitsISD_E10value_typeET2_T3_PNSE_ISJ_E10value_typeET4_T5_PSO_SP_PNS1_23onesweep_lookback_stateEbbT6_jjT7_P12ihipStream_tbENKUlT_T0_SD_SI_E_clIS7_S7_S8_S8_EEDaSW_SX_SD_SI_EUlSW_E_NS1_11comp_targetILNS1_3genE0ELNS1_11target_archE4294967295ELNS1_3gpuE0ELNS1_3repE0EEENS1_47radix_sort_onesweep_sort_config_static_selectorELNS0_4arch9wavefront6targetE1EEEvSD_: ; @_ZN7rocprim17ROCPRIM_400000_NS6detail17trampoline_kernelINS0_14default_configENS1_35radix_sort_onesweep_config_selectorIjyEEZZNS1_29radix_sort_onesweep_iterationIS3_Lb0EPjS7_PyS8_jNS0_19identity_decomposerENS1_16block_id_wrapperIjLb0EEEEE10hipError_tT1_PNSt15iterator_traitsISD_E10value_typeET2_T3_PNSE_ISJ_E10value_typeET4_T5_PSO_SP_PNS1_23onesweep_lookback_stateEbbT6_jjT7_P12ihipStream_tbENKUlT_T0_SD_SI_E_clIS7_S7_S8_S8_EEDaSW_SX_SD_SI_EUlSW_E_NS1_11comp_targetILNS1_3genE0ELNS1_11target_archE4294967295ELNS1_3gpuE0ELNS1_3repE0EEENS1_47radix_sort_onesweep_sort_config_static_selectorELNS0_4arch9wavefront6targetE1EEEvSD_
; %bb.0:
	.section	.rodata,"a",@progbits
	.p2align	6, 0x0
	.amdhsa_kernel _ZN7rocprim17ROCPRIM_400000_NS6detail17trampoline_kernelINS0_14default_configENS1_35radix_sort_onesweep_config_selectorIjyEEZZNS1_29radix_sort_onesweep_iterationIS3_Lb0EPjS7_PyS8_jNS0_19identity_decomposerENS1_16block_id_wrapperIjLb0EEEEE10hipError_tT1_PNSt15iterator_traitsISD_E10value_typeET2_T3_PNSE_ISJ_E10value_typeET4_T5_PSO_SP_PNS1_23onesweep_lookback_stateEbbT6_jjT7_P12ihipStream_tbENKUlT_T0_SD_SI_E_clIS7_S7_S8_S8_EEDaSW_SX_SD_SI_EUlSW_E_NS1_11comp_targetILNS1_3genE0ELNS1_11target_archE4294967295ELNS1_3gpuE0ELNS1_3repE0EEENS1_47radix_sort_onesweep_sort_config_static_selectorELNS0_4arch9wavefront6targetE1EEEvSD_
		.amdhsa_group_segment_fixed_size 0
		.amdhsa_private_segment_fixed_size 0
		.amdhsa_kernarg_size 88
		.amdhsa_user_sgpr_count 6
		.amdhsa_user_sgpr_private_segment_buffer 1
		.amdhsa_user_sgpr_dispatch_ptr 0
		.amdhsa_user_sgpr_queue_ptr 0
		.amdhsa_user_sgpr_kernarg_segment_ptr 1
		.amdhsa_user_sgpr_dispatch_id 0
		.amdhsa_user_sgpr_flat_scratch_init 0
		.amdhsa_user_sgpr_kernarg_preload_length 0
		.amdhsa_user_sgpr_kernarg_preload_offset 0
		.amdhsa_user_sgpr_private_segment_size 0
		.amdhsa_uses_dynamic_stack 0
		.amdhsa_system_sgpr_private_segment_wavefront_offset 0
		.amdhsa_system_sgpr_workgroup_id_x 1
		.amdhsa_system_sgpr_workgroup_id_y 0
		.amdhsa_system_sgpr_workgroup_id_z 0
		.amdhsa_system_sgpr_workgroup_info 0
		.amdhsa_system_vgpr_workitem_id 0
		.amdhsa_next_free_vgpr 1
		.amdhsa_next_free_sgpr 0
		.amdhsa_accum_offset 4
		.amdhsa_reserve_vcc 0
		.amdhsa_reserve_flat_scratch 0
		.amdhsa_float_round_mode_32 0
		.amdhsa_float_round_mode_16_64 0
		.amdhsa_float_denorm_mode_32 3
		.amdhsa_float_denorm_mode_16_64 3
		.amdhsa_dx10_clamp 1
		.amdhsa_ieee_mode 1
		.amdhsa_fp16_overflow 0
		.amdhsa_tg_split 0
		.amdhsa_exception_fp_ieee_invalid_op 0
		.amdhsa_exception_fp_denorm_src 0
		.amdhsa_exception_fp_ieee_div_zero 0
		.amdhsa_exception_fp_ieee_overflow 0
		.amdhsa_exception_fp_ieee_underflow 0
		.amdhsa_exception_fp_ieee_inexact 0
		.amdhsa_exception_int_div_zero 0
	.end_amdhsa_kernel
	.section	.text._ZN7rocprim17ROCPRIM_400000_NS6detail17trampoline_kernelINS0_14default_configENS1_35radix_sort_onesweep_config_selectorIjyEEZZNS1_29radix_sort_onesweep_iterationIS3_Lb0EPjS7_PyS8_jNS0_19identity_decomposerENS1_16block_id_wrapperIjLb0EEEEE10hipError_tT1_PNSt15iterator_traitsISD_E10value_typeET2_T3_PNSE_ISJ_E10value_typeET4_T5_PSO_SP_PNS1_23onesweep_lookback_stateEbbT6_jjT7_P12ihipStream_tbENKUlT_T0_SD_SI_E_clIS7_S7_S8_S8_EEDaSW_SX_SD_SI_EUlSW_E_NS1_11comp_targetILNS1_3genE0ELNS1_11target_archE4294967295ELNS1_3gpuE0ELNS1_3repE0EEENS1_47radix_sort_onesweep_sort_config_static_selectorELNS0_4arch9wavefront6targetE1EEEvSD_,"axG",@progbits,_ZN7rocprim17ROCPRIM_400000_NS6detail17trampoline_kernelINS0_14default_configENS1_35radix_sort_onesweep_config_selectorIjyEEZZNS1_29radix_sort_onesweep_iterationIS3_Lb0EPjS7_PyS8_jNS0_19identity_decomposerENS1_16block_id_wrapperIjLb0EEEEE10hipError_tT1_PNSt15iterator_traitsISD_E10value_typeET2_T3_PNSE_ISJ_E10value_typeET4_T5_PSO_SP_PNS1_23onesweep_lookback_stateEbbT6_jjT7_P12ihipStream_tbENKUlT_T0_SD_SI_E_clIS7_S7_S8_S8_EEDaSW_SX_SD_SI_EUlSW_E_NS1_11comp_targetILNS1_3genE0ELNS1_11target_archE4294967295ELNS1_3gpuE0ELNS1_3repE0EEENS1_47radix_sort_onesweep_sort_config_static_selectorELNS0_4arch9wavefront6targetE1EEEvSD_,comdat
.Lfunc_end553:
	.size	_ZN7rocprim17ROCPRIM_400000_NS6detail17trampoline_kernelINS0_14default_configENS1_35radix_sort_onesweep_config_selectorIjyEEZZNS1_29radix_sort_onesweep_iterationIS3_Lb0EPjS7_PyS8_jNS0_19identity_decomposerENS1_16block_id_wrapperIjLb0EEEEE10hipError_tT1_PNSt15iterator_traitsISD_E10value_typeET2_T3_PNSE_ISJ_E10value_typeET4_T5_PSO_SP_PNS1_23onesweep_lookback_stateEbbT6_jjT7_P12ihipStream_tbENKUlT_T0_SD_SI_E_clIS7_S7_S8_S8_EEDaSW_SX_SD_SI_EUlSW_E_NS1_11comp_targetILNS1_3genE0ELNS1_11target_archE4294967295ELNS1_3gpuE0ELNS1_3repE0EEENS1_47radix_sort_onesweep_sort_config_static_selectorELNS0_4arch9wavefront6targetE1EEEvSD_, .Lfunc_end553-_ZN7rocprim17ROCPRIM_400000_NS6detail17trampoline_kernelINS0_14default_configENS1_35radix_sort_onesweep_config_selectorIjyEEZZNS1_29radix_sort_onesweep_iterationIS3_Lb0EPjS7_PyS8_jNS0_19identity_decomposerENS1_16block_id_wrapperIjLb0EEEEE10hipError_tT1_PNSt15iterator_traitsISD_E10value_typeET2_T3_PNSE_ISJ_E10value_typeET4_T5_PSO_SP_PNS1_23onesweep_lookback_stateEbbT6_jjT7_P12ihipStream_tbENKUlT_T0_SD_SI_E_clIS7_S7_S8_S8_EEDaSW_SX_SD_SI_EUlSW_E_NS1_11comp_targetILNS1_3genE0ELNS1_11target_archE4294967295ELNS1_3gpuE0ELNS1_3repE0EEENS1_47radix_sort_onesweep_sort_config_static_selectorELNS0_4arch9wavefront6targetE1EEEvSD_
                                        ; -- End function
	.section	.AMDGPU.csdata,"",@progbits
; Kernel info:
; codeLenInByte = 0
; NumSgprs: 4
; NumVgprs: 0
; NumAgprs: 0
; TotalNumVgprs: 0
; ScratchSize: 0
; MemoryBound: 0
; FloatMode: 240
; IeeeMode: 1
; LDSByteSize: 0 bytes/workgroup (compile time only)
; SGPRBlocks: 0
; VGPRBlocks: 0
; NumSGPRsForWavesPerEU: 4
; NumVGPRsForWavesPerEU: 1
; AccumOffset: 4
; Occupancy: 8
; WaveLimiterHint : 0
; COMPUTE_PGM_RSRC2:SCRATCH_EN: 0
; COMPUTE_PGM_RSRC2:USER_SGPR: 6
; COMPUTE_PGM_RSRC2:TRAP_HANDLER: 0
; COMPUTE_PGM_RSRC2:TGID_X_EN: 1
; COMPUTE_PGM_RSRC2:TGID_Y_EN: 0
; COMPUTE_PGM_RSRC2:TGID_Z_EN: 0
; COMPUTE_PGM_RSRC2:TIDIG_COMP_CNT: 0
; COMPUTE_PGM_RSRC3_GFX90A:ACCUM_OFFSET: 0
; COMPUTE_PGM_RSRC3_GFX90A:TG_SPLIT: 0
	.section	.text._ZN7rocprim17ROCPRIM_400000_NS6detail17trampoline_kernelINS0_14default_configENS1_35radix_sort_onesweep_config_selectorIjyEEZZNS1_29radix_sort_onesweep_iterationIS3_Lb0EPjS7_PyS8_jNS0_19identity_decomposerENS1_16block_id_wrapperIjLb0EEEEE10hipError_tT1_PNSt15iterator_traitsISD_E10value_typeET2_T3_PNSE_ISJ_E10value_typeET4_T5_PSO_SP_PNS1_23onesweep_lookback_stateEbbT6_jjT7_P12ihipStream_tbENKUlT_T0_SD_SI_E_clIS7_S7_S8_S8_EEDaSW_SX_SD_SI_EUlSW_E_NS1_11comp_targetILNS1_3genE6ELNS1_11target_archE950ELNS1_3gpuE13ELNS1_3repE0EEENS1_47radix_sort_onesweep_sort_config_static_selectorELNS0_4arch9wavefront6targetE1EEEvSD_,"axG",@progbits,_ZN7rocprim17ROCPRIM_400000_NS6detail17trampoline_kernelINS0_14default_configENS1_35radix_sort_onesweep_config_selectorIjyEEZZNS1_29radix_sort_onesweep_iterationIS3_Lb0EPjS7_PyS8_jNS0_19identity_decomposerENS1_16block_id_wrapperIjLb0EEEEE10hipError_tT1_PNSt15iterator_traitsISD_E10value_typeET2_T3_PNSE_ISJ_E10value_typeET4_T5_PSO_SP_PNS1_23onesweep_lookback_stateEbbT6_jjT7_P12ihipStream_tbENKUlT_T0_SD_SI_E_clIS7_S7_S8_S8_EEDaSW_SX_SD_SI_EUlSW_E_NS1_11comp_targetILNS1_3genE6ELNS1_11target_archE950ELNS1_3gpuE13ELNS1_3repE0EEENS1_47radix_sort_onesweep_sort_config_static_selectorELNS0_4arch9wavefront6targetE1EEEvSD_,comdat
	.protected	_ZN7rocprim17ROCPRIM_400000_NS6detail17trampoline_kernelINS0_14default_configENS1_35radix_sort_onesweep_config_selectorIjyEEZZNS1_29radix_sort_onesweep_iterationIS3_Lb0EPjS7_PyS8_jNS0_19identity_decomposerENS1_16block_id_wrapperIjLb0EEEEE10hipError_tT1_PNSt15iterator_traitsISD_E10value_typeET2_T3_PNSE_ISJ_E10value_typeET4_T5_PSO_SP_PNS1_23onesweep_lookback_stateEbbT6_jjT7_P12ihipStream_tbENKUlT_T0_SD_SI_E_clIS7_S7_S8_S8_EEDaSW_SX_SD_SI_EUlSW_E_NS1_11comp_targetILNS1_3genE6ELNS1_11target_archE950ELNS1_3gpuE13ELNS1_3repE0EEENS1_47radix_sort_onesweep_sort_config_static_selectorELNS0_4arch9wavefront6targetE1EEEvSD_ ; -- Begin function _ZN7rocprim17ROCPRIM_400000_NS6detail17trampoline_kernelINS0_14default_configENS1_35radix_sort_onesweep_config_selectorIjyEEZZNS1_29radix_sort_onesweep_iterationIS3_Lb0EPjS7_PyS8_jNS0_19identity_decomposerENS1_16block_id_wrapperIjLb0EEEEE10hipError_tT1_PNSt15iterator_traitsISD_E10value_typeET2_T3_PNSE_ISJ_E10value_typeET4_T5_PSO_SP_PNS1_23onesweep_lookback_stateEbbT6_jjT7_P12ihipStream_tbENKUlT_T0_SD_SI_E_clIS7_S7_S8_S8_EEDaSW_SX_SD_SI_EUlSW_E_NS1_11comp_targetILNS1_3genE6ELNS1_11target_archE950ELNS1_3gpuE13ELNS1_3repE0EEENS1_47radix_sort_onesweep_sort_config_static_selectorELNS0_4arch9wavefront6targetE1EEEvSD_
	.globl	_ZN7rocprim17ROCPRIM_400000_NS6detail17trampoline_kernelINS0_14default_configENS1_35radix_sort_onesweep_config_selectorIjyEEZZNS1_29radix_sort_onesweep_iterationIS3_Lb0EPjS7_PyS8_jNS0_19identity_decomposerENS1_16block_id_wrapperIjLb0EEEEE10hipError_tT1_PNSt15iterator_traitsISD_E10value_typeET2_T3_PNSE_ISJ_E10value_typeET4_T5_PSO_SP_PNS1_23onesweep_lookback_stateEbbT6_jjT7_P12ihipStream_tbENKUlT_T0_SD_SI_E_clIS7_S7_S8_S8_EEDaSW_SX_SD_SI_EUlSW_E_NS1_11comp_targetILNS1_3genE6ELNS1_11target_archE950ELNS1_3gpuE13ELNS1_3repE0EEENS1_47radix_sort_onesweep_sort_config_static_selectorELNS0_4arch9wavefront6targetE1EEEvSD_
	.p2align	8
	.type	_ZN7rocprim17ROCPRIM_400000_NS6detail17trampoline_kernelINS0_14default_configENS1_35radix_sort_onesweep_config_selectorIjyEEZZNS1_29radix_sort_onesweep_iterationIS3_Lb0EPjS7_PyS8_jNS0_19identity_decomposerENS1_16block_id_wrapperIjLb0EEEEE10hipError_tT1_PNSt15iterator_traitsISD_E10value_typeET2_T3_PNSE_ISJ_E10value_typeET4_T5_PSO_SP_PNS1_23onesweep_lookback_stateEbbT6_jjT7_P12ihipStream_tbENKUlT_T0_SD_SI_E_clIS7_S7_S8_S8_EEDaSW_SX_SD_SI_EUlSW_E_NS1_11comp_targetILNS1_3genE6ELNS1_11target_archE950ELNS1_3gpuE13ELNS1_3repE0EEENS1_47radix_sort_onesweep_sort_config_static_selectorELNS0_4arch9wavefront6targetE1EEEvSD_,@function
_ZN7rocprim17ROCPRIM_400000_NS6detail17trampoline_kernelINS0_14default_configENS1_35radix_sort_onesweep_config_selectorIjyEEZZNS1_29radix_sort_onesweep_iterationIS3_Lb0EPjS7_PyS8_jNS0_19identity_decomposerENS1_16block_id_wrapperIjLb0EEEEE10hipError_tT1_PNSt15iterator_traitsISD_E10value_typeET2_T3_PNSE_ISJ_E10value_typeET4_T5_PSO_SP_PNS1_23onesweep_lookback_stateEbbT6_jjT7_P12ihipStream_tbENKUlT_T0_SD_SI_E_clIS7_S7_S8_S8_EEDaSW_SX_SD_SI_EUlSW_E_NS1_11comp_targetILNS1_3genE6ELNS1_11target_archE950ELNS1_3gpuE13ELNS1_3repE0EEENS1_47radix_sort_onesweep_sort_config_static_selectorELNS0_4arch9wavefront6targetE1EEEvSD_: ; @_ZN7rocprim17ROCPRIM_400000_NS6detail17trampoline_kernelINS0_14default_configENS1_35radix_sort_onesweep_config_selectorIjyEEZZNS1_29radix_sort_onesweep_iterationIS3_Lb0EPjS7_PyS8_jNS0_19identity_decomposerENS1_16block_id_wrapperIjLb0EEEEE10hipError_tT1_PNSt15iterator_traitsISD_E10value_typeET2_T3_PNSE_ISJ_E10value_typeET4_T5_PSO_SP_PNS1_23onesweep_lookback_stateEbbT6_jjT7_P12ihipStream_tbENKUlT_T0_SD_SI_E_clIS7_S7_S8_S8_EEDaSW_SX_SD_SI_EUlSW_E_NS1_11comp_targetILNS1_3genE6ELNS1_11target_archE950ELNS1_3gpuE13ELNS1_3repE0EEENS1_47radix_sort_onesweep_sort_config_static_selectorELNS0_4arch9wavefront6targetE1EEEvSD_
; %bb.0:
	.section	.rodata,"a",@progbits
	.p2align	6, 0x0
	.amdhsa_kernel _ZN7rocprim17ROCPRIM_400000_NS6detail17trampoline_kernelINS0_14default_configENS1_35radix_sort_onesweep_config_selectorIjyEEZZNS1_29radix_sort_onesweep_iterationIS3_Lb0EPjS7_PyS8_jNS0_19identity_decomposerENS1_16block_id_wrapperIjLb0EEEEE10hipError_tT1_PNSt15iterator_traitsISD_E10value_typeET2_T3_PNSE_ISJ_E10value_typeET4_T5_PSO_SP_PNS1_23onesweep_lookback_stateEbbT6_jjT7_P12ihipStream_tbENKUlT_T0_SD_SI_E_clIS7_S7_S8_S8_EEDaSW_SX_SD_SI_EUlSW_E_NS1_11comp_targetILNS1_3genE6ELNS1_11target_archE950ELNS1_3gpuE13ELNS1_3repE0EEENS1_47radix_sort_onesweep_sort_config_static_selectorELNS0_4arch9wavefront6targetE1EEEvSD_
		.amdhsa_group_segment_fixed_size 0
		.amdhsa_private_segment_fixed_size 0
		.amdhsa_kernarg_size 88
		.amdhsa_user_sgpr_count 6
		.amdhsa_user_sgpr_private_segment_buffer 1
		.amdhsa_user_sgpr_dispatch_ptr 0
		.amdhsa_user_sgpr_queue_ptr 0
		.amdhsa_user_sgpr_kernarg_segment_ptr 1
		.amdhsa_user_sgpr_dispatch_id 0
		.amdhsa_user_sgpr_flat_scratch_init 0
		.amdhsa_user_sgpr_kernarg_preload_length 0
		.amdhsa_user_sgpr_kernarg_preload_offset 0
		.amdhsa_user_sgpr_private_segment_size 0
		.amdhsa_uses_dynamic_stack 0
		.amdhsa_system_sgpr_private_segment_wavefront_offset 0
		.amdhsa_system_sgpr_workgroup_id_x 1
		.amdhsa_system_sgpr_workgroup_id_y 0
		.amdhsa_system_sgpr_workgroup_id_z 0
		.amdhsa_system_sgpr_workgroup_info 0
		.amdhsa_system_vgpr_workitem_id 0
		.amdhsa_next_free_vgpr 1
		.amdhsa_next_free_sgpr 0
		.amdhsa_accum_offset 4
		.amdhsa_reserve_vcc 0
		.amdhsa_reserve_flat_scratch 0
		.amdhsa_float_round_mode_32 0
		.amdhsa_float_round_mode_16_64 0
		.amdhsa_float_denorm_mode_32 3
		.amdhsa_float_denorm_mode_16_64 3
		.amdhsa_dx10_clamp 1
		.amdhsa_ieee_mode 1
		.amdhsa_fp16_overflow 0
		.amdhsa_tg_split 0
		.amdhsa_exception_fp_ieee_invalid_op 0
		.amdhsa_exception_fp_denorm_src 0
		.amdhsa_exception_fp_ieee_div_zero 0
		.amdhsa_exception_fp_ieee_overflow 0
		.amdhsa_exception_fp_ieee_underflow 0
		.amdhsa_exception_fp_ieee_inexact 0
		.amdhsa_exception_int_div_zero 0
	.end_amdhsa_kernel
	.section	.text._ZN7rocprim17ROCPRIM_400000_NS6detail17trampoline_kernelINS0_14default_configENS1_35radix_sort_onesweep_config_selectorIjyEEZZNS1_29radix_sort_onesweep_iterationIS3_Lb0EPjS7_PyS8_jNS0_19identity_decomposerENS1_16block_id_wrapperIjLb0EEEEE10hipError_tT1_PNSt15iterator_traitsISD_E10value_typeET2_T3_PNSE_ISJ_E10value_typeET4_T5_PSO_SP_PNS1_23onesweep_lookback_stateEbbT6_jjT7_P12ihipStream_tbENKUlT_T0_SD_SI_E_clIS7_S7_S8_S8_EEDaSW_SX_SD_SI_EUlSW_E_NS1_11comp_targetILNS1_3genE6ELNS1_11target_archE950ELNS1_3gpuE13ELNS1_3repE0EEENS1_47radix_sort_onesweep_sort_config_static_selectorELNS0_4arch9wavefront6targetE1EEEvSD_,"axG",@progbits,_ZN7rocprim17ROCPRIM_400000_NS6detail17trampoline_kernelINS0_14default_configENS1_35radix_sort_onesweep_config_selectorIjyEEZZNS1_29radix_sort_onesweep_iterationIS3_Lb0EPjS7_PyS8_jNS0_19identity_decomposerENS1_16block_id_wrapperIjLb0EEEEE10hipError_tT1_PNSt15iterator_traitsISD_E10value_typeET2_T3_PNSE_ISJ_E10value_typeET4_T5_PSO_SP_PNS1_23onesweep_lookback_stateEbbT6_jjT7_P12ihipStream_tbENKUlT_T0_SD_SI_E_clIS7_S7_S8_S8_EEDaSW_SX_SD_SI_EUlSW_E_NS1_11comp_targetILNS1_3genE6ELNS1_11target_archE950ELNS1_3gpuE13ELNS1_3repE0EEENS1_47radix_sort_onesweep_sort_config_static_selectorELNS0_4arch9wavefront6targetE1EEEvSD_,comdat
.Lfunc_end554:
	.size	_ZN7rocprim17ROCPRIM_400000_NS6detail17trampoline_kernelINS0_14default_configENS1_35radix_sort_onesweep_config_selectorIjyEEZZNS1_29radix_sort_onesweep_iterationIS3_Lb0EPjS7_PyS8_jNS0_19identity_decomposerENS1_16block_id_wrapperIjLb0EEEEE10hipError_tT1_PNSt15iterator_traitsISD_E10value_typeET2_T3_PNSE_ISJ_E10value_typeET4_T5_PSO_SP_PNS1_23onesweep_lookback_stateEbbT6_jjT7_P12ihipStream_tbENKUlT_T0_SD_SI_E_clIS7_S7_S8_S8_EEDaSW_SX_SD_SI_EUlSW_E_NS1_11comp_targetILNS1_3genE6ELNS1_11target_archE950ELNS1_3gpuE13ELNS1_3repE0EEENS1_47radix_sort_onesweep_sort_config_static_selectorELNS0_4arch9wavefront6targetE1EEEvSD_, .Lfunc_end554-_ZN7rocprim17ROCPRIM_400000_NS6detail17trampoline_kernelINS0_14default_configENS1_35radix_sort_onesweep_config_selectorIjyEEZZNS1_29radix_sort_onesweep_iterationIS3_Lb0EPjS7_PyS8_jNS0_19identity_decomposerENS1_16block_id_wrapperIjLb0EEEEE10hipError_tT1_PNSt15iterator_traitsISD_E10value_typeET2_T3_PNSE_ISJ_E10value_typeET4_T5_PSO_SP_PNS1_23onesweep_lookback_stateEbbT6_jjT7_P12ihipStream_tbENKUlT_T0_SD_SI_E_clIS7_S7_S8_S8_EEDaSW_SX_SD_SI_EUlSW_E_NS1_11comp_targetILNS1_3genE6ELNS1_11target_archE950ELNS1_3gpuE13ELNS1_3repE0EEENS1_47radix_sort_onesweep_sort_config_static_selectorELNS0_4arch9wavefront6targetE1EEEvSD_
                                        ; -- End function
	.section	.AMDGPU.csdata,"",@progbits
; Kernel info:
; codeLenInByte = 0
; NumSgprs: 4
; NumVgprs: 0
; NumAgprs: 0
; TotalNumVgprs: 0
; ScratchSize: 0
; MemoryBound: 0
; FloatMode: 240
; IeeeMode: 1
; LDSByteSize: 0 bytes/workgroup (compile time only)
; SGPRBlocks: 0
; VGPRBlocks: 0
; NumSGPRsForWavesPerEU: 4
; NumVGPRsForWavesPerEU: 1
; AccumOffset: 4
; Occupancy: 8
; WaveLimiterHint : 0
; COMPUTE_PGM_RSRC2:SCRATCH_EN: 0
; COMPUTE_PGM_RSRC2:USER_SGPR: 6
; COMPUTE_PGM_RSRC2:TRAP_HANDLER: 0
; COMPUTE_PGM_RSRC2:TGID_X_EN: 1
; COMPUTE_PGM_RSRC2:TGID_Y_EN: 0
; COMPUTE_PGM_RSRC2:TGID_Z_EN: 0
; COMPUTE_PGM_RSRC2:TIDIG_COMP_CNT: 0
; COMPUTE_PGM_RSRC3_GFX90A:ACCUM_OFFSET: 0
; COMPUTE_PGM_RSRC3_GFX90A:TG_SPLIT: 0
	.section	.text._ZN7rocprim17ROCPRIM_400000_NS6detail17trampoline_kernelINS0_14default_configENS1_35radix_sort_onesweep_config_selectorIjyEEZZNS1_29radix_sort_onesweep_iterationIS3_Lb0EPjS7_PyS8_jNS0_19identity_decomposerENS1_16block_id_wrapperIjLb0EEEEE10hipError_tT1_PNSt15iterator_traitsISD_E10value_typeET2_T3_PNSE_ISJ_E10value_typeET4_T5_PSO_SP_PNS1_23onesweep_lookback_stateEbbT6_jjT7_P12ihipStream_tbENKUlT_T0_SD_SI_E_clIS7_S7_S8_S8_EEDaSW_SX_SD_SI_EUlSW_E_NS1_11comp_targetILNS1_3genE5ELNS1_11target_archE942ELNS1_3gpuE9ELNS1_3repE0EEENS1_47radix_sort_onesweep_sort_config_static_selectorELNS0_4arch9wavefront6targetE1EEEvSD_,"axG",@progbits,_ZN7rocprim17ROCPRIM_400000_NS6detail17trampoline_kernelINS0_14default_configENS1_35radix_sort_onesweep_config_selectorIjyEEZZNS1_29radix_sort_onesweep_iterationIS3_Lb0EPjS7_PyS8_jNS0_19identity_decomposerENS1_16block_id_wrapperIjLb0EEEEE10hipError_tT1_PNSt15iterator_traitsISD_E10value_typeET2_T3_PNSE_ISJ_E10value_typeET4_T5_PSO_SP_PNS1_23onesweep_lookback_stateEbbT6_jjT7_P12ihipStream_tbENKUlT_T0_SD_SI_E_clIS7_S7_S8_S8_EEDaSW_SX_SD_SI_EUlSW_E_NS1_11comp_targetILNS1_3genE5ELNS1_11target_archE942ELNS1_3gpuE9ELNS1_3repE0EEENS1_47radix_sort_onesweep_sort_config_static_selectorELNS0_4arch9wavefront6targetE1EEEvSD_,comdat
	.protected	_ZN7rocprim17ROCPRIM_400000_NS6detail17trampoline_kernelINS0_14default_configENS1_35radix_sort_onesweep_config_selectorIjyEEZZNS1_29radix_sort_onesweep_iterationIS3_Lb0EPjS7_PyS8_jNS0_19identity_decomposerENS1_16block_id_wrapperIjLb0EEEEE10hipError_tT1_PNSt15iterator_traitsISD_E10value_typeET2_T3_PNSE_ISJ_E10value_typeET4_T5_PSO_SP_PNS1_23onesweep_lookback_stateEbbT6_jjT7_P12ihipStream_tbENKUlT_T0_SD_SI_E_clIS7_S7_S8_S8_EEDaSW_SX_SD_SI_EUlSW_E_NS1_11comp_targetILNS1_3genE5ELNS1_11target_archE942ELNS1_3gpuE9ELNS1_3repE0EEENS1_47radix_sort_onesweep_sort_config_static_selectorELNS0_4arch9wavefront6targetE1EEEvSD_ ; -- Begin function _ZN7rocprim17ROCPRIM_400000_NS6detail17trampoline_kernelINS0_14default_configENS1_35radix_sort_onesweep_config_selectorIjyEEZZNS1_29radix_sort_onesweep_iterationIS3_Lb0EPjS7_PyS8_jNS0_19identity_decomposerENS1_16block_id_wrapperIjLb0EEEEE10hipError_tT1_PNSt15iterator_traitsISD_E10value_typeET2_T3_PNSE_ISJ_E10value_typeET4_T5_PSO_SP_PNS1_23onesweep_lookback_stateEbbT6_jjT7_P12ihipStream_tbENKUlT_T0_SD_SI_E_clIS7_S7_S8_S8_EEDaSW_SX_SD_SI_EUlSW_E_NS1_11comp_targetILNS1_3genE5ELNS1_11target_archE942ELNS1_3gpuE9ELNS1_3repE0EEENS1_47radix_sort_onesweep_sort_config_static_selectorELNS0_4arch9wavefront6targetE1EEEvSD_
	.globl	_ZN7rocprim17ROCPRIM_400000_NS6detail17trampoline_kernelINS0_14default_configENS1_35radix_sort_onesweep_config_selectorIjyEEZZNS1_29radix_sort_onesweep_iterationIS3_Lb0EPjS7_PyS8_jNS0_19identity_decomposerENS1_16block_id_wrapperIjLb0EEEEE10hipError_tT1_PNSt15iterator_traitsISD_E10value_typeET2_T3_PNSE_ISJ_E10value_typeET4_T5_PSO_SP_PNS1_23onesweep_lookback_stateEbbT6_jjT7_P12ihipStream_tbENKUlT_T0_SD_SI_E_clIS7_S7_S8_S8_EEDaSW_SX_SD_SI_EUlSW_E_NS1_11comp_targetILNS1_3genE5ELNS1_11target_archE942ELNS1_3gpuE9ELNS1_3repE0EEENS1_47radix_sort_onesweep_sort_config_static_selectorELNS0_4arch9wavefront6targetE1EEEvSD_
	.p2align	8
	.type	_ZN7rocprim17ROCPRIM_400000_NS6detail17trampoline_kernelINS0_14default_configENS1_35radix_sort_onesweep_config_selectorIjyEEZZNS1_29radix_sort_onesweep_iterationIS3_Lb0EPjS7_PyS8_jNS0_19identity_decomposerENS1_16block_id_wrapperIjLb0EEEEE10hipError_tT1_PNSt15iterator_traitsISD_E10value_typeET2_T3_PNSE_ISJ_E10value_typeET4_T5_PSO_SP_PNS1_23onesweep_lookback_stateEbbT6_jjT7_P12ihipStream_tbENKUlT_T0_SD_SI_E_clIS7_S7_S8_S8_EEDaSW_SX_SD_SI_EUlSW_E_NS1_11comp_targetILNS1_3genE5ELNS1_11target_archE942ELNS1_3gpuE9ELNS1_3repE0EEENS1_47radix_sort_onesweep_sort_config_static_selectorELNS0_4arch9wavefront6targetE1EEEvSD_,@function
_ZN7rocprim17ROCPRIM_400000_NS6detail17trampoline_kernelINS0_14default_configENS1_35radix_sort_onesweep_config_selectorIjyEEZZNS1_29radix_sort_onesweep_iterationIS3_Lb0EPjS7_PyS8_jNS0_19identity_decomposerENS1_16block_id_wrapperIjLb0EEEEE10hipError_tT1_PNSt15iterator_traitsISD_E10value_typeET2_T3_PNSE_ISJ_E10value_typeET4_T5_PSO_SP_PNS1_23onesweep_lookback_stateEbbT6_jjT7_P12ihipStream_tbENKUlT_T0_SD_SI_E_clIS7_S7_S8_S8_EEDaSW_SX_SD_SI_EUlSW_E_NS1_11comp_targetILNS1_3genE5ELNS1_11target_archE942ELNS1_3gpuE9ELNS1_3repE0EEENS1_47radix_sort_onesweep_sort_config_static_selectorELNS0_4arch9wavefront6targetE1EEEvSD_: ; @_ZN7rocprim17ROCPRIM_400000_NS6detail17trampoline_kernelINS0_14default_configENS1_35radix_sort_onesweep_config_selectorIjyEEZZNS1_29radix_sort_onesweep_iterationIS3_Lb0EPjS7_PyS8_jNS0_19identity_decomposerENS1_16block_id_wrapperIjLb0EEEEE10hipError_tT1_PNSt15iterator_traitsISD_E10value_typeET2_T3_PNSE_ISJ_E10value_typeET4_T5_PSO_SP_PNS1_23onesweep_lookback_stateEbbT6_jjT7_P12ihipStream_tbENKUlT_T0_SD_SI_E_clIS7_S7_S8_S8_EEDaSW_SX_SD_SI_EUlSW_E_NS1_11comp_targetILNS1_3genE5ELNS1_11target_archE942ELNS1_3gpuE9ELNS1_3repE0EEENS1_47radix_sort_onesweep_sort_config_static_selectorELNS0_4arch9wavefront6targetE1EEEvSD_
; %bb.0:
	.section	.rodata,"a",@progbits
	.p2align	6, 0x0
	.amdhsa_kernel _ZN7rocprim17ROCPRIM_400000_NS6detail17trampoline_kernelINS0_14default_configENS1_35radix_sort_onesweep_config_selectorIjyEEZZNS1_29radix_sort_onesweep_iterationIS3_Lb0EPjS7_PyS8_jNS0_19identity_decomposerENS1_16block_id_wrapperIjLb0EEEEE10hipError_tT1_PNSt15iterator_traitsISD_E10value_typeET2_T3_PNSE_ISJ_E10value_typeET4_T5_PSO_SP_PNS1_23onesweep_lookback_stateEbbT6_jjT7_P12ihipStream_tbENKUlT_T0_SD_SI_E_clIS7_S7_S8_S8_EEDaSW_SX_SD_SI_EUlSW_E_NS1_11comp_targetILNS1_3genE5ELNS1_11target_archE942ELNS1_3gpuE9ELNS1_3repE0EEENS1_47radix_sort_onesweep_sort_config_static_selectorELNS0_4arch9wavefront6targetE1EEEvSD_
		.amdhsa_group_segment_fixed_size 0
		.amdhsa_private_segment_fixed_size 0
		.amdhsa_kernarg_size 88
		.amdhsa_user_sgpr_count 6
		.amdhsa_user_sgpr_private_segment_buffer 1
		.amdhsa_user_sgpr_dispatch_ptr 0
		.amdhsa_user_sgpr_queue_ptr 0
		.amdhsa_user_sgpr_kernarg_segment_ptr 1
		.amdhsa_user_sgpr_dispatch_id 0
		.amdhsa_user_sgpr_flat_scratch_init 0
		.amdhsa_user_sgpr_kernarg_preload_length 0
		.amdhsa_user_sgpr_kernarg_preload_offset 0
		.amdhsa_user_sgpr_private_segment_size 0
		.amdhsa_uses_dynamic_stack 0
		.amdhsa_system_sgpr_private_segment_wavefront_offset 0
		.amdhsa_system_sgpr_workgroup_id_x 1
		.amdhsa_system_sgpr_workgroup_id_y 0
		.amdhsa_system_sgpr_workgroup_id_z 0
		.amdhsa_system_sgpr_workgroup_info 0
		.amdhsa_system_vgpr_workitem_id 0
		.amdhsa_next_free_vgpr 1
		.amdhsa_next_free_sgpr 0
		.amdhsa_accum_offset 4
		.amdhsa_reserve_vcc 0
		.amdhsa_reserve_flat_scratch 0
		.amdhsa_float_round_mode_32 0
		.amdhsa_float_round_mode_16_64 0
		.amdhsa_float_denorm_mode_32 3
		.amdhsa_float_denorm_mode_16_64 3
		.amdhsa_dx10_clamp 1
		.amdhsa_ieee_mode 1
		.amdhsa_fp16_overflow 0
		.amdhsa_tg_split 0
		.amdhsa_exception_fp_ieee_invalid_op 0
		.amdhsa_exception_fp_denorm_src 0
		.amdhsa_exception_fp_ieee_div_zero 0
		.amdhsa_exception_fp_ieee_overflow 0
		.amdhsa_exception_fp_ieee_underflow 0
		.amdhsa_exception_fp_ieee_inexact 0
		.amdhsa_exception_int_div_zero 0
	.end_amdhsa_kernel
	.section	.text._ZN7rocprim17ROCPRIM_400000_NS6detail17trampoline_kernelINS0_14default_configENS1_35radix_sort_onesweep_config_selectorIjyEEZZNS1_29radix_sort_onesweep_iterationIS3_Lb0EPjS7_PyS8_jNS0_19identity_decomposerENS1_16block_id_wrapperIjLb0EEEEE10hipError_tT1_PNSt15iterator_traitsISD_E10value_typeET2_T3_PNSE_ISJ_E10value_typeET4_T5_PSO_SP_PNS1_23onesweep_lookback_stateEbbT6_jjT7_P12ihipStream_tbENKUlT_T0_SD_SI_E_clIS7_S7_S8_S8_EEDaSW_SX_SD_SI_EUlSW_E_NS1_11comp_targetILNS1_3genE5ELNS1_11target_archE942ELNS1_3gpuE9ELNS1_3repE0EEENS1_47radix_sort_onesweep_sort_config_static_selectorELNS0_4arch9wavefront6targetE1EEEvSD_,"axG",@progbits,_ZN7rocprim17ROCPRIM_400000_NS6detail17trampoline_kernelINS0_14default_configENS1_35radix_sort_onesweep_config_selectorIjyEEZZNS1_29radix_sort_onesweep_iterationIS3_Lb0EPjS7_PyS8_jNS0_19identity_decomposerENS1_16block_id_wrapperIjLb0EEEEE10hipError_tT1_PNSt15iterator_traitsISD_E10value_typeET2_T3_PNSE_ISJ_E10value_typeET4_T5_PSO_SP_PNS1_23onesweep_lookback_stateEbbT6_jjT7_P12ihipStream_tbENKUlT_T0_SD_SI_E_clIS7_S7_S8_S8_EEDaSW_SX_SD_SI_EUlSW_E_NS1_11comp_targetILNS1_3genE5ELNS1_11target_archE942ELNS1_3gpuE9ELNS1_3repE0EEENS1_47radix_sort_onesweep_sort_config_static_selectorELNS0_4arch9wavefront6targetE1EEEvSD_,comdat
.Lfunc_end555:
	.size	_ZN7rocprim17ROCPRIM_400000_NS6detail17trampoline_kernelINS0_14default_configENS1_35radix_sort_onesweep_config_selectorIjyEEZZNS1_29radix_sort_onesweep_iterationIS3_Lb0EPjS7_PyS8_jNS0_19identity_decomposerENS1_16block_id_wrapperIjLb0EEEEE10hipError_tT1_PNSt15iterator_traitsISD_E10value_typeET2_T3_PNSE_ISJ_E10value_typeET4_T5_PSO_SP_PNS1_23onesweep_lookback_stateEbbT6_jjT7_P12ihipStream_tbENKUlT_T0_SD_SI_E_clIS7_S7_S8_S8_EEDaSW_SX_SD_SI_EUlSW_E_NS1_11comp_targetILNS1_3genE5ELNS1_11target_archE942ELNS1_3gpuE9ELNS1_3repE0EEENS1_47radix_sort_onesweep_sort_config_static_selectorELNS0_4arch9wavefront6targetE1EEEvSD_, .Lfunc_end555-_ZN7rocprim17ROCPRIM_400000_NS6detail17trampoline_kernelINS0_14default_configENS1_35radix_sort_onesweep_config_selectorIjyEEZZNS1_29radix_sort_onesweep_iterationIS3_Lb0EPjS7_PyS8_jNS0_19identity_decomposerENS1_16block_id_wrapperIjLb0EEEEE10hipError_tT1_PNSt15iterator_traitsISD_E10value_typeET2_T3_PNSE_ISJ_E10value_typeET4_T5_PSO_SP_PNS1_23onesweep_lookback_stateEbbT6_jjT7_P12ihipStream_tbENKUlT_T0_SD_SI_E_clIS7_S7_S8_S8_EEDaSW_SX_SD_SI_EUlSW_E_NS1_11comp_targetILNS1_3genE5ELNS1_11target_archE942ELNS1_3gpuE9ELNS1_3repE0EEENS1_47radix_sort_onesweep_sort_config_static_selectorELNS0_4arch9wavefront6targetE1EEEvSD_
                                        ; -- End function
	.section	.AMDGPU.csdata,"",@progbits
; Kernel info:
; codeLenInByte = 0
; NumSgprs: 4
; NumVgprs: 0
; NumAgprs: 0
; TotalNumVgprs: 0
; ScratchSize: 0
; MemoryBound: 0
; FloatMode: 240
; IeeeMode: 1
; LDSByteSize: 0 bytes/workgroup (compile time only)
; SGPRBlocks: 0
; VGPRBlocks: 0
; NumSGPRsForWavesPerEU: 4
; NumVGPRsForWavesPerEU: 1
; AccumOffset: 4
; Occupancy: 8
; WaveLimiterHint : 0
; COMPUTE_PGM_RSRC2:SCRATCH_EN: 0
; COMPUTE_PGM_RSRC2:USER_SGPR: 6
; COMPUTE_PGM_RSRC2:TRAP_HANDLER: 0
; COMPUTE_PGM_RSRC2:TGID_X_EN: 1
; COMPUTE_PGM_RSRC2:TGID_Y_EN: 0
; COMPUTE_PGM_RSRC2:TGID_Z_EN: 0
; COMPUTE_PGM_RSRC2:TIDIG_COMP_CNT: 0
; COMPUTE_PGM_RSRC3_GFX90A:ACCUM_OFFSET: 0
; COMPUTE_PGM_RSRC3_GFX90A:TG_SPLIT: 0
	.section	.text._ZN7rocprim17ROCPRIM_400000_NS6detail17trampoline_kernelINS0_14default_configENS1_35radix_sort_onesweep_config_selectorIjyEEZZNS1_29radix_sort_onesweep_iterationIS3_Lb0EPjS7_PyS8_jNS0_19identity_decomposerENS1_16block_id_wrapperIjLb0EEEEE10hipError_tT1_PNSt15iterator_traitsISD_E10value_typeET2_T3_PNSE_ISJ_E10value_typeET4_T5_PSO_SP_PNS1_23onesweep_lookback_stateEbbT6_jjT7_P12ihipStream_tbENKUlT_T0_SD_SI_E_clIS7_S7_S8_S8_EEDaSW_SX_SD_SI_EUlSW_E_NS1_11comp_targetILNS1_3genE2ELNS1_11target_archE906ELNS1_3gpuE6ELNS1_3repE0EEENS1_47radix_sort_onesweep_sort_config_static_selectorELNS0_4arch9wavefront6targetE1EEEvSD_,"axG",@progbits,_ZN7rocprim17ROCPRIM_400000_NS6detail17trampoline_kernelINS0_14default_configENS1_35radix_sort_onesweep_config_selectorIjyEEZZNS1_29radix_sort_onesweep_iterationIS3_Lb0EPjS7_PyS8_jNS0_19identity_decomposerENS1_16block_id_wrapperIjLb0EEEEE10hipError_tT1_PNSt15iterator_traitsISD_E10value_typeET2_T3_PNSE_ISJ_E10value_typeET4_T5_PSO_SP_PNS1_23onesweep_lookback_stateEbbT6_jjT7_P12ihipStream_tbENKUlT_T0_SD_SI_E_clIS7_S7_S8_S8_EEDaSW_SX_SD_SI_EUlSW_E_NS1_11comp_targetILNS1_3genE2ELNS1_11target_archE906ELNS1_3gpuE6ELNS1_3repE0EEENS1_47radix_sort_onesweep_sort_config_static_selectorELNS0_4arch9wavefront6targetE1EEEvSD_,comdat
	.protected	_ZN7rocprim17ROCPRIM_400000_NS6detail17trampoline_kernelINS0_14default_configENS1_35radix_sort_onesweep_config_selectorIjyEEZZNS1_29radix_sort_onesweep_iterationIS3_Lb0EPjS7_PyS8_jNS0_19identity_decomposerENS1_16block_id_wrapperIjLb0EEEEE10hipError_tT1_PNSt15iterator_traitsISD_E10value_typeET2_T3_PNSE_ISJ_E10value_typeET4_T5_PSO_SP_PNS1_23onesweep_lookback_stateEbbT6_jjT7_P12ihipStream_tbENKUlT_T0_SD_SI_E_clIS7_S7_S8_S8_EEDaSW_SX_SD_SI_EUlSW_E_NS1_11comp_targetILNS1_3genE2ELNS1_11target_archE906ELNS1_3gpuE6ELNS1_3repE0EEENS1_47radix_sort_onesweep_sort_config_static_selectorELNS0_4arch9wavefront6targetE1EEEvSD_ ; -- Begin function _ZN7rocprim17ROCPRIM_400000_NS6detail17trampoline_kernelINS0_14default_configENS1_35radix_sort_onesweep_config_selectorIjyEEZZNS1_29radix_sort_onesweep_iterationIS3_Lb0EPjS7_PyS8_jNS0_19identity_decomposerENS1_16block_id_wrapperIjLb0EEEEE10hipError_tT1_PNSt15iterator_traitsISD_E10value_typeET2_T3_PNSE_ISJ_E10value_typeET4_T5_PSO_SP_PNS1_23onesweep_lookback_stateEbbT6_jjT7_P12ihipStream_tbENKUlT_T0_SD_SI_E_clIS7_S7_S8_S8_EEDaSW_SX_SD_SI_EUlSW_E_NS1_11comp_targetILNS1_3genE2ELNS1_11target_archE906ELNS1_3gpuE6ELNS1_3repE0EEENS1_47radix_sort_onesweep_sort_config_static_selectorELNS0_4arch9wavefront6targetE1EEEvSD_
	.globl	_ZN7rocprim17ROCPRIM_400000_NS6detail17trampoline_kernelINS0_14default_configENS1_35radix_sort_onesweep_config_selectorIjyEEZZNS1_29radix_sort_onesweep_iterationIS3_Lb0EPjS7_PyS8_jNS0_19identity_decomposerENS1_16block_id_wrapperIjLb0EEEEE10hipError_tT1_PNSt15iterator_traitsISD_E10value_typeET2_T3_PNSE_ISJ_E10value_typeET4_T5_PSO_SP_PNS1_23onesweep_lookback_stateEbbT6_jjT7_P12ihipStream_tbENKUlT_T0_SD_SI_E_clIS7_S7_S8_S8_EEDaSW_SX_SD_SI_EUlSW_E_NS1_11comp_targetILNS1_3genE2ELNS1_11target_archE906ELNS1_3gpuE6ELNS1_3repE0EEENS1_47radix_sort_onesweep_sort_config_static_selectorELNS0_4arch9wavefront6targetE1EEEvSD_
	.p2align	8
	.type	_ZN7rocprim17ROCPRIM_400000_NS6detail17trampoline_kernelINS0_14default_configENS1_35radix_sort_onesweep_config_selectorIjyEEZZNS1_29radix_sort_onesweep_iterationIS3_Lb0EPjS7_PyS8_jNS0_19identity_decomposerENS1_16block_id_wrapperIjLb0EEEEE10hipError_tT1_PNSt15iterator_traitsISD_E10value_typeET2_T3_PNSE_ISJ_E10value_typeET4_T5_PSO_SP_PNS1_23onesweep_lookback_stateEbbT6_jjT7_P12ihipStream_tbENKUlT_T0_SD_SI_E_clIS7_S7_S8_S8_EEDaSW_SX_SD_SI_EUlSW_E_NS1_11comp_targetILNS1_3genE2ELNS1_11target_archE906ELNS1_3gpuE6ELNS1_3repE0EEENS1_47radix_sort_onesweep_sort_config_static_selectorELNS0_4arch9wavefront6targetE1EEEvSD_,@function
_ZN7rocprim17ROCPRIM_400000_NS6detail17trampoline_kernelINS0_14default_configENS1_35radix_sort_onesweep_config_selectorIjyEEZZNS1_29radix_sort_onesweep_iterationIS3_Lb0EPjS7_PyS8_jNS0_19identity_decomposerENS1_16block_id_wrapperIjLb0EEEEE10hipError_tT1_PNSt15iterator_traitsISD_E10value_typeET2_T3_PNSE_ISJ_E10value_typeET4_T5_PSO_SP_PNS1_23onesweep_lookback_stateEbbT6_jjT7_P12ihipStream_tbENKUlT_T0_SD_SI_E_clIS7_S7_S8_S8_EEDaSW_SX_SD_SI_EUlSW_E_NS1_11comp_targetILNS1_3genE2ELNS1_11target_archE906ELNS1_3gpuE6ELNS1_3repE0EEENS1_47radix_sort_onesweep_sort_config_static_selectorELNS0_4arch9wavefront6targetE1EEEvSD_: ; @_ZN7rocprim17ROCPRIM_400000_NS6detail17trampoline_kernelINS0_14default_configENS1_35radix_sort_onesweep_config_selectorIjyEEZZNS1_29radix_sort_onesweep_iterationIS3_Lb0EPjS7_PyS8_jNS0_19identity_decomposerENS1_16block_id_wrapperIjLb0EEEEE10hipError_tT1_PNSt15iterator_traitsISD_E10value_typeET2_T3_PNSE_ISJ_E10value_typeET4_T5_PSO_SP_PNS1_23onesweep_lookback_stateEbbT6_jjT7_P12ihipStream_tbENKUlT_T0_SD_SI_E_clIS7_S7_S8_S8_EEDaSW_SX_SD_SI_EUlSW_E_NS1_11comp_targetILNS1_3genE2ELNS1_11target_archE906ELNS1_3gpuE6ELNS1_3repE0EEENS1_47radix_sort_onesweep_sort_config_static_selectorELNS0_4arch9wavefront6targetE1EEEvSD_
; %bb.0:
	.section	.rodata,"a",@progbits
	.p2align	6, 0x0
	.amdhsa_kernel _ZN7rocprim17ROCPRIM_400000_NS6detail17trampoline_kernelINS0_14default_configENS1_35radix_sort_onesweep_config_selectorIjyEEZZNS1_29radix_sort_onesweep_iterationIS3_Lb0EPjS7_PyS8_jNS0_19identity_decomposerENS1_16block_id_wrapperIjLb0EEEEE10hipError_tT1_PNSt15iterator_traitsISD_E10value_typeET2_T3_PNSE_ISJ_E10value_typeET4_T5_PSO_SP_PNS1_23onesweep_lookback_stateEbbT6_jjT7_P12ihipStream_tbENKUlT_T0_SD_SI_E_clIS7_S7_S8_S8_EEDaSW_SX_SD_SI_EUlSW_E_NS1_11comp_targetILNS1_3genE2ELNS1_11target_archE906ELNS1_3gpuE6ELNS1_3repE0EEENS1_47radix_sort_onesweep_sort_config_static_selectorELNS0_4arch9wavefront6targetE1EEEvSD_
		.amdhsa_group_segment_fixed_size 0
		.amdhsa_private_segment_fixed_size 0
		.amdhsa_kernarg_size 88
		.amdhsa_user_sgpr_count 6
		.amdhsa_user_sgpr_private_segment_buffer 1
		.amdhsa_user_sgpr_dispatch_ptr 0
		.amdhsa_user_sgpr_queue_ptr 0
		.amdhsa_user_sgpr_kernarg_segment_ptr 1
		.amdhsa_user_sgpr_dispatch_id 0
		.amdhsa_user_sgpr_flat_scratch_init 0
		.amdhsa_user_sgpr_kernarg_preload_length 0
		.amdhsa_user_sgpr_kernarg_preload_offset 0
		.amdhsa_user_sgpr_private_segment_size 0
		.amdhsa_uses_dynamic_stack 0
		.amdhsa_system_sgpr_private_segment_wavefront_offset 0
		.amdhsa_system_sgpr_workgroup_id_x 1
		.amdhsa_system_sgpr_workgroup_id_y 0
		.amdhsa_system_sgpr_workgroup_id_z 0
		.amdhsa_system_sgpr_workgroup_info 0
		.amdhsa_system_vgpr_workitem_id 0
		.amdhsa_next_free_vgpr 1
		.amdhsa_next_free_sgpr 0
		.amdhsa_accum_offset 4
		.amdhsa_reserve_vcc 0
		.amdhsa_reserve_flat_scratch 0
		.amdhsa_float_round_mode_32 0
		.amdhsa_float_round_mode_16_64 0
		.amdhsa_float_denorm_mode_32 3
		.amdhsa_float_denorm_mode_16_64 3
		.amdhsa_dx10_clamp 1
		.amdhsa_ieee_mode 1
		.amdhsa_fp16_overflow 0
		.amdhsa_tg_split 0
		.amdhsa_exception_fp_ieee_invalid_op 0
		.amdhsa_exception_fp_denorm_src 0
		.amdhsa_exception_fp_ieee_div_zero 0
		.amdhsa_exception_fp_ieee_overflow 0
		.amdhsa_exception_fp_ieee_underflow 0
		.amdhsa_exception_fp_ieee_inexact 0
		.amdhsa_exception_int_div_zero 0
	.end_amdhsa_kernel
	.section	.text._ZN7rocprim17ROCPRIM_400000_NS6detail17trampoline_kernelINS0_14default_configENS1_35radix_sort_onesweep_config_selectorIjyEEZZNS1_29radix_sort_onesweep_iterationIS3_Lb0EPjS7_PyS8_jNS0_19identity_decomposerENS1_16block_id_wrapperIjLb0EEEEE10hipError_tT1_PNSt15iterator_traitsISD_E10value_typeET2_T3_PNSE_ISJ_E10value_typeET4_T5_PSO_SP_PNS1_23onesweep_lookback_stateEbbT6_jjT7_P12ihipStream_tbENKUlT_T0_SD_SI_E_clIS7_S7_S8_S8_EEDaSW_SX_SD_SI_EUlSW_E_NS1_11comp_targetILNS1_3genE2ELNS1_11target_archE906ELNS1_3gpuE6ELNS1_3repE0EEENS1_47radix_sort_onesweep_sort_config_static_selectorELNS0_4arch9wavefront6targetE1EEEvSD_,"axG",@progbits,_ZN7rocprim17ROCPRIM_400000_NS6detail17trampoline_kernelINS0_14default_configENS1_35radix_sort_onesweep_config_selectorIjyEEZZNS1_29radix_sort_onesweep_iterationIS3_Lb0EPjS7_PyS8_jNS0_19identity_decomposerENS1_16block_id_wrapperIjLb0EEEEE10hipError_tT1_PNSt15iterator_traitsISD_E10value_typeET2_T3_PNSE_ISJ_E10value_typeET4_T5_PSO_SP_PNS1_23onesweep_lookback_stateEbbT6_jjT7_P12ihipStream_tbENKUlT_T0_SD_SI_E_clIS7_S7_S8_S8_EEDaSW_SX_SD_SI_EUlSW_E_NS1_11comp_targetILNS1_3genE2ELNS1_11target_archE906ELNS1_3gpuE6ELNS1_3repE0EEENS1_47radix_sort_onesweep_sort_config_static_selectorELNS0_4arch9wavefront6targetE1EEEvSD_,comdat
.Lfunc_end556:
	.size	_ZN7rocprim17ROCPRIM_400000_NS6detail17trampoline_kernelINS0_14default_configENS1_35radix_sort_onesweep_config_selectorIjyEEZZNS1_29radix_sort_onesweep_iterationIS3_Lb0EPjS7_PyS8_jNS0_19identity_decomposerENS1_16block_id_wrapperIjLb0EEEEE10hipError_tT1_PNSt15iterator_traitsISD_E10value_typeET2_T3_PNSE_ISJ_E10value_typeET4_T5_PSO_SP_PNS1_23onesweep_lookback_stateEbbT6_jjT7_P12ihipStream_tbENKUlT_T0_SD_SI_E_clIS7_S7_S8_S8_EEDaSW_SX_SD_SI_EUlSW_E_NS1_11comp_targetILNS1_3genE2ELNS1_11target_archE906ELNS1_3gpuE6ELNS1_3repE0EEENS1_47radix_sort_onesweep_sort_config_static_selectorELNS0_4arch9wavefront6targetE1EEEvSD_, .Lfunc_end556-_ZN7rocprim17ROCPRIM_400000_NS6detail17trampoline_kernelINS0_14default_configENS1_35radix_sort_onesweep_config_selectorIjyEEZZNS1_29radix_sort_onesweep_iterationIS3_Lb0EPjS7_PyS8_jNS0_19identity_decomposerENS1_16block_id_wrapperIjLb0EEEEE10hipError_tT1_PNSt15iterator_traitsISD_E10value_typeET2_T3_PNSE_ISJ_E10value_typeET4_T5_PSO_SP_PNS1_23onesweep_lookback_stateEbbT6_jjT7_P12ihipStream_tbENKUlT_T0_SD_SI_E_clIS7_S7_S8_S8_EEDaSW_SX_SD_SI_EUlSW_E_NS1_11comp_targetILNS1_3genE2ELNS1_11target_archE906ELNS1_3gpuE6ELNS1_3repE0EEENS1_47radix_sort_onesweep_sort_config_static_selectorELNS0_4arch9wavefront6targetE1EEEvSD_
                                        ; -- End function
	.section	.AMDGPU.csdata,"",@progbits
; Kernel info:
; codeLenInByte = 0
; NumSgprs: 4
; NumVgprs: 0
; NumAgprs: 0
; TotalNumVgprs: 0
; ScratchSize: 0
; MemoryBound: 0
; FloatMode: 240
; IeeeMode: 1
; LDSByteSize: 0 bytes/workgroup (compile time only)
; SGPRBlocks: 0
; VGPRBlocks: 0
; NumSGPRsForWavesPerEU: 4
; NumVGPRsForWavesPerEU: 1
; AccumOffset: 4
; Occupancy: 8
; WaveLimiterHint : 0
; COMPUTE_PGM_RSRC2:SCRATCH_EN: 0
; COMPUTE_PGM_RSRC2:USER_SGPR: 6
; COMPUTE_PGM_RSRC2:TRAP_HANDLER: 0
; COMPUTE_PGM_RSRC2:TGID_X_EN: 1
; COMPUTE_PGM_RSRC2:TGID_Y_EN: 0
; COMPUTE_PGM_RSRC2:TGID_Z_EN: 0
; COMPUTE_PGM_RSRC2:TIDIG_COMP_CNT: 0
; COMPUTE_PGM_RSRC3_GFX90A:ACCUM_OFFSET: 0
; COMPUTE_PGM_RSRC3_GFX90A:TG_SPLIT: 0
	.section	.text._ZN7rocprim17ROCPRIM_400000_NS6detail17trampoline_kernelINS0_14default_configENS1_35radix_sort_onesweep_config_selectorIjyEEZZNS1_29radix_sort_onesweep_iterationIS3_Lb0EPjS7_PyS8_jNS0_19identity_decomposerENS1_16block_id_wrapperIjLb0EEEEE10hipError_tT1_PNSt15iterator_traitsISD_E10value_typeET2_T3_PNSE_ISJ_E10value_typeET4_T5_PSO_SP_PNS1_23onesweep_lookback_stateEbbT6_jjT7_P12ihipStream_tbENKUlT_T0_SD_SI_E_clIS7_S7_S8_S8_EEDaSW_SX_SD_SI_EUlSW_E_NS1_11comp_targetILNS1_3genE4ELNS1_11target_archE910ELNS1_3gpuE8ELNS1_3repE0EEENS1_47radix_sort_onesweep_sort_config_static_selectorELNS0_4arch9wavefront6targetE1EEEvSD_,"axG",@progbits,_ZN7rocprim17ROCPRIM_400000_NS6detail17trampoline_kernelINS0_14default_configENS1_35radix_sort_onesweep_config_selectorIjyEEZZNS1_29radix_sort_onesweep_iterationIS3_Lb0EPjS7_PyS8_jNS0_19identity_decomposerENS1_16block_id_wrapperIjLb0EEEEE10hipError_tT1_PNSt15iterator_traitsISD_E10value_typeET2_T3_PNSE_ISJ_E10value_typeET4_T5_PSO_SP_PNS1_23onesweep_lookback_stateEbbT6_jjT7_P12ihipStream_tbENKUlT_T0_SD_SI_E_clIS7_S7_S8_S8_EEDaSW_SX_SD_SI_EUlSW_E_NS1_11comp_targetILNS1_3genE4ELNS1_11target_archE910ELNS1_3gpuE8ELNS1_3repE0EEENS1_47radix_sort_onesweep_sort_config_static_selectorELNS0_4arch9wavefront6targetE1EEEvSD_,comdat
	.protected	_ZN7rocprim17ROCPRIM_400000_NS6detail17trampoline_kernelINS0_14default_configENS1_35radix_sort_onesweep_config_selectorIjyEEZZNS1_29radix_sort_onesweep_iterationIS3_Lb0EPjS7_PyS8_jNS0_19identity_decomposerENS1_16block_id_wrapperIjLb0EEEEE10hipError_tT1_PNSt15iterator_traitsISD_E10value_typeET2_T3_PNSE_ISJ_E10value_typeET4_T5_PSO_SP_PNS1_23onesweep_lookback_stateEbbT6_jjT7_P12ihipStream_tbENKUlT_T0_SD_SI_E_clIS7_S7_S8_S8_EEDaSW_SX_SD_SI_EUlSW_E_NS1_11comp_targetILNS1_3genE4ELNS1_11target_archE910ELNS1_3gpuE8ELNS1_3repE0EEENS1_47radix_sort_onesweep_sort_config_static_selectorELNS0_4arch9wavefront6targetE1EEEvSD_ ; -- Begin function _ZN7rocprim17ROCPRIM_400000_NS6detail17trampoline_kernelINS0_14default_configENS1_35radix_sort_onesweep_config_selectorIjyEEZZNS1_29radix_sort_onesweep_iterationIS3_Lb0EPjS7_PyS8_jNS0_19identity_decomposerENS1_16block_id_wrapperIjLb0EEEEE10hipError_tT1_PNSt15iterator_traitsISD_E10value_typeET2_T3_PNSE_ISJ_E10value_typeET4_T5_PSO_SP_PNS1_23onesweep_lookback_stateEbbT6_jjT7_P12ihipStream_tbENKUlT_T0_SD_SI_E_clIS7_S7_S8_S8_EEDaSW_SX_SD_SI_EUlSW_E_NS1_11comp_targetILNS1_3genE4ELNS1_11target_archE910ELNS1_3gpuE8ELNS1_3repE0EEENS1_47radix_sort_onesweep_sort_config_static_selectorELNS0_4arch9wavefront6targetE1EEEvSD_
	.globl	_ZN7rocprim17ROCPRIM_400000_NS6detail17trampoline_kernelINS0_14default_configENS1_35radix_sort_onesweep_config_selectorIjyEEZZNS1_29radix_sort_onesweep_iterationIS3_Lb0EPjS7_PyS8_jNS0_19identity_decomposerENS1_16block_id_wrapperIjLb0EEEEE10hipError_tT1_PNSt15iterator_traitsISD_E10value_typeET2_T3_PNSE_ISJ_E10value_typeET4_T5_PSO_SP_PNS1_23onesweep_lookback_stateEbbT6_jjT7_P12ihipStream_tbENKUlT_T0_SD_SI_E_clIS7_S7_S8_S8_EEDaSW_SX_SD_SI_EUlSW_E_NS1_11comp_targetILNS1_3genE4ELNS1_11target_archE910ELNS1_3gpuE8ELNS1_3repE0EEENS1_47radix_sort_onesweep_sort_config_static_selectorELNS0_4arch9wavefront6targetE1EEEvSD_
	.p2align	8
	.type	_ZN7rocprim17ROCPRIM_400000_NS6detail17trampoline_kernelINS0_14default_configENS1_35radix_sort_onesweep_config_selectorIjyEEZZNS1_29radix_sort_onesweep_iterationIS3_Lb0EPjS7_PyS8_jNS0_19identity_decomposerENS1_16block_id_wrapperIjLb0EEEEE10hipError_tT1_PNSt15iterator_traitsISD_E10value_typeET2_T3_PNSE_ISJ_E10value_typeET4_T5_PSO_SP_PNS1_23onesweep_lookback_stateEbbT6_jjT7_P12ihipStream_tbENKUlT_T0_SD_SI_E_clIS7_S7_S8_S8_EEDaSW_SX_SD_SI_EUlSW_E_NS1_11comp_targetILNS1_3genE4ELNS1_11target_archE910ELNS1_3gpuE8ELNS1_3repE0EEENS1_47radix_sort_onesweep_sort_config_static_selectorELNS0_4arch9wavefront6targetE1EEEvSD_,@function
_ZN7rocprim17ROCPRIM_400000_NS6detail17trampoline_kernelINS0_14default_configENS1_35radix_sort_onesweep_config_selectorIjyEEZZNS1_29radix_sort_onesweep_iterationIS3_Lb0EPjS7_PyS8_jNS0_19identity_decomposerENS1_16block_id_wrapperIjLb0EEEEE10hipError_tT1_PNSt15iterator_traitsISD_E10value_typeET2_T3_PNSE_ISJ_E10value_typeET4_T5_PSO_SP_PNS1_23onesweep_lookback_stateEbbT6_jjT7_P12ihipStream_tbENKUlT_T0_SD_SI_E_clIS7_S7_S8_S8_EEDaSW_SX_SD_SI_EUlSW_E_NS1_11comp_targetILNS1_3genE4ELNS1_11target_archE910ELNS1_3gpuE8ELNS1_3repE0EEENS1_47radix_sort_onesweep_sort_config_static_selectorELNS0_4arch9wavefront6targetE1EEEvSD_: ; @_ZN7rocprim17ROCPRIM_400000_NS6detail17trampoline_kernelINS0_14default_configENS1_35radix_sort_onesweep_config_selectorIjyEEZZNS1_29radix_sort_onesweep_iterationIS3_Lb0EPjS7_PyS8_jNS0_19identity_decomposerENS1_16block_id_wrapperIjLb0EEEEE10hipError_tT1_PNSt15iterator_traitsISD_E10value_typeET2_T3_PNSE_ISJ_E10value_typeET4_T5_PSO_SP_PNS1_23onesweep_lookback_stateEbbT6_jjT7_P12ihipStream_tbENKUlT_T0_SD_SI_E_clIS7_S7_S8_S8_EEDaSW_SX_SD_SI_EUlSW_E_NS1_11comp_targetILNS1_3genE4ELNS1_11target_archE910ELNS1_3gpuE8ELNS1_3repE0EEENS1_47radix_sort_onesweep_sort_config_static_selectorELNS0_4arch9wavefront6targetE1EEEvSD_
; %bb.0:
	s_load_dwordx8 s[40:47], s[4:5], 0x0
	s_load_dwordx4 s[52:55], s[4:5], 0x44
	s_load_dwordx4 s[48:51], s[4:5], 0x28
	s_load_dwordx2 s[56:57], s[4:5], 0x38
	v_mbcnt_lo_u32_b32 v1, -1, 0
	s_waitcnt lgkmcnt(0)
	s_cmp_ge_u32 s6, s54
	s_cbranch_scc0 .LBB557_95
; %bb.1:
	s_load_dword s0, s[4:5], 0x20
	s_lshl_b32 s1, s54, 13
	s_lshl_b32 s54, s6, 13
	s_mov_b32 s55, 0
	v_and_b32_e32 v18, 0x3ff, v0
	s_waitcnt lgkmcnt(0)
	s_sub_i32 s7, s0, s1
	s_lshl_b64 s[0:1], s[54:55], 2
	v_mbcnt_hi_u32_b32 v6, -1, v1
	s_add_u32 s0, s40, s0
	v_and_b32_e32 v22, 63, v6
	v_lshlrev_b32_e32 v2, 4, v18
	s_addc_u32 s1, s41, s1
	v_and_b32_e32 v19, 0x1c00, v2
	v_lshlrev_b32_e32 v2, 2, v22
	v_mov_b32_e32 v3, s1
	v_add_co_u32_e32 v2, vcc, s0, v2
	v_addc_co_u32_e32 v3, vcc, 0, v3, vcc
	v_lshlrev_b32_e32 v4, 2, v19
	v_add_co_u32_e32 v2, vcc, v2, v4
	v_addc_co_u32_e32 v3, vcc, 0, v3, vcc
	v_or_b32_e32 v4, v22, v19
	v_cmp_gt_u32_e32 vcc, s7, v4
	v_mov_b32_e32 v23, -1
	v_mov_b32_e32 v24, -1
	s_and_saveexec_b64 s[0:1], vcc
	s_cbranch_execz .LBB557_3
; %bb.2:
	global_load_dword v24, v[2:3], off
.LBB557_3:
	s_or_b64 exec, exec, s[0:1]
	v_or_b32_e32 v5, 64, v4
	v_cmp_gt_u32_e64 s[8:9], s7, v5
	v_mov_b32_e32 v25, -1
	s_and_saveexec_b64 s[0:1], s[8:9]
	s_cbranch_execz .LBB557_5
; %bb.4:
	global_load_dword v25, v[2:3], off offset:256
.LBB557_5:
	s_or_b64 exec, exec, s[0:1]
	v_or_b32_e32 v5, 0x80, v4
	v_cmp_gt_u32_e64 s[10:11], s7, v5
	s_and_saveexec_b64 s[0:1], s[10:11]
	s_cbranch_execz .LBB557_7
; %bb.6:
	global_load_dword v23, v[2:3], off offset:512
.LBB557_7:
	s_or_b64 exec, exec, s[0:1]
	v_or_b32_e32 v5, 0xc0, v4
	v_cmp_gt_u32_e64 s[14:15], s7, v5
	v_mov_b32_e32 v26, -1
	v_mov_b32_e32 v27, -1
	s_and_saveexec_b64 s[0:1], s[14:15]
	s_cbranch_execz .LBB557_9
; %bb.8:
	global_load_dword v27, v[2:3], off offset:768
.LBB557_9:
	s_or_b64 exec, exec, s[0:1]
	v_or_b32_e32 v5, 0x100, v4
	v_cmp_gt_u32_e64 s[18:19], s7, v5
	s_and_saveexec_b64 s[0:1], s[18:19]
	s_cbranch_execz .LBB557_11
; %bb.10:
	global_load_dword v26, v[2:3], off offset:1024
.LBB557_11:
	s_or_b64 exec, exec, s[0:1]
	v_or_b32_e32 v5, 0x140, v4
	v_cmp_gt_u32_e64 s[20:21], s7, v5
	v_mov_b32_e32 v28, -1
	;; [unrolled: 18-line block ×7, first 2 shown]
	s_and_saveexec_b64 s[34:35], s[0:1]
	s_cbranch_execz .LBB557_33
; %bb.32:
	global_load_dword v38, v[2:3], off offset:3840
.LBB557_33:
	s_or_b64 exec, exec, s[34:35]
	s_load_dword s34, s[4:5], 0x64
	s_load_dword s33, s[4:5], 0x58
	s_add_u32 s35, s4, 0x58
	s_addc_u32 s38, s5, 0
	v_mov_b32_e32 v2, 0
	s_waitcnt lgkmcnt(0)
	s_lshr_b32 s39, s34, 16
	s_cmp_lt_u32 s6, s33
	s_cselect_b32 s34, 12, 18
	s_add_u32 s34, s35, s34
	s_addc_u32 s35, s38, 0
	global_load_ushort v4, v2, s[34:35]
	s_lshl_b32 s34, -1, s53
	s_waitcnt vmcnt(1)
	v_lshrrev_b32_e32 v8, s52, v24
	s_not_b32 s66, s34
	v_and_b32_e32 v8, s66, v8
	v_and_b32_e32 v10, 1, v8
	v_bfe_u32 v3, v0, 10, 10
	v_bfe_u32 v5, v0, 20, 10
	v_add_co_u32_e64 v11, s[34:35], -1, v10
	v_mad_u32_u24 v5, v5, s39, v3
	v_lshlrev_b32_e32 v3, 30, v8
	v_addc_co_u32_e64 v12, s[34:35], 0, -1, s[34:35]
	v_cmp_ne_u32_e64 s[34:35], 0, v10
	v_cmp_gt_i64_e64 s[38:39], 0, v[2:3]
	v_not_b32_e32 v10, v3
	v_lshlrev_b32_e32 v3, 29, v8
	v_xor_b32_e32 v12, s35, v12
	v_xor_b32_e32 v11, s34, v11
	v_ashrrev_i32_e32 v10, 31, v10
	v_cmp_gt_i64_e64 s[34:35], 0, v[2:3]
	v_not_b32_e32 v13, v3
	v_lshlrev_b32_e32 v3, 28, v8
	v_and_b32_e32 v12, exec_hi, v12
	v_and_b32_e32 v11, exec_lo, v11
	v_xor_b32_e32 v14, s39, v10
	v_xor_b32_e32 v10, s38, v10
	v_ashrrev_i32_e32 v13, 31, v13
	v_cmp_gt_i64_e64 s[38:39], 0, v[2:3]
	v_not_b32_e32 v15, v3
	v_lshlrev_b32_e32 v3, 27, v8
	v_and_b32_e32 v12, v12, v14
	v_and_b32_e32 v10, v11, v10
	v_xor_b32_e32 v11, s35, v13
	v_xor_b32_e32 v13, s34, v13
	v_ashrrev_i32_e32 v14, 31, v15
	v_cmp_gt_i64_e64 s[34:35], 0, v[2:3]
	v_not_b32_e32 v15, v3
	v_lshlrev_b32_e32 v3, 26, v8
	v_and_b32_e32 v11, v12, v11
	v_and_b32_e32 v10, v10, v13
	;; [unrolled: 8-line block ×3, first 2 shown]
	v_xor_b32_e32 v12, s35, v14
	v_xor_b32_e32 v13, s34, v14
	v_ashrrev_i32_e32 v14, 31, v15
	v_cmp_gt_i64_e64 s[34:35], 0, v[2:3]
	v_not_b32_e32 v15, v3
	v_lshlrev_b32_e32 v3, 24, v8
	v_lshl_add_u32 v9, v8, 3, v8
	v_and_b32_e32 v8, v11, v12
	v_and_b32_e32 v10, v10, v13
	v_xor_b32_e32 v11, s39, v14
	v_xor_b32_e32 v12, s38, v14
	v_ashrrev_i32_e32 v13, 31, v15
	v_cmp_gt_i64_e64 s[38:39], 0, v[2:3]
	v_not_b32_e32 v3, v3
	v_and_b32_e32 v8, v8, v11
	v_and_b32_e32 v10, v10, v12
	v_xor_b32_e32 v11, s35, v13
	v_xor_b32_e32 v12, s34, v13
	v_ashrrev_i32_e32 v3, 31, v3
	v_and_b32_e32 v8, v8, v11
	v_and_b32_e32 v10, v10, v12
	v_mul_u32_u24_e32 v7, 5, v18
	v_lshlrev_b32_e32 v7, 2, v7
	ds_write2_b32 v7, v2, v2 offset0:8 offset1:9
	ds_write2_b32 v7, v2, v2 offset0:10 offset1:11
	ds_write_b32 v7, v2 offset:48
	s_waitcnt lgkmcnt(0)
	s_barrier
	s_waitcnt lgkmcnt(0)
	; wave barrier
	s_waitcnt vmcnt(0)
	v_mad_u64_u32 v[4:5], s[34:35], v5, v4, v[18:19]
	v_lshrrev_b32_e32 v21, 6, v4
	v_xor_b32_e32 v4, s39, v3
	v_xor_b32_e32 v3, s38, v3
	v_and_b32_e32 v5, v8, v4
	v_and_b32_e32 v4, v10, v3
	v_mbcnt_lo_u32_b32 v3, v4, 0
	v_mbcnt_hi_u32_b32 v8, v5, v3
	v_cmp_eq_u32_e64 s[34:35], 0, v8
	v_cmp_ne_u64_e64 s[38:39], 0, v[4:5]
	v_add_lshl_u32 v12, v21, v9, 2
	s_and_b64 s[38:39], s[38:39], s[34:35]
	s_and_saveexec_b64 s[34:35], s[38:39]
	s_cbranch_execz .LBB557_35
; %bb.34:
	v_bcnt_u32_b32 v3, v4, 0
	v_bcnt_u32_b32 v3, v5, v3
	ds_write_b32 v12, v3 offset:32
.LBB557_35:
	s_or_b64 exec, exec, s[34:35]
	v_lshrrev_b32_e32 v3, s52, v25
	v_and_b32_e32 v4, s66, v3
	v_lshl_add_u32 v3, v4, 3, v4
	v_add_lshl_u32 v13, v21, v3, 2
	v_and_b32_e32 v3, 1, v4
	v_add_co_u32_e64 v5, s[34:35], -1, v3
	v_addc_co_u32_e64 v10, s[34:35], 0, -1, s[34:35]
	v_cmp_ne_u32_e64 s[34:35], 0, v3
	v_xor_b32_e32 v3, s35, v10
	v_and_b32_e32 v10, exec_hi, v3
	v_lshlrev_b32_e32 v3, 30, v4
	v_xor_b32_e32 v5, s34, v5
	v_cmp_gt_i64_e64 s[34:35], 0, v[2:3]
	v_not_b32_e32 v3, v3
	v_ashrrev_i32_e32 v3, 31, v3
	v_and_b32_e32 v5, exec_lo, v5
	v_xor_b32_e32 v11, s35, v3
	v_xor_b32_e32 v3, s34, v3
	v_and_b32_e32 v5, v5, v3
	v_lshlrev_b32_e32 v3, 29, v4
	v_cmp_gt_i64_e64 s[34:35], 0, v[2:3]
	v_not_b32_e32 v3, v3
	v_ashrrev_i32_e32 v3, 31, v3
	v_and_b32_e32 v10, v10, v11
	v_xor_b32_e32 v11, s35, v3
	v_xor_b32_e32 v3, s34, v3
	v_and_b32_e32 v5, v5, v3
	v_lshlrev_b32_e32 v3, 28, v4
	v_cmp_gt_i64_e64 s[34:35], 0, v[2:3]
	v_not_b32_e32 v3, v3
	v_ashrrev_i32_e32 v3, 31, v3
	v_and_b32_e32 v10, v10, v11
	;; [unrolled: 8-line block ×5, first 2 shown]
	v_xor_b32_e32 v11, s35, v3
	v_xor_b32_e32 v3, s34, v3
	v_and_b32_e32 v5, v5, v3
	v_lshlrev_b32_e32 v3, 24, v4
	v_cmp_gt_i64_e64 s[34:35], 0, v[2:3]
	v_not_b32_e32 v2, v3
	v_ashrrev_i32_e32 v2, 31, v2
	v_xor_b32_e32 v3, s35, v2
	v_xor_b32_e32 v2, s34, v2
	; wave barrier
	ds_read_b32 v9, v13 offset:32
	v_and_b32_e32 v10, v10, v11
	v_and_b32_e32 v2, v5, v2
	;; [unrolled: 1-line block ×3, first 2 shown]
	v_mbcnt_lo_u32_b32 v4, v2, 0
	v_mbcnt_hi_u32_b32 v10, v3, v4
	v_cmp_eq_u32_e64 s[34:35], 0, v10
	v_cmp_ne_u64_e64 s[38:39], 0, v[2:3]
	s_and_b64 s[38:39], s[38:39], s[34:35]
	; wave barrier
	s_and_saveexec_b64 s[34:35], s[38:39]
	s_cbranch_execz .LBB557_37
; %bb.36:
	v_bcnt_u32_b32 v2, v2, 0
	v_bcnt_u32_b32 v2, v3, v2
	s_waitcnt lgkmcnt(0)
	v_add_u32_e32 v2, v9, v2
	ds_write_b32 v13, v2 offset:32
.LBB557_37:
	s_or_b64 exec, exec, s[34:35]
	v_lshrrev_b32_e32 v2, s52, v23
	v_and_b32_e32 v4, s66, v2
	v_and_b32_e32 v3, 1, v4
	v_add_co_u32_e64 v5, s[34:35], -1, v3
	v_addc_co_u32_e64 v14, s[34:35], 0, -1, s[34:35]
	v_cmp_ne_u32_e64 s[34:35], 0, v3
	v_lshl_add_u32 v2, v4, 3, v4
	v_xor_b32_e32 v3, s35, v14
	v_add_lshl_u32 v16, v21, v2, 2
	v_mov_b32_e32 v2, 0
	v_and_b32_e32 v14, exec_hi, v3
	v_lshlrev_b32_e32 v3, 30, v4
	v_xor_b32_e32 v5, s34, v5
	v_cmp_gt_i64_e64 s[34:35], 0, v[2:3]
	v_not_b32_e32 v3, v3
	v_ashrrev_i32_e32 v3, 31, v3
	v_and_b32_e32 v5, exec_lo, v5
	v_xor_b32_e32 v15, s35, v3
	v_xor_b32_e32 v3, s34, v3
	v_and_b32_e32 v5, v5, v3
	v_lshlrev_b32_e32 v3, 29, v4
	v_cmp_gt_i64_e64 s[34:35], 0, v[2:3]
	v_not_b32_e32 v3, v3
	v_ashrrev_i32_e32 v3, 31, v3
	v_and_b32_e32 v14, v14, v15
	v_xor_b32_e32 v15, s35, v3
	v_xor_b32_e32 v3, s34, v3
	v_and_b32_e32 v5, v5, v3
	v_lshlrev_b32_e32 v3, 28, v4
	v_cmp_gt_i64_e64 s[34:35], 0, v[2:3]
	v_not_b32_e32 v3, v3
	v_ashrrev_i32_e32 v3, 31, v3
	v_and_b32_e32 v14, v14, v15
	;; [unrolled: 8-line block ×5, first 2 shown]
	v_xor_b32_e32 v15, s35, v3
	v_xor_b32_e32 v3, s34, v3
	v_and_b32_e32 v14, v14, v15
	v_and_b32_e32 v15, v5, v3
	v_lshlrev_b32_e32 v3, 24, v4
	v_cmp_gt_i64_e64 s[34:35], 0, v[2:3]
	v_not_b32_e32 v3, v3
	v_ashrrev_i32_e32 v3, 31, v3
	v_xor_b32_e32 v4, s35, v3
	v_xor_b32_e32 v3, s34, v3
	; wave barrier
	ds_read_b32 v11, v16 offset:32
	v_and_b32_e32 v5, v14, v4
	v_and_b32_e32 v4, v15, v3
	v_mbcnt_lo_u32_b32 v3, v4, 0
	v_mbcnt_hi_u32_b32 v14, v5, v3
	v_cmp_eq_u32_e64 s[34:35], 0, v14
	v_cmp_ne_u64_e64 s[38:39], 0, v[4:5]
	s_and_b64 s[38:39], s[38:39], s[34:35]
	; wave barrier
	s_and_saveexec_b64 s[34:35], s[38:39]
	s_cbranch_execz .LBB557_39
; %bb.38:
	v_bcnt_u32_b32 v3, v4, 0
	v_bcnt_u32_b32 v3, v5, v3
	s_waitcnt lgkmcnt(0)
	v_add_u32_e32 v3, v11, v3
	ds_write_b32 v16, v3 offset:32
.LBB557_39:
	s_or_b64 exec, exec, s[34:35]
	v_lshrrev_b32_e32 v3, s52, v27
	v_and_b32_e32 v4, s66, v3
	v_lshl_add_u32 v3, v4, 3, v4
	v_add_lshl_u32 v39, v21, v3, 2
	v_and_b32_e32 v3, 1, v4
	v_add_co_u32_e64 v5, s[34:35], -1, v3
	v_addc_co_u32_e64 v17, s[34:35], 0, -1, s[34:35]
	v_cmp_ne_u32_e64 s[34:35], 0, v3
	v_xor_b32_e32 v3, s35, v17
	v_and_b32_e32 v17, exec_hi, v3
	v_lshlrev_b32_e32 v3, 30, v4
	v_xor_b32_e32 v5, s34, v5
	v_cmp_gt_i64_e64 s[34:35], 0, v[2:3]
	v_not_b32_e32 v3, v3
	v_ashrrev_i32_e32 v3, 31, v3
	v_and_b32_e32 v5, exec_lo, v5
	v_xor_b32_e32 v20, s35, v3
	v_xor_b32_e32 v3, s34, v3
	v_and_b32_e32 v5, v5, v3
	v_lshlrev_b32_e32 v3, 29, v4
	v_cmp_gt_i64_e64 s[34:35], 0, v[2:3]
	v_not_b32_e32 v3, v3
	v_ashrrev_i32_e32 v3, 31, v3
	v_and_b32_e32 v17, v17, v20
	v_xor_b32_e32 v20, s35, v3
	v_xor_b32_e32 v3, s34, v3
	v_and_b32_e32 v5, v5, v3
	v_lshlrev_b32_e32 v3, 28, v4
	v_cmp_gt_i64_e64 s[34:35], 0, v[2:3]
	v_not_b32_e32 v3, v3
	v_ashrrev_i32_e32 v3, 31, v3
	v_and_b32_e32 v17, v17, v20
	;; [unrolled: 8-line block ×5, first 2 shown]
	v_xor_b32_e32 v20, s35, v3
	v_xor_b32_e32 v3, s34, v3
	v_and_b32_e32 v5, v5, v3
	v_lshlrev_b32_e32 v3, 24, v4
	v_cmp_gt_i64_e64 s[34:35], 0, v[2:3]
	v_not_b32_e32 v2, v3
	v_ashrrev_i32_e32 v2, 31, v2
	v_xor_b32_e32 v3, s35, v2
	v_xor_b32_e32 v2, s34, v2
	; wave barrier
	ds_read_b32 v15, v39 offset:32
	v_and_b32_e32 v17, v17, v20
	v_and_b32_e32 v2, v5, v2
	;; [unrolled: 1-line block ×3, first 2 shown]
	v_mbcnt_lo_u32_b32 v4, v2, 0
	v_mbcnt_hi_u32_b32 v17, v3, v4
	v_cmp_eq_u32_e64 s[34:35], 0, v17
	v_cmp_ne_u64_e64 s[38:39], 0, v[2:3]
	s_and_b64 s[38:39], s[38:39], s[34:35]
	; wave barrier
	s_and_saveexec_b64 s[34:35], s[38:39]
	s_cbranch_execz .LBB557_41
; %bb.40:
	v_bcnt_u32_b32 v2, v2, 0
	v_bcnt_u32_b32 v2, v3, v2
	s_waitcnt lgkmcnt(0)
	v_add_u32_e32 v2, v15, v2
	ds_write_b32 v39, v2 offset:32
.LBB557_41:
	s_or_b64 exec, exec, s[34:35]
	v_lshrrev_b32_e32 v2, s52, v26
	v_and_b32_e32 v4, s66, v2
	v_and_b32_e32 v3, 1, v4
	v_add_co_u32_e64 v5, s[34:35], -1, v3
	v_addc_co_u32_e64 v40, s[34:35], 0, -1, s[34:35]
	v_cmp_ne_u32_e64 s[34:35], 0, v3
	v_lshl_add_u32 v2, v4, 3, v4
	v_xor_b32_e32 v3, s35, v40
	v_add_lshl_u32 v42, v21, v2, 2
	v_mov_b32_e32 v2, 0
	v_and_b32_e32 v40, exec_hi, v3
	v_lshlrev_b32_e32 v3, 30, v4
	v_xor_b32_e32 v5, s34, v5
	v_cmp_gt_i64_e64 s[34:35], 0, v[2:3]
	v_not_b32_e32 v3, v3
	v_ashrrev_i32_e32 v3, 31, v3
	v_and_b32_e32 v5, exec_lo, v5
	v_xor_b32_e32 v41, s35, v3
	v_xor_b32_e32 v3, s34, v3
	v_and_b32_e32 v5, v5, v3
	v_lshlrev_b32_e32 v3, 29, v4
	v_cmp_gt_i64_e64 s[34:35], 0, v[2:3]
	v_not_b32_e32 v3, v3
	v_ashrrev_i32_e32 v3, 31, v3
	v_and_b32_e32 v40, v40, v41
	v_xor_b32_e32 v41, s35, v3
	v_xor_b32_e32 v3, s34, v3
	v_and_b32_e32 v5, v5, v3
	v_lshlrev_b32_e32 v3, 28, v4
	v_cmp_gt_i64_e64 s[34:35], 0, v[2:3]
	v_not_b32_e32 v3, v3
	v_ashrrev_i32_e32 v3, 31, v3
	v_and_b32_e32 v40, v40, v41
	;; [unrolled: 8-line block ×5, first 2 shown]
	v_xor_b32_e32 v41, s35, v3
	v_xor_b32_e32 v3, s34, v3
	v_and_b32_e32 v40, v40, v41
	v_and_b32_e32 v41, v5, v3
	v_lshlrev_b32_e32 v3, 24, v4
	v_cmp_gt_i64_e64 s[34:35], 0, v[2:3]
	v_not_b32_e32 v3, v3
	v_ashrrev_i32_e32 v3, 31, v3
	v_xor_b32_e32 v4, s35, v3
	v_xor_b32_e32 v3, s34, v3
	; wave barrier
	ds_read_b32 v20, v42 offset:32
	v_and_b32_e32 v5, v40, v4
	v_and_b32_e32 v4, v41, v3
	v_mbcnt_lo_u32_b32 v3, v4, 0
	v_mbcnt_hi_u32_b32 v40, v5, v3
	v_cmp_eq_u32_e64 s[34:35], 0, v40
	v_cmp_ne_u64_e64 s[38:39], 0, v[4:5]
	s_and_b64 s[38:39], s[38:39], s[34:35]
	; wave barrier
	s_and_saveexec_b64 s[34:35], s[38:39]
	s_cbranch_execz .LBB557_43
; %bb.42:
	v_bcnt_u32_b32 v3, v4, 0
	v_bcnt_u32_b32 v3, v5, v3
	s_waitcnt lgkmcnt(0)
	v_add_u32_e32 v3, v20, v3
	ds_write_b32 v42, v3 offset:32
.LBB557_43:
	s_or_b64 exec, exec, s[34:35]
	v_lshrrev_b32_e32 v3, s52, v29
	v_and_b32_e32 v4, s66, v3
	v_lshl_add_u32 v3, v4, 3, v4
	v_add_lshl_u32 v45, v21, v3, 2
	v_and_b32_e32 v3, 1, v4
	v_add_co_u32_e64 v5, s[34:35], -1, v3
	v_addc_co_u32_e64 v43, s[34:35], 0, -1, s[34:35]
	v_cmp_ne_u32_e64 s[34:35], 0, v3
	v_xor_b32_e32 v3, s35, v43
	v_and_b32_e32 v43, exec_hi, v3
	v_lshlrev_b32_e32 v3, 30, v4
	v_xor_b32_e32 v5, s34, v5
	v_cmp_gt_i64_e64 s[34:35], 0, v[2:3]
	v_not_b32_e32 v3, v3
	v_ashrrev_i32_e32 v3, 31, v3
	v_and_b32_e32 v5, exec_lo, v5
	v_xor_b32_e32 v44, s35, v3
	v_xor_b32_e32 v3, s34, v3
	v_and_b32_e32 v5, v5, v3
	v_lshlrev_b32_e32 v3, 29, v4
	v_cmp_gt_i64_e64 s[34:35], 0, v[2:3]
	v_not_b32_e32 v3, v3
	v_ashrrev_i32_e32 v3, 31, v3
	v_and_b32_e32 v43, v43, v44
	v_xor_b32_e32 v44, s35, v3
	v_xor_b32_e32 v3, s34, v3
	v_and_b32_e32 v5, v5, v3
	v_lshlrev_b32_e32 v3, 28, v4
	v_cmp_gt_i64_e64 s[34:35], 0, v[2:3]
	v_not_b32_e32 v3, v3
	v_ashrrev_i32_e32 v3, 31, v3
	v_and_b32_e32 v43, v43, v44
	;; [unrolled: 8-line block ×5, first 2 shown]
	v_xor_b32_e32 v44, s35, v3
	v_xor_b32_e32 v3, s34, v3
	v_and_b32_e32 v5, v5, v3
	v_lshlrev_b32_e32 v3, 24, v4
	v_cmp_gt_i64_e64 s[34:35], 0, v[2:3]
	v_not_b32_e32 v2, v3
	v_ashrrev_i32_e32 v2, 31, v2
	v_xor_b32_e32 v3, s35, v2
	v_xor_b32_e32 v2, s34, v2
	; wave barrier
	ds_read_b32 v41, v45 offset:32
	v_and_b32_e32 v43, v43, v44
	v_and_b32_e32 v2, v5, v2
	v_and_b32_e32 v3, v43, v3
	v_mbcnt_lo_u32_b32 v4, v2, 0
	v_mbcnt_hi_u32_b32 v43, v3, v4
	v_cmp_eq_u32_e64 s[34:35], 0, v43
	v_cmp_ne_u64_e64 s[38:39], 0, v[2:3]
	s_and_b64 s[38:39], s[38:39], s[34:35]
	; wave barrier
	s_and_saveexec_b64 s[34:35], s[38:39]
	s_cbranch_execz .LBB557_45
; %bb.44:
	v_bcnt_u32_b32 v2, v2, 0
	v_bcnt_u32_b32 v2, v3, v2
	s_waitcnt lgkmcnt(0)
	v_add_u32_e32 v2, v41, v2
	ds_write_b32 v45, v2 offset:32
.LBB557_45:
	s_or_b64 exec, exec, s[34:35]
	v_lshrrev_b32_e32 v2, s52, v28
	v_and_b32_e32 v4, s66, v2
	v_and_b32_e32 v3, 1, v4
	v_add_co_u32_e64 v5, s[34:35], -1, v3
	v_addc_co_u32_e64 v46, s[34:35], 0, -1, s[34:35]
	v_cmp_ne_u32_e64 s[34:35], 0, v3
	v_lshl_add_u32 v2, v4, 3, v4
	v_xor_b32_e32 v3, s35, v46
	v_add_lshl_u32 v48, v21, v2, 2
	v_mov_b32_e32 v2, 0
	v_and_b32_e32 v46, exec_hi, v3
	v_lshlrev_b32_e32 v3, 30, v4
	v_xor_b32_e32 v5, s34, v5
	v_cmp_gt_i64_e64 s[34:35], 0, v[2:3]
	v_not_b32_e32 v3, v3
	v_ashrrev_i32_e32 v3, 31, v3
	v_and_b32_e32 v5, exec_lo, v5
	v_xor_b32_e32 v47, s35, v3
	v_xor_b32_e32 v3, s34, v3
	v_and_b32_e32 v5, v5, v3
	v_lshlrev_b32_e32 v3, 29, v4
	v_cmp_gt_i64_e64 s[34:35], 0, v[2:3]
	v_not_b32_e32 v3, v3
	v_ashrrev_i32_e32 v3, 31, v3
	v_and_b32_e32 v46, v46, v47
	v_xor_b32_e32 v47, s35, v3
	v_xor_b32_e32 v3, s34, v3
	v_and_b32_e32 v5, v5, v3
	v_lshlrev_b32_e32 v3, 28, v4
	v_cmp_gt_i64_e64 s[34:35], 0, v[2:3]
	v_not_b32_e32 v3, v3
	v_ashrrev_i32_e32 v3, 31, v3
	v_and_b32_e32 v46, v46, v47
	v_xor_b32_e32 v47, s35, v3
	v_xor_b32_e32 v3, s34, v3
	v_and_b32_e32 v5, v5, v3
	v_lshlrev_b32_e32 v3, 27, v4
	v_cmp_gt_i64_e64 s[34:35], 0, v[2:3]
	v_not_b32_e32 v3, v3
	v_ashrrev_i32_e32 v3, 31, v3
	v_and_b32_e32 v46, v46, v47
	v_xor_b32_e32 v47, s35, v3
	v_xor_b32_e32 v3, s34, v3
	v_and_b32_e32 v5, v5, v3
	v_lshlrev_b32_e32 v3, 26, v4
	v_cmp_gt_i64_e64 s[34:35], 0, v[2:3]
	v_not_b32_e32 v3, v3
	v_ashrrev_i32_e32 v3, 31, v3
	v_and_b32_e32 v46, v46, v47
	v_xor_b32_e32 v47, s35, v3
	v_xor_b32_e32 v3, s34, v3
	v_and_b32_e32 v5, v5, v3
	v_lshlrev_b32_e32 v3, 25, v4
	v_cmp_gt_i64_e64 s[34:35], 0, v[2:3]
	v_not_b32_e32 v3, v3
	v_ashrrev_i32_e32 v3, 31, v3
	v_and_b32_e32 v46, v46, v47
	v_xor_b32_e32 v47, s35, v3
	v_xor_b32_e32 v3, s34, v3
	v_and_b32_e32 v46, v46, v47
	v_and_b32_e32 v47, v5, v3
	v_lshlrev_b32_e32 v3, 24, v4
	v_cmp_gt_i64_e64 s[34:35], 0, v[2:3]
	v_not_b32_e32 v3, v3
	v_ashrrev_i32_e32 v3, 31, v3
	v_xor_b32_e32 v4, s35, v3
	v_xor_b32_e32 v3, s34, v3
	; wave barrier
	ds_read_b32 v44, v48 offset:32
	v_and_b32_e32 v5, v46, v4
	v_and_b32_e32 v4, v47, v3
	v_mbcnt_lo_u32_b32 v3, v4, 0
	v_mbcnt_hi_u32_b32 v46, v5, v3
	v_cmp_eq_u32_e64 s[34:35], 0, v46
	v_cmp_ne_u64_e64 s[38:39], 0, v[4:5]
	s_and_b64 s[38:39], s[38:39], s[34:35]
	; wave barrier
	s_and_saveexec_b64 s[34:35], s[38:39]
	s_cbranch_execz .LBB557_47
; %bb.46:
	v_bcnt_u32_b32 v3, v4, 0
	v_bcnt_u32_b32 v3, v5, v3
	s_waitcnt lgkmcnt(0)
	v_add_u32_e32 v3, v44, v3
	ds_write_b32 v48, v3 offset:32
.LBB557_47:
	s_or_b64 exec, exec, s[34:35]
	v_lshrrev_b32_e32 v3, s52, v31
	v_and_b32_e32 v4, s66, v3
	v_lshl_add_u32 v3, v4, 3, v4
	v_add_lshl_u32 v51, v21, v3, 2
	v_and_b32_e32 v3, 1, v4
	v_add_co_u32_e64 v5, s[34:35], -1, v3
	v_addc_co_u32_e64 v49, s[34:35], 0, -1, s[34:35]
	v_cmp_ne_u32_e64 s[34:35], 0, v3
	v_xor_b32_e32 v3, s35, v49
	v_and_b32_e32 v49, exec_hi, v3
	v_lshlrev_b32_e32 v3, 30, v4
	v_xor_b32_e32 v5, s34, v5
	v_cmp_gt_i64_e64 s[34:35], 0, v[2:3]
	v_not_b32_e32 v3, v3
	v_ashrrev_i32_e32 v3, 31, v3
	v_and_b32_e32 v5, exec_lo, v5
	v_xor_b32_e32 v50, s35, v3
	v_xor_b32_e32 v3, s34, v3
	v_and_b32_e32 v5, v5, v3
	v_lshlrev_b32_e32 v3, 29, v4
	v_cmp_gt_i64_e64 s[34:35], 0, v[2:3]
	v_not_b32_e32 v3, v3
	v_ashrrev_i32_e32 v3, 31, v3
	v_and_b32_e32 v49, v49, v50
	v_xor_b32_e32 v50, s35, v3
	v_xor_b32_e32 v3, s34, v3
	v_and_b32_e32 v5, v5, v3
	v_lshlrev_b32_e32 v3, 28, v4
	v_cmp_gt_i64_e64 s[34:35], 0, v[2:3]
	v_not_b32_e32 v3, v3
	v_ashrrev_i32_e32 v3, 31, v3
	v_and_b32_e32 v49, v49, v50
	;; [unrolled: 8-line block ×5, first 2 shown]
	v_xor_b32_e32 v50, s35, v3
	v_xor_b32_e32 v3, s34, v3
	v_and_b32_e32 v5, v5, v3
	v_lshlrev_b32_e32 v3, 24, v4
	v_cmp_gt_i64_e64 s[34:35], 0, v[2:3]
	v_not_b32_e32 v2, v3
	v_ashrrev_i32_e32 v2, 31, v2
	v_xor_b32_e32 v3, s35, v2
	v_xor_b32_e32 v2, s34, v2
	; wave barrier
	ds_read_b32 v47, v51 offset:32
	v_and_b32_e32 v49, v49, v50
	v_and_b32_e32 v2, v5, v2
	;; [unrolled: 1-line block ×3, first 2 shown]
	v_mbcnt_lo_u32_b32 v4, v2, 0
	v_mbcnt_hi_u32_b32 v49, v3, v4
	v_cmp_eq_u32_e64 s[34:35], 0, v49
	v_cmp_ne_u64_e64 s[38:39], 0, v[2:3]
	s_and_b64 s[38:39], s[38:39], s[34:35]
	; wave barrier
	s_and_saveexec_b64 s[34:35], s[38:39]
	s_cbranch_execz .LBB557_49
; %bb.48:
	v_bcnt_u32_b32 v2, v2, 0
	v_bcnt_u32_b32 v2, v3, v2
	s_waitcnt lgkmcnt(0)
	v_add_u32_e32 v2, v47, v2
	ds_write_b32 v51, v2 offset:32
.LBB557_49:
	s_or_b64 exec, exec, s[34:35]
	v_lshrrev_b32_e32 v2, s52, v30
	v_and_b32_e32 v4, s66, v2
	v_and_b32_e32 v3, 1, v4
	v_add_co_u32_e64 v5, s[34:35], -1, v3
	v_addc_co_u32_e64 v52, s[34:35], 0, -1, s[34:35]
	v_cmp_ne_u32_e64 s[34:35], 0, v3
	v_lshl_add_u32 v2, v4, 3, v4
	v_xor_b32_e32 v3, s35, v52
	v_add_lshl_u32 v54, v21, v2, 2
	v_mov_b32_e32 v2, 0
	v_and_b32_e32 v52, exec_hi, v3
	v_lshlrev_b32_e32 v3, 30, v4
	v_xor_b32_e32 v5, s34, v5
	v_cmp_gt_i64_e64 s[34:35], 0, v[2:3]
	v_not_b32_e32 v3, v3
	v_ashrrev_i32_e32 v3, 31, v3
	v_and_b32_e32 v5, exec_lo, v5
	v_xor_b32_e32 v53, s35, v3
	v_xor_b32_e32 v3, s34, v3
	v_and_b32_e32 v5, v5, v3
	v_lshlrev_b32_e32 v3, 29, v4
	v_cmp_gt_i64_e64 s[34:35], 0, v[2:3]
	v_not_b32_e32 v3, v3
	v_ashrrev_i32_e32 v3, 31, v3
	v_and_b32_e32 v52, v52, v53
	v_xor_b32_e32 v53, s35, v3
	v_xor_b32_e32 v3, s34, v3
	v_and_b32_e32 v5, v5, v3
	v_lshlrev_b32_e32 v3, 28, v4
	v_cmp_gt_i64_e64 s[34:35], 0, v[2:3]
	v_not_b32_e32 v3, v3
	v_ashrrev_i32_e32 v3, 31, v3
	v_and_b32_e32 v52, v52, v53
	;; [unrolled: 8-line block ×5, first 2 shown]
	v_xor_b32_e32 v53, s35, v3
	v_xor_b32_e32 v3, s34, v3
	v_and_b32_e32 v52, v52, v53
	v_and_b32_e32 v53, v5, v3
	v_lshlrev_b32_e32 v3, 24, v4
	v_cmp_gt_i64_e64 s[34:35], 0, v[2:3]
	v_not_b32_e32 v3, v3
	v_ashrrev_i32_e32 v3, 31, v3
	v_xor_b32_e32 v4, s35, v3
	v_xor_b32_e32 v3, s34, v3
	; wave barrier
	ds_read_b32 v50, v54 offset:32
	v_and_b32_e32 v5, v52, v4
	v_and_b32_e32 v4, v53, v3
	v_mbcnt_lo_u32_b32 v3, v4, 0
	v_mbcnt_hi_u32_b32 v52, v5, v3
	v_cmp_eq_u32_e64 s[34:35], 0, v52
	v_cmp_ne_u64_e64 s[38:39], 0, v[4:5]
	s_and_b64 s[38:39], s[38:39], s[34:35]
	; wave barrier
	s_and_saveexec_b64 s[34:35], s[38:39]
	s_cbranch_execz .LBB557_51
; %bb.50:
	v_bcnt_u32_b32 v3, v4, 0
	v_bcnt_u32_b32 v3, v5, v3
	s_waitcnt lgkmcnt(0)
	v_add_u32_e32 v3, v50, v3
	ds_write_b32 v54, v3 offset:32
.LBB557_51:
	s_or_b64 exec, exec, s[34:35]
	v_lshrrev_b32_e32 v3, s52, v33
	v_and_b32_e32 v4, s66, v3
	v_lshl_add_u32 v3, v4, 3, v4
	v_add_lshl_u32 v57, v21, v3, 2
	v_and_b32_e32 v3, 1, v4
	v_add_co_u32_e64 v5, s[34:35], -1, v3
	v_addc_co_u32_e64 v55, s[34:35], 0, -1, s[34:35]
	v_cmp_ne_u32_e64 s[34:35], 0, v3
	v_xor_b32_e32 v3, s35, v55
	v_and_b32_e32 v55, exec_hi, v3
	v_lshlrev_b32_e32 v3, 30, v4
	v_xor_b32_e32 v5, s34, v5
	v_cmp_gt_i64_e64 s[34:35], 0, v[2:3]
	v_not_b32_e32 v3, v3
	v_ashrrev_i32_e32 v3, 31, v3
	v_and_b32_e32 v5, exec_lo, v5
	v_xor_b32_e32 v56, s35, v3
	v_xor_b32_e32 v3, s34, v3
	v_and_b32_e32 v5, v5, v3
	v_lshlrev_b32_e32 v3, 29, v4
	v_cmp_gt_i64_e64 s[34:35], 0, v[2:3]
	v_not_b32_e32 v3, v3
	v_ashrrev_i32_e32 v3, 31, v3
	v_and_b32_e32 v55, v55, v56
	v_xor_b32_e32 v56, s35, v3
	v_xor_b32_e32 v3, s34, v3
	v_and_b32_e32 v5, v5, v3
	v_lshlrev_b32_e32 v3, 28, v4
	v_cmp_gt_i64_e64 s[34:35], 0, v[2:3]
	v_not_b32_e32 v3, v3
	v_ashrrev_i32_e32 v3, 31, v3
	v_and_b32_e32 v55, v55, v56
	;; [unrolled: 8-line block ×5, first 2 shown]
	v_xor_b32_e32 v56, s35, v3
	v_xor_b32_e32 v3, s34, v3
	v_and_b32_e32 v5, v5, v3
	v_lshlrev_b32_e32 v3, 24, v4
	v_cmp_gt_i64_e64 s[34:35], 0, v[2:3]
	v_not_b32_e32 v2, v3
	v_ashrrev_i32_e32 v2, 31, v2
	v_xor_b32_e32 v3, s35, v2
	v_xor_b32_e32 v2, s34, v2
	; wave barrier
	ds_read_b32 v53, v57 offset:32
	v_and_b32_e32 v55, v55, v56
	v_and_b32_e32 v2, v5, v2
	;; [unrolled: 1-line block ×3, first 2 shown]
	v_mbcnt_lo_u32_b32 v4, v2, 0
	v_mbcnt_hi_u32_b32 v55, v3, v4
	v_cmp_eq_u32_e64 s[34:35], 0, v55
	v_cmp_ne_u64_e64 s[38:39], 0, v[2:3]
	s_and_b64 s[38:39], s[38:39], s[34:35]
	; wave barrier
	s_and_saveexec_b64 s[34:35], s[38:39]
	s_cbranch_execz .LBB557_53
; %bb.52:
	v_bcnt_u32_b32 v2, v2, 0
	v_bcnt_u32_b32 v2, v3, v2
	s_waitcnt lgkmcnt(0)
	v_add_u32_e32 v2, v53, v2
	ds_write_b32 v57, v2 offset:32
.LBB557_53:
	s_or_b64 exec, exec, s[34:35]
	v_lshrrev_b32_e32 v2, s52, v32
	v_and_b32_e32 v4, s66, v2
	v_and_b32_e32 v3, 1, v4
	v_add_co_u32_e64 v5, s[34:35], -1, v3
	v_addc_co_u32_e64 v58, s[34:35], 0, -1, s[34:35]
	v_cmp_ne_u32_e64 s[34:35], 0, v3
	v_lshl_add_u32 v2, v4, 3, v4
	v_xor_b32_e32 v3, s35, v58
	v_add_lshl_u32 v60, v21, v2, 2
	v_mov_b32_e32 v2, 0
	v_and_b32_e32 v58, exec_hi, v3
	v_lshlrev_b32_e32 v3, 30, v4
	v_xor_b32_e32 v5, s34, v5
	v_cmp_gt_i64_e64 s[34:35], 0, v[2:3]
	v_not_b32_e32 v3, v3
	v_ashrrev_i32_e32 v3, 31, v3
	v_and_b32_e32 v5, exec_lo, v5
	v_xor_b32_e32 v59, s35, v3
	v_xor_b32_e32 v3, s34, v3
	v_and_b32_e32 v5, v5, v3
	v_lshlrev_b32_e32 v3, 29, v4
	v_cmp_gt_i64_e64 s[34:35], 0, v[2:3]
	v_not_b32_e32 v3, v3
	v_ashrrev_i32_e32 v3, 31, v3
	v_and_b32_e32 v58, v58, v59
	v_xor_b32_e32 v59, s35, v3
	v_xor_b32_e32 v3, s34, v3
	v_and_b32_e32 v5, v5, v3
	v_lshlrev_b32_e32 v3, 28, v4
	v_cmp_gt_i64_e64 s[34:35], 0, v[2:3]
	v_not_b32_e32 v3, v3
	v_ashrrev_i32_e32 v3, 31, v3
	v_and_b32_e32 v58, v58, v59
	;; [unrolled: 8-line block ×5, first 2 shown]
	v_xor_b32_e32 v59, s35, v3
	v_xor_b32_e32 v3, s34, v3
	v_and_b32_e32 v58, v58, v59
	v_and_b32_e32 v59, v5, v3
	v_lshlrev_b32_e32 v3, 24, v4
	v_cmp_gt_i64_e64 s[34:35], 0, v[2:3]
	v_not_b32_e32 v3, v3
	v_ashrrev_i32_e32 v3, 31, v3
	v_xor_b32_e32 v4, s35, v3
	v_xor_b32_e32 v3, s34, v3
	; wave barrier
	ds_read_b32 v56, v60 offset:32
	v_and_b32_e32 v5, v58, v4
	v_and_b32_e32 v4, v59, v3
	v_mbcnt_lo_u32_b32 v3, v4, 0
	v_mbcnt_hi_u32_b32 v58, v5, v3
	v_cmp_eq_u32_e64 s[34:35], 0, v58
	v_cmp_ne_u64_e64 s[38:39], 0, v[4:5]
	s_and_b64 s[38:39], s[38:39], s[34:35]
	; wave barrier
	s_and_saveexec_b64 s[34:35], s[38:39]
	s_cbranch_execz .LBB557_55
; %bb.54:
	v_bcnt_u32_b32 v3, v4, 0
	v_bcnt_u32_b32 v3, v5, v3
	s_waitcnt lgkmcnt(0)
	v_add_u32_e32 v3, v56, v3
	ds_write_b32 v60, v3 offset:32
.LBB557_55:
	s_or_b64 exec, exec, s[34:35]
	v_lshrrev_b32_e32 v3, s52, v35
	v_and_b32_e32 v4, s66, v3
	v_lshl_add_u32 v3, v4, 3, v4
	v_add_lshl_u32 v63, v21, v3, 2
	v_and_b32_e32 v3, 1, v4
	v_add_co_u32_e64 v5, s[34:35], -1, v3
	v_addc_co_u32_e64 v61, s[34:35], 0, -1, s[34:35]
	v_cmp_ne_u32_e64 s[34:35], 0, v3
	v_xor_b32_e32 v3, s35, v61
	v_and_b32_e32 v61, exec_hi, v3
	v_lshlrev_b32_e32 v3, 30, v4
	v_xor_b32_e32 v5, s34, v5
	v_cmp_gt_i64_e64 s[34:35], 0, v[2:3]
	v_not_b32_e32 v3, v3
	v_ashrrev_i32_e32 v3, 31, v3
	v_and_b32_e32 v5, exec_lo, v5
	v_xor_b32_e32 v62, s35, v3
	v_xor_b32_e32 v3, s34, v3
	v_and_b32_e32 v5, v5, v3
	v_lshlrev_b32_e32 v3, 29, v4
	v_cmp_gt_i64_e64 s[34:35], 0, v[2:3]
	v_not_b32_e32 v3, v3
	v_ashrrev_i32_e32 v3, 31, v3
	v_and_b32_e32 v61, v61, v62
	v_xor_b32_e32 v62, s35, v3
	v_xor_b32_e32 v3, s34, v3
	v_and_b32_e32 v5, v5, v3
	v_lshlrev_b32_e32 v3, 28, v4
	v_cmp_gt_i64_e64 s[34:35], 0, v[2:3]
	v_not_b32_e32 v3, v3
	v_ashrrev_i32_e32 v3, 31, v3
	v_and_b32_e32 v61, v61, v62
	;; [unrolled: 8-line block ×5, first 2 shown]
	v_xor_b32_e32 v62, s35, v3
	v_xor_b32_e32 v3, s34, v3
	v_and_b32_e32 v5, v5, v3
	v_lshlrev_b32_e32 v3, 24, v4
	v_cmp_gt_i64_e64 s[34:35], 0, v[2:3]
	v_not_b32_e32 v2, v3
	v_ashrrev_i32_e32 v2, 31, v2
	v_xor_b32_e32 v3, s35, v2
	v_xor_b32_e32 v2, s34, v2
	; wave barrier
	ds_read_b32 v59, v63 offset:32
	v_and_b32_e32 v61, v61, v62
	v_and_b32_e32 v2, v5, v2
	;; [unrolled: 1-line block ×3, first 2 shown]
	v_mbcnt_lo_u32_b32 v4, v2, 0
	v_mbcnt_hi_u32_b32 v61, v3, v4
	v_cmp_eq_u32_e64 s[34:35], 0, v61
	v_cmp_ne_u64_e64 s[38:39], 0, v[2:3]
	s_and_b64 s[38:39], s[38:39], s[34:35]
	; wave barrier
	s_and_saveexec_b64 s[34:35], s[38:39]
	s_cbranch_execz .LBB557_57
; %bb.56:
	v_bcnt_u32_b32 v2, v2, 0
	v_bcnt_u32_b32 v2, v3, v2
	s_waitcnt lgkmcnt(0)
	v_add_u32_e32 v2, v59, v2
	ds_write_b32 v63, v2 offset:32
.LBB557_57:
	s_or_b64 exec, exec, s[34:35]
	v_lshrrev_b32_e32 v2, s52, v34
	v_and_b32_e32 v4, s66, v2
	v_and_b32_e32 v3, 1, v4
	v_add_co_u32_e64 v5, s[34:35], -1, v3
	v_addc_co_u32_e64 v64, s[34:35], 0, -1, s[34:35]
	v_cmp_ne_u32_e64 s[34:35], 0, v3
	v_lshl_add_u32 v2, v4, 3, v4
	v_xor_b32_e32 v3, s35, v64
	v_add_lshl_u32 v65, v21, v2, 2
	v_mov_b32_e32 v2, 0
	v_and_b32_e32 v64, exec_hi, v3
	v_lshlrev_b32_e32 v3, 30, v4
	v_xor_b32_e32 v5, s34, v5
	v_cmp_gt_i64_e64 s[34:35], 0, v[2:3]
	v_not_b32_e32 v3, v3
	v_ashrrev_i32_e32 v3, 31, v3
	v_and_b32_e32 v5, exec_lo, v5
	v_xor_b32_e32 v66, s35, v3
	v_xor_b32_e32 v3, s34, v3
	v_and_b32_e32 v5, v5, v3
	v_lshlrev_b32_e32 v3, 29, v4
	v_cmp_gt_i64_e64 s[34:35], 0, v[2:3]
	v_not_b32_e32 v3, v3
	v_ashrrev_i32_e32 v3, 31, v3
	v_and_b32_e32 v64, v64, v66
	v_xor_b32_e32 v66, s35, v3
	v_xor_b32_e32 v3, s34, v3
	v_and_b32_e32 v5, v5, v3
	v_lshlrev_b32_e32 v3, 28, v4
	v_cmp_gt_i64_e64 s[34:35], 0, v[2:3]
	v_not_b32_e32 v3, v3
	v_ashrrev_i32_e32 v3, 31, v3
	v_and_b32_e32 v64, v64, v66
	;; [unrolled: 8-line block ×5, first 2 shown]
	v_xor_b32_e32 v66, s35, v3
	v_xor_b32_e32 v3, s34, v3
	v_and_b32_e32 v64, v64, v66
	v_and_b32_e32 v66, v5, v3
	v_lshlrev_b32_e32 v3, 24, v4
	v_cmp_gt_i64_e64 s[34:35], 0, v[2:3]
	v_not_b32_e32 v3, v3
	v_ashrrev_i32_e32 v3, 31, v3
	v_xor_b32_e32 v4, s35, v3
	v_xor_b32_e32 v3, s34, v3
	; wave barrier
	ds_read_b32 v62, v65 offset:32
	v_and_b32_e32 v5, v64, v4
	v_and_b32_e32 v4, v66, v3
	v_mbcnt_lo_u32_b32 v3, v4, 0
	v_mbcnt_hi_u32_b32 v64, v5, v3
	v_cmp_eq_u32_e64 s[34:35], 0, v64
	v_cmp_ne_u64_e64 s[38:39], 0, v[4:5]
	s_and_b64 s[38:39], s[38:39], s[34:35]
	; wave barrier
	s_and_saveexec_b64 s[34:35], s[38:39]
	s_cbranch_execz .LBB557_59
; %bb.58:
	v_bcnt_u32_b32 v3, v4, 0
	v_bcnt_u32_b32 v3, v5, v3
	s_waitcnt lgkmcnt(0)
	v_add_u32_e32 v3, v62, v3
	ds_write_b32 v65, v3 offset:32
.LBB557_59:
	s_or_b64 exec, exec, s[34:35]
	v_lshrrev_b32_e32 v3, s52, v37
	v_and_b32_e32 v4, s66, v3
	v_lshl_add_u32 v3, v4, 3, v4
	v_add_lshl_u32 v69, v21, v3, 2
	v_and_b32_e32 v3, 1, v4
	v_add_co_u32_e64 v5, s[34:35], -1, v3
	v_addc_co_u32_e64 v67, s[34:35], 0, -1, s[34:35]
	v_cmp_ne_u32_e64 s[34:35], 0, v3
	v_xor_b32_e32 v3, s35, v67
	v_and_b32_e32 v67, exec_hi, v3
	v_lshlrev_b32_e32 v3, 30, v4
	v_xor_b32_e32 v5, s34, v5
	v_cmp_gt_i64_e64 s[34:35], 0, v[2:3]
	v_not_b32_e32 v3, v3
	v_ashrrev_i32_e32 v3, 31, v3
	v_and_b32_e32 v5, exec_lo, v5
	v_xor_b32_e32 v68, s35, v3
	v_xor_b32_e32 v3, s34, v3
	v_and_b32_e32 v5, v5, v3
	v_lshlrev_b32_e32 v3, 29, v4
	v_cmp_gt_i64_e64 s[34:35], 0, v[2:3]
	v_not_b32_e32 v3, v3
	v_ashrrev_i32_e32 v3, 31, v3
	v_and_b32_e32 v67, v67, v68
	v_xor_b32_e32 v68, s35, v3
	v_xor_b32_e32 v3, s34, v3
	v_and_b32_e32 v5, v5, v3
	v_lshlrev_b32_e32 v3, 28, v4
	v_cmp_gt_i64_e64 s[34:35], 0, v[2:3]
	v_not_b32_e32 v3, v3
	v_ashrrev_i32_e32 v3, 31, v3
	v_and_b32_e32 v67, v67, v68
	;; [unrolled: 8-line block ×5, first 2 shown]
	v_xor_b32_e32 v68, s35, v3
	v_xor_b32_e32 v3, s34, v3
	v_and_b32_e32 v5, v5, v3
	v_lshlrev_b32_e32 v3, 24, v4
	v_cmp_gt_i64_e64 s[34:35], 0, v[2:3]
	v_not_b32_e32 v2, v3
	v_ashrrev_i32_e32 v2, 31, v2
	v_xor_b32_e32 v3, s35, v2
	v_xor_b32_e32 v2, s34, v2
	; wave barrier
	ds_read_b32 v66, v69 offset:32
	v_and_b32_e32 v67, v67, v68
	v_and_b32_e32 v2, v5, v2
	;; [unrolled: 1-line block ×3, first 2 shown]
	v_mbcnt_lo_u32_b32 v4, v2, 0
	v_mbcnt_hi_u32_b32 v67, v3, v4
	v_cmp_eq_u32_e64 s[34:35], 0, v67
	v_cmp_ne_u64_e64 s[38:39], 0, v[2:3]
	s_and_b64 s[38:39], s[38:39], s[34:35]
	; wave barrier
	s_and_saveexec_b64 s[34:35], s[38:39]
	s_cbranch_execz .LBB557_61
; %bb.60:
	v_bcnt_u32_b32 v2, v2, 0
	v_bcnt_u32_b32 v2, v3, v2
	s_waitcnt lgkmcnt(0)
	v_add_u32_e32 v2, v66, v2
	ds_write_b32 v69, v2 offset:32
.LBB557_61:
	s_or_b64 exec, exec, s[34:35]
	v_lshrrev_b32_e32 v2, s52, v36
	v_and_b32_e32 v4, s66, v2
	v_and_b32_e32 v3, 1, v4
	v_add_co_u32_e64 v5, s[34:35], -1, v3
	v_addc_co_u32_e64 v70, s[34:35], 0, -1, s[34:35]
	v_cmp_ne_u32_e64 s[34:35], 0, v3
	v_lshl_add_u32 v2, v4, 3, v4
	v_xor_b32_e32 v3, s35, v70
	v_add_lshl_u32 v71, v21, v2, 2
	v_mov_b32_e32 v2, 0
	v_and_b32_e32 v70, exec_hi, v3
	v_lshlrev_b32_e32 v3, 30, v4
	v_xor_b32_e32 v5, s34, v5
	v_cmp_gt_i64_e64 s[34:35], 0, v[2:3]
	v_not_b32_e32 v3, v3
	v_ashrrev_i32_e32 v3, 31, v3
	v_and_b32_e32 v5, exec_lo, v5
	v_xor_b32_e32 v72, s35, v3
	v_xor_b32_e32 v3, s34, v3
	v_and_b32_e32 v5, v5, v3
	v_lshlrev_b32_e32 v3, 29, v4
	v_cmp_gt_i64_e64 s[34:35], 0, v[2:3]
	v_not_b32_e32 v3, v3
	v_ashrrev_i32_e32 v3, 31, v3
	v_and_b32_e32 v70, v70, v72
	v_xor_b32_e32 v72, s35, v3
	v_xor_b32_e32 v3, s34, v3
	v_and_b32_e32 v5, v5, v3
	v_lshlrev_b32_e32 v3, 28, v4
	v_cmp_gt_i64_e64 s[34:35], 0, v[2:3]
	v_not_b32_e32 v3, v3
	v_ashrrev_i32_e32 v3, 31, v3
	v_and_b32_e32 v70, v70, v72
	v_xor_b32_e32 v72, s35, v3
	v_xor_b32_e32 v3, s34, v3
	v_and_b32_e32 v5, v5, v3
	v_lshlrev_b32_e32 v3, 27, v4
	v_cmp_gt_i64_e64 s[34:35], 0, v[2:3]
	v_not_b32_e32 v3, v3
	v_ashrrev_i32_e32 v3, 31, v3
	v_and_b32_e32 v70, v70, v72
	v_xor_b32_e32 v72, s35, v3
	v_xor_b32_e32 v3, s34, v3
	v_and_b32_e32 v5, v5, v3
	v_lshlrev_b32_e32 v3, 26, v4
	v_cmp_gt_i64_e64 s[34:35], 0, v[2:3]
	v_not_b32_e32 v3, v3
	v_ashrrev_i32_e32 v3, 31, v3
	v_and_b32_e32 v70, v70, v72
	v_xor_b32_e32 v72, s35, v3
	v_xor_b32_e32 v3, s34, v3
	v_and_b32_e32 v5, v5, v3
	v_lshlrev_b32_e32 v3, 25, v4
	v_cmp_gt_i64_e64 s[34:35], 0, v[2:3]
	v_not_b32_e32 v3, v3
	v_ashrrev_i32_e32 v3, 31, v3
	v_and_b32_e32 v70, v70, v72
	v_xor_b32_e32 v72, s35, v3
	v_xor_b32_e32 v3, s34, v3
	v_and_b32_e32 v70, v70, v72
	v_and_b32_e32 v72, v5, v3
	v_lshlrev_b32_e32 v3, 24, v4
	v_cmp_gt_i64_e64 s[34:35], 0, v[2:3]
	v_not_b32_e32 v3, v3
	v_ashrrev_i32_e32 v3, 31, v3
	v_xor_b32_e32 v4, s35, v3
	v_xor_b32_e32 v3, s34, v3
	; wave barrier
	ds_read_b32 v68, v71 offset:32
	v_and_b32_e32 v5, v70, v4
	v_and_b32_e32 v4, v72, v3
	v_mbcnt_lo_u32_b32 v3, v4, 0
	v_mbcnt_hi_u32_b32 v70, v5, v3
	v_cmp_eq_u32_e64 s[34:35], 0, v70
	v_cmp_ne_u64_e64 s[38:39], 0, v[4:5]
	s_and_b64 s[38:39], s[38:39], s[34:35]
	; wave barrier
	s_and_saveexec_b64 s[34:35], s[38:39]
	s_cbranch_execz .LBB557_63
; %bb.62:
	v_bcnt_u32_b32 v3, v4, 0
	v_bcnt_u32_b32 v3, v5, v3
	s_waitcnt lgkmcnt(0)
	v_add_u32_e32 v3, v68, v3
	ds_write_b32 v71, v3 offset:32
.LBB557_63:
	s_or_b64 exec, exec, s[34:35]
	v_lshrrev_b32_e32 v3, s52, v38
	v_and_b32_e32 v4, s66, v3
	v_lshl_add_u32 v3, v4, 3, v4
	v_add_lshl_u32 v74, v21, v3, 2
	v_and_b32_e32 v3, 1, v4
	v_add_co_u32_e64 v5, s[34:35], -1, v3
	v_addc_co_u32_e64 v72, s[34:35], 0, -1, s[34:35]
	v_cmp_ne_u32_e64 s[34:35], 0, v3
	v_xor_b32_e32 v3, s35, v72
	v_and_b32_e32 v72, exec_hi, v3
	v_lshlrev_b32_e32 v3, 30, v4
	v_xor_b32_e32 v5, s34, v5
	v_cmp_gt_i64_e64 s[34:35], 0, v[2:3]
	v_not_b32_e32 v3, v3
	v_ashrrev_i32_e32 v3, 31, v3
	v_and_b32_e32 v5, exec_lo, v5
	v_xor_b32_e32 v73, s35, v3
	v_xor_b32_e32 v3, s34, v3
	v_and_b32_e32 v5, v5, v3
	v_lshlrev_b32_e32 v3, 29, v4
	v_cmp_gt_i64_e64 s[34:35], 0, v[2:3]
	v_not_b32_e32 v3, v3
	v_ashrrev_i32_e32 v3, 31, v3
	v_and_b32_e32 v72, v72, v73
	v_xor_b32_e32 v73, s35, v3
	v_xor_b32_e32 v3, s34, v3
	v_and_b32_e32 v5, v5, v3
	v_lshlrev_b32_e32 v3, 28, v4
	v_cmp_gt_i64_e64 s[34:35], 0, v[2:3]
	v_not_b32_e32 v3, v3
	v_ashrrev_i32_e32 v3, 31, v3
	v_and_b32_e32 v72, v72, v73
	;; [unrolled: 8-line block ×5, first 2 shown]
	v_xor_b32_e32 v73, s35, v3
	v_xor_b32_e32 v3, s34, v3
	v_and_b32_e32 v5, v5, v3
	v_lshlrev_b32_e32 v3, 24, v4
	v_cmp_gt_i64_e64 s[34:35], 0, v[2:3]
	v_not_b32_e32 v2, v3
	v_ashrrev_i32_e32 v2, 31, v2
	v_xor_b32_e32 v3, s35, v2
	v_xor_b32_e32 v2, s34, v2
	; wave barrier
	ds_read_b32 v21, v74 offset:32
	v_and_b32_e32 v72, v72, v73
	v_and_b32_e32 v2, v5, v2
	;; [unrolled: 1-line block ×3, first 2 shown]
	v_mbcnt_lo_u32_b32 v4, v2, 0
	v_mbcnt_hi_u32_b32 v73, v3, v4
	v_cmp_eq_u32_e64 s[34:35], 0, v73
	v_cmp_ne_u64_e64 s[38:39], 0, v[2:3]
	v_add_u32_e32 v75, 32, v7
	s_and_b64 s[38:39], s[38:39], s[34:35]
	; wave barrier
	s_and_saveexec_b64 s[34:35], s[38:39]
	s_cbranch_execz .LBB557_65
; %bb.64:
	v_bcnt_u32_b32 v2, v2, 0
	v_bcnt_u32_b32 v2, v3, v2
	s_waitcnt lgkmcnt(0)
	v_add_u32_e32 v2, v21, v2
	ds_write_b32 v74, v2 offset:32
.LBB557_65:
	s_or_b64 exec, exec, s[34:35]
	; wave barrier
	s_waitcnt lgkmcnt(0)
	s_barrier
	ds_read2_b32 v[4:5], v7 offset0:8 offset1:9
	ds_read2_b32 v[2:3], v75 offset0:2 offset1:3
	ds_read_b32 v72, v75 offset:16
	s_waitcnt lgkmcnt(1)
	v_add3_u32 v76, v5, v4, v2
	s_waitcnt lgkmcnt(0)
	v_add3_u32 v72, v76, v3, v72
	v_and_b32_e32 v76, 15, v6
	v_cmp_ne_u32_e64 s[34:35], 0, v76
	v_mov_b32_dpp v77, v72 row_shr:1 row_mask:0xf bank_mask:0xf
	v_cndmask_b32_e64 v77, 0, v77, s[34:35]
	v_add_u32_e32 v72, v77, v72
	v_cmp_lt_u32_e64 s[34:35], 1, v76
	s_nop 0
	v_mov_b32_dpp v77, v72 row_shr:2 row_mask:0xf bank_mask:0xf
	v_cndmask_b32_e64 v77, 0, v77, s[34:35]
	v_add_u32_e32 v72, v72, v77
	v_cmp_lt_u32_e64 s[34:35], 3, v76
	s_nop 0
	;; [unrolled: 5-line block ×3, first 2 shown]
	v_mov_b32_dpp v77, v72 row_shr:8 row_mask:0xf bank_mask:0xf
	v_cndmask_b32_e64 v76, 0, v77, s[34:35]
	v_add_u32_e32 v72, v72, v76
	v_bfe_i32 v77, v6, 4, 1
	v_cmp_lt_u32_e64 s[34:35], 31, v6
	v_mov_b32_dpp v76, v72 row_bcast:15 row_mask:0xf bank_mask:0xf
	v_and_b32_e32 v76, v77, v76
	v_add_u32_e32 v72, v72, v76
	v_lshrrev_b32_e32 v77, 6, v18
	s_nop 0
	v_mov_b32_dpp v76, v72 row_bcast:31 row_mask:0xf bank_mask:0xf
	v_cndmask_b32_e64 v76, 0, v76, s[34:35]
	v_add_u32_e32 v76, v72, v76
	v_and_b32_e32 v72, 0x3c0, v18
	v_min_u32_e32 v72, 0x1c0, v72
	v_or_b32_e32 v72, 63, v72
	v_cmp_eq_u32_e64 s[34:35], v72, v18
	s_and_saveexec_b64 s[38:39], s[34:35]
	s_cbranch_execz .LBB557_67
; %bb.66:
	v_lshlrev_b32_e32 v72, 2, v77
	ds_write_b32 v72, v76
.LBB557_67:
	s_or_b64 exec, exec, s[38:39]
	v_cmp_gt_u32_e64 s[34:35], 8, v18
	v_lshlrev_b32_e32 v72, 2, v18
	s_waitcnt lgkmcnt(0)
	s_barrier
	s_and_saveexec_b64 s[58:59], s[34:35]
	s_cbranch_execz .LBB557_69
; %bb.68:
	ds_read_b32 v78, v72
	v_and_b32_e32 v79, 7, v6
	v_cmp_ne_u32_e64 s[34:35], 0, v79
	v_cmp_lt_u32_e64 s[38:39], 1, v79
	s_waitcnt lgkmcnt(0)
	v_mov_b32_dpp v80, v78 row_shr:1 row_mask:0xf bank_mask:0xf
	v_cndmask_b32_e64 v80, 0, v80, s[34:35]
	v_add_u32_e32 v78, v80, v78
	v_cmp_lt_u32_e64 s[34:35], 3, v79
	s_nop 0
	v_mov_b32_dpp v80, v78 row_shr:2 row_mask:0xf bank_mask:0xf
	v_cndmask_b32_e64 v80, 0, v80, s[38:39]
	v_add_u32_e32 v78, v78, v80
	s_nop 1
	v_mov_b32_dpp v80, v78 row_shr:4 row_mask:0xf bank_mask:0xf
	v_cndmask_b32_e64 v79, 0, v80, s[34:35]
	v_add_u32_e32 v78, v78, v79
	ds_write_b32 v72, v78
.LBB557_69:
	s_or_b64 exec, exec, s[58:59]
	v_cmp_lt_u32_e64 s[34:35], 63, v18
	v_mov_b32_e32 v78, 0
	s_waitcnt lgkmcnt(0)
	s_barrier
	s_and_saveexec_b64 s[38:39], s[34:35]
	s_cbranch_execz .LBB557_71
; %bb.70:
	v_lshl_add_u32 v77, v77, 2, -4
	ds_read_b32 v78, v77
.LBB557_71:
	s_or_b64 exec, exec, s[38:39]
	v_add_u32_e32 v77, -1, v6
	v_and_b32_e32 v79, 64, v6
	v_cmp_lt_i32_e64 s[34:35], v77, v79
	v_cndmask_b32_e64 v77, v77, v6, s[34:35]
	s_waitcnt lgkmcnt(0)
	v_add_u32_e32 v76, v78, v76
	v_lshlrev_b32_e32 v77, 2, v77
	ds_bpermute_b32 v76, v77, v76
	v_cmp_eq_u32_e64 s[34:35], 0, v6
	s_waitcnt lgkmcnt(0)
	v_cndmask_b32_e64 v6, v76, v78, s[34:35]
	v_cmp_ne_u32_e64 s[34:35], 0, v18
	v_cndmask_b32_e64 v6, 0, v6, s[34:35]
	v_add_u32_e32 v4, v6, v4
	v_add_u32_e32 v5, v4, v5
	;; [unrolled: 1-line block ×4, first 2 shown]
	ds_write2_b32 v7, v6, v4 offset0:8 offset1:9
	ds_write2_b32 v75, v5, v2 offset0:2 offset1:3
	ds_write_b32 v75, v3 offset:16
	s_waitcnt lgkmcnt(0)
	s_barrier
	ds_read_b32 v76, v12 offset:32
	ds_read_b32 v12, v13 offset:32
	;; [unrolled: 1-line block ×16, first 2 shown]
	s_movk_i32 s34, 0x100
	v_cmp_gt_u32_e64 s[34:35], s34, v18
                                        ; implicit-def: $vgpr54
                                        ; implicit-def: $vgpr57
	s_and_saveexec_b64 s[58:59], s[34:35]
	s_cbranch_execz .LBB557_75
; %bb.72:
	v_mul_u32_u24_e32 v2, 9, v18
	v_lshlrev_b32_e32 v3, 2, v2
	ds_read_b32 v54, v3 offset:32
	s_movk_i32 s38, 0xff
	v_cmp_ne_u32_e64 s[38:39], s38, v18
	v_mov_b32_e32 v2, 0x2000
	s_and_saveexec_b64 s[60:61], s[38:39]
	s_cbranch_execz .LBB557_74
; %bb.73:
	ds_read_b32 v2, v3 offset:68
.LBB557_74:
	s_or_b64 exec, exec, s[60:61]
	s_waitcnt lgkmcnt(0)
	v_sub_u32_e32 v57, v2, v54
.LBB557_75:
	s_or_b64 exec, exec, s[58:59]
	s_waitcnt lgkmcnt(0)
	s_barrier
	s_and_saveexec_b64 s[58:59], s[34:35]
	s_cbranch_execz .LBB557_85
; %bb.76:
	v_lshl_or_b32 v2, s6, 8, v18
	v_mov_b32_e32 v3, 0
	v_lshlrev_b64 v[4:5], 2, v[2:3]
	v_mov_b32_e32 v39, s57
	v_add_co_u32_e64 v4, s[38:39], s56, v4
	v_addc_co_u32_e64 v5, s[38:39], v39, v5, s[38:39]
	v_or_b32_e32 v2, 2.0, v57
	s_mov_b64 s[60:61], 0
	s_brev_b32 s67, 1
	s_mov_b32 s68, s6
	v_mov_b32_e32 v60, 0
	global_store_dword v[4:5], v2, off
                                        ; implicit-def: $sgpr38_sgpr39
	s_branch .LBB557_78
.LBB557_77:                             ;   in Loop: Header=BB557_78 Depth=1
	s_or_b64 exec, exec, s[62:63]
	v_and_b32_e32 v6, 0x3fffffff, v71
	v_add_u32_e32 v60, v6, v60
	v_cmp_eq_u32_e64 s[38:39], s67, v2
	s_and_b64 s[62:63], exec, s[38:39]
	s_or_b64 s[60:61], s[62:63], s[60:61]
	s_andn2_b64 exec, exec, s[60:61]
	s_cbranch_execz .LBB557_84
.LBB557_78:                             ; =>This Loop Header: Depth=1
                                        ;     Child Loop BB557_81 Depth 2
	s_or_b64 s[38:39], s[38:39], exec
	s_cmp_eq_u32 s68, 0
	s_cbranch_scc1 .LBB557_83
; %bb.79:                               ;   in Loop: Header=BB557_78 Depth=1
	s_add_i32 s68, s68, -1
	v_lshl_or_b32 v2, s68, 8, v18
	v_lshlrev_b64 v[6:7], 2, v[2:3]
	v_add_co_u32_e64 v6, s[38:39], s56, v6
	v_addc_co_u32_e64 v7, s[38:39], v39, v7, s[38:39]
	global_load_dword v71, v[6:7], off glc
	s_waitcnt vmcnt(0)
	v_and_b32_e32 v2, -2.0, v71
	v_cmp_eq_u32_e64 s[38:39], 0, v2
	s_and_saveexec_b64 s[62:63], s[38:39]
	s_cbranch_execz .LBB557_77
; %bb.80:                               ;   in Loop: Header=BB557_78 Depth=1
	s_mov_b64 s[64:65], 0
.LBB557_81:                             ;   Parent Loop BB557_78 Depth=1
                                        ; =>  This Inner Loop Header: Depth=2
	global_load_dword v71, v[6:7], off glc
	s_waitcnt vmcnt(0)
	v_and_b32_e32 v2, -2.0, v71
	v_cmp_ne_u32_e64 s[38:39], 0, v2
	s_or_b64 s[64:65], s[38:39], s[64:65]
	s_andn2_b64 exec, exec, s[64:65]
	s_cbranch_execnz .LBB557_81
; %bb.82:                               ;   in Loop: Header=BB557_78 Depth=1
	s_or_b64 exec, exec, s[64:65]
	s_branch .LBB557_77
.LBB557_83:                             ;   in Loop: Header=BB557_78 Depth=1
                                        ; implicit-def: $sgpr68
	s_and_b64 s[62:63], exec, s[38:39]
	s_or_b64 s[60:61], s[62:63], s[60:61]
	s_andn2_b64 exec, exec, s[60:61]
	s_cbranch_execnz .LBB557_78
.LBB557_84:
	s_or_b64 exec, exec, s[60:61]
	v_add_u32_e32 v2, v60, v57
	v_or_b32_e32 v2, 0x80000000, v2
	global_store_dword v[4:5], v2, off
	global_load_dword v2, v72, s[48:49]
	v_sub_u32_e32 v3, v60, v54
	s_waitcnt vmcnt(0)
	v_add_u32_e32 v2, v3, v2
	ds_write_b32 v72, v2
.LBB557_85:
	s_or_b64 exec, exec, s[58:59]
	v_add_u32_e32 v60, v76, v8
	s_movk_i32 s60, 0x400
	v_add_u32_e32 v39, 0x400, v72
	v_add3_u32 v63, v73, v63, v21
	v_add3_u32 v65, v70, v65, v68
	;; [unrolled: 1-line block ×15, first 2 shown]
	s_mov_b32 s61, 0
	v_mov_b32_e32 v21, 0
	s_movk_i32 s62, 0x200
	s_movk_i32 s63, 0x600
	s_mov_b32 s64, 0
	s_mov_b32 s65, 0
                                        ; implicit-def: $vgpr2_vgpr3_vgpr4_vgpr5_vgpr6_vgpr7_vgpr8_vgpr9_vgpr10_vgpr11_vgpr12_vgpr13_vgpr14_vgpr15_vgpr16_vgpr17
	s_branch .LBB557_87
.LBB557_86:                             ;   in Loop: Header=BB557_87 Depth=1
	s_or_b64 exec, exec, s[58:59]
	s_addk_i32 s65, 0x800
	s_addk_i32 s64, 0xf800
	s_add_i32 s61, s61, 4
	s_cmpk_eq_i32 s64, 0xe000
	s_barrier
	s_cbranch_scc1 .LBB557_96
.LBB557_87:                             ; =>This Inner Loop Header: Depth=1
	v_add_u32_e32 v20, s64, v60
	v_min_u32_e32 v20, 0x800, v20
	v_lshlrev_b32_e32 v20, 2, v20
	ds_write_b32 v20, v24 offset:1024
	v_add_u32_e32 v20, s64, v71
	v_min_u32_e32 v20, 0x800, v20
	v_lshlrev_b32_e32 v20, 2, v20
	ds_write_b32 v20, v25 offset:1024
	;; [unrolled: 4-line block ×15, first 2 shown]
	v_add_u32_e32 v20, s64, v63
	v_min_u32_e32 v20, 0x800, v20
	v_add_u32_e32 v40, s65, v18
	v_lshlrev_b32_e32 v20, 2, v20
	v_cmp_gt_u32_e64 s[38:39], s7, v40
	ds_write_b32 v20, v38 offset:1024
	s_waitcnt lgkmcnt(0)
	s_barrier
	s_and_saveexec_b64 s[58:59], s[38:39]
	s_cbranch_execz .LBB557_89
; %bb.88:                               ;   in Loop: Header=BB557_87 Depth=1
	ds_read_b32 v41, v72 offset:1024
	v_mov_b32_e32 v45, s43
	s_waitcnt lgkmcnt(0)
	v_lshrrev_b32_e32 v20, s52, v41
	v_and_b32_e32 v44, s66, v20
	v_lshlrev_b32_e32 v20, 2, v44
	ds_read_b32 v20, v20
	s_waitcnt lgkmcnt(0)
	v_add_u32_e32 v20, v40, v20
	v_lshlrev_b64 v[42:43], 2, v[20:21]
	v_add_co_u32_e64 v42, s[38:39], s42, v42
	v_addc_co_u32_e64 v43, s[38:39], v45, v43, s[38:39]
	global_store_dword v[42:43], v41, off
	s_set_gpr_idx_on s61, gpr_idx(DST)
	v_mov_b32_e32 v2, v44
	s_set_gpr_idx_off
.LBB557_89:                             ;   in Loop: Header=BB557_87 Depth=1
	s_or_b64 exec, exec, s[58:59]
	v_add_u32_e32 v20, 0x200, v40
	v_cmp_gt_u32_e64 s[38:39], s7, v20
	s_and_saveexec_b64 s[58:59], s[38:39]
	s_cbranch_execz .LBB557_91
; %bb.90:                               ;   in Loop: Header=BB557_87 Depth=1
	ds_read_b32 v41, v39 offset:2048
	v_mov_b32_e32 v45, s43
	s_add_i32 s67, s61, 1
	s_waitcnt lgkmcnt(0)
	v_lshrrev_b32_e32 v20, s52, v41
	v_and_b32_e32 v44, s66, v20
	v_lshlrev_b32_e32 v20, 2, v44
	ds_read_b32 v20, v20
	s_waitcnt lgkmcnt(0)
	v_add3_u32 v20, v40, v20, s62
	v_lshlrev_b64 v[42:43], 2, v[20:21]
	v_add_co_u32_e64 v42, s[38:39], s42, v42
	v_addc_co_u32_e64 v43, s[38:39], v45, v43, s[38:39]
	global_store_dword v[42:43], v41, off
	s_set_gpr_idx_on s67, gpr_idx(DST)
	v_mov_b32_e32 v2, v44
	s_set_gpr_idx_off
.LBB557_91:                             ;   in Loop: Header=BB557_87 Depth=1
	s_or_b64 exec, exec, s[58:59]
	v_add_u32_e32 v20, 0x400, v40
	v_cmp_gt_u32_e64 s[38:39], s7, v20
	s_and_saveexec_b64 s[58:59], s[38:39]
	s_cbranch_execz .LBB557_93
; %bb.92:                               ;   in Loop: Header=BB557_87 Depth=1
	ds_read_b32 v41, v39 offset:4096
	v_mov_b32_e32 v45, s43
	s_add_i32 s67, s61, 2
	s_waitcnt lgkmcnt(0)
	v_lshrrev_b32_e32 v20, s52, v41
	v_and_b32_e32 v44, s66, v20
	v_lshlrev_b32_e32 v20, 2, v44
	ds_read_b32 v20, v20
	s_waitcnt lgkmcnt(0)
	v_add3_u32 v20, v40, v20, s60
	v_lshlrev_b64 v[42:43], 2, v[20:21]
	v_add_co_u32_e64 v42, s[38:39], s42, v42
	v_addc_co_u32_e64 v43, s[38:39], v45, v43, s[38:39]
	global_store_dword v[42:43], v41, off
	s_set_gpr_idx_on s67, gpr_idx(DST)
	v_mov_b32_e32 v2, v44
	s_set_gpr_idx_off
.LBB557_93:                             ;   in Loop: Header=BB557_87 Depth=1
	s_or_b64 exec, exec, s[58:59]
	v_add_u32_e32 v20, 0x600, v40
	v_cmp_gt_u32_e64 s[38:39], s7, v20
	s_and_saveexec_b64 s[58:59], s[38:39]
	s_cbranch_execz .LBB557_86
; %bb.94:                               ;   in Loop: Header=BB557_87 Depth=1
	ds_read_b32 v42, v39 offset:6144
	v_mov_b32_e32 v44, s43
	s_add_i32 s67, s61, 3
	s_waitcnt lgkmcnt(0)
	v_lshrrev_b32_e32 v20, s52, v42
	v_and_b32_e32 v43, s66, v20
	v_lshlrev_b32_e32 v20, 2, v43
	ds_read_b32 v20, v20
	s_waitcnt lgkmcnt(0)
	v_add3_u32 v20, v40, v20, s63
	v_lshlrev_b64 v[40:41], 2, v[20:21]
	v_add_co_u32_e64 v40, s[38:39], s42, v40
	v_addc_co_u32_e64 v41, s[38:39], v44, v41, s[38:39]
	global_store_dword v[40:41], v42, off
	s_set_gpr_idx_on s67, gpr_idx(DST)
	v_mov_b32_e32 v2, v43
	s_set_gpr_idx_off
	s_branch .LBB557_86
.LBB557_95:
	s_mov_b64 s[2:3], 0
                                        ; implicit-def: $vgpr2
                                        ; implicit-def: $vgpr18
	s_cbranch_execnz .LBB557_122
	s_branch .LBB557_181
.LBB557_96:
	s_lshl_b64 s[38:39], s[54:55], 3
	s_add_u32 s38, s44, s38
	s_addc_u32 s39, s45, s39
	v_lshlrev_b32_e32 v20, 3, v22
	v_mov_b32_e32 v21, s39
	v_add_co_u32_e64 v20, s[38:39], s38, v20
	v_addc_co_u32_e64 v21, s[38:39], 0, v21, s[38:39]
	v_lshlrev_b32_e32 v19, 3, v19
	v_add_co_u32_e64 v42, s[38:39], v20, v19
	v_addc_co_u32_e64 v43, s[38:39], 0, v21, s[38:39]
                                        ; implicit-def: $vgpr20_vgpr21
	s_and_saveexec_b64 s[38:39], vcc
	s_cbranch_execnz .LBB557_184
; %bb.97:
	s_or_b64 exec, exec, s[38:39]
                                        ; implicit-def: $vgpr22_vgpr23
	s_and_saveexec_b64 s[38:39], s[8:9]
	s_cbranch_execnz .LBB557_185
.LBB557_98:
	s_or_b64 exec, exec, s[38:39]
                                        ; implicit-def: $vgpr24_vgpr25
	s_and_saveexec_b64 s[8:9], s[10:11]
	s_cbranch_execnz .LBB557_186
.LBB557_99:
	s_or_b64 exec, exec, s[8:9]
                                        ; implicit-def: $vgpr26_vgpr27
	s_and_saveexec_b64 s[8:9], s[14:15]
	s_cbranch_execnz .LBB557_187
.LBB557_100:
	s_or_b64 exec, exec, s[8:9]
                                        ; implicit-def: $vgpr28_vgpr29
	s_and_saveexec_b64 s[8:9], s[18:19]
	s_cbranch_execnz .LBB557_188
.LBB557_101:
	s_or_b64 exec, exec, s[8:9]
                                        ; implicit-def: $vgpr30_vgpr31
	s_and_saveexec_b64 s[8:9], s[20:21]
	s_cbranch_execnz .LBB557_189
.LBB557_102:
	s_or_b64 exec, exec, s[8:9]
                                        ; implicit-def: $vgpr32_vgpr33
	s_and_saveexec_b64 s[8:9], s[24:25]
	s_cbranch_execnz .LBB557_190
.LBB557_103:
	s_or_b64 exec, exec, s[8:9]
                                        ; implicit-def: $vgpr34_vgpr35
	s_and_saveexec_b64 s[8:9], s[28:29]
	s_cbranch_execnz .LBB557_191
.LBB557_104:
	s_or_b64 exec, exec, s[8:9]
                                        ; implicit-def: $vgpr36_vgpr37
	s_and_saveexec_b64 s[8:9], s[30:31]
	s_cbranch_execnz .LBB557_192
.LBB557_105:
	s_or_b64 exec, exec, s[8:9]
                                        ; implicit-def: $vgpr38_vgpr39
	s_and_saveexec_b64 s[8:9], s[26:27]
	s_cbranch_execnz .LBB557_193
.LBB557_106:
	s_or_b64 exec, exec, s[8:9]
                                        ; implicit-def: $vgpr40_vgpr41
	s_and_saveexec_b64 s[8:9], s[22:23]
	s_cbranch_execnz .LBB557_194
.LBB557_107:
	s_or_b64 exec, exec, s[8:9]
                                        ; implicit-def: $vgpr44_vgpr45
	s_and_saveexec_b64 s[8:9], s[16:17]
	s_cbranch_execnz .LBB557_195
.LBB557_108:
	s_or_b64 exec, exec, s[8:9]
                                        ; implicit-def: $vgpr46_vgpr47
	s_and_saveexec_b64 s[8:9], s[12:13]
	s_cbranch_execnz .LBB557_196
.LBB557_109:
	s_or_b64 exec, exec, s[8:9]
                                        ; implicit-def: $vgpr48_vgpr49
	s_and_saveexec_b64 s[8:9], s[36:37]
	s_cbranch_execnz .LBB557_197
.LBB557_110:
	s_or_b64 exec, exec, s[8:9]
                                        ; implicit-def: $vgpr50_vgpr51
	s_and_saveexec_b64 s[8:9], s[2:3]
	s_cbranch_execnz .LBB557_198
.LBB557_111:
	s_or_b64 exec, exec, s[8:9]
                                        ; implicit-def: $vgpr52_vgpr53
	s_and_saveexec_b64 s[2:3], s[0:1]
	s_cbranch_execz .LBB557_113
.LBB557_112:
	v_add_co_u32_e32 v42, vcc, 0x1000, v42
	v_addc_co_u32_e32 v43, vcc, 0, v43, vcc
	global_load_dwordx2 v[52:53], v[42:43], off offset:3584
.LBB557_113:
	s_or_b64 exec, exec, s[2:3]
	v_lshlrev_b32_e32 v19, 3, v18
	v_add_u32_e32 v72, 0x400, v19
	s_mov_b32 s2, 0
	v_mov_b32_e32 v43, 0
	s_movk_i32 s3, 0x200
	s_mov_b32 s8, 0
	v_mov_b32_e32 v73, v18
	s_waitcnt vmcnt(0)
	s_branch .LBB557_115
.LBB557_114:                            ;   in Loop: Header=BB557_115 Depth=1
	s_or_b64 exec, exec, s[0:1]
	s_addk_i32 s8, 0xfc00
	s_add_i32 s2, s2, 2
	s_cmpk_eq_i32 s8, 0xe000
	v_add_u32_e32 v73, 0x400, v73
	s_barrier
	s_cbranch_scc1 .LBB557_119
.LBB557_115:                            ; =>This Inner Loop Header: Depth=1
	v_add_u32_e32 v42, s8, v60
	v_min_u32_e32 v42, 0x400, v42
	v_lshlrev_b32_e32 v42, 3, v42
	ds_write_b64 v42, v[20:21] offset:1024
	v_add_u32_e32 v42, s8, v71
	v_min_u32_e32 v42, 0x400, v42
	v_lshlrev_b32_e32 v42, 3, v42
	ds_write_b64 v42, v[22:23] offset:1024
	;; [unrolled: 4-line block ×15, first 2 shown]
	v_add_u32_e32 v42, s8, v63
	v_min_u32_e32 v42, 0x400, v42
	v_lshlrev_b32_e32 v42, 3, v42
	v_cmp_gt_u32_e32 vcc, s7, v73
	ds_write_b64 v42, v[52:53] offset:1024
	s_waitcnt lgkmcnt(0)
	s_barrier
	s_and_saveexec_b64 s[0:1], vcc
	s_cbranch_execz .LBB557_117
; %bb.116:                              ;   in Loop: Header=BB557_115 Depth=1
	ds_read_b64 v[74:75], v19 offset:1024
	s_set_gpr_idx_on s2, gpr_idx(SRC0)
	v_mov_b32_e32 v42, v2
	s_set_gpr_idx_off
	v_lshlrev_b32_e32 v42, 2, v42
	ds_read_b32 v42, v42
	v_mov_b32_e32 v78, s47
	s_waitcnt lgkmcnt(0)
	v_add_u32_e32 v42, v73, v42
	v_lshlrev_b64 v[76:77], 3, v[42:43]
	v_add_co_u32_e32 v76, vcc, s46, v76
	v_addc_co_u32_e32 v77, vcc, v78, v77, vcc
	global_store_dwordx2 v[76:77], v[74:75], off
.LBB557_117:                            ;   in Loop: Header=BB557_115 Depth=1
	s_or_b64 exec, exec, s[0:1]
	v_add_u32_e32 v42, 0x200, v73
	v_cmp_gt_u32_e32 vcc, s7, v42
	s_and_saveexec_b64 s[0:1], vcc
	s_cbranch_execz .LBB557_114
; %bb.118:                              ;   in Loop: Header=BB557_115 Depth=1
	s_add_i32 s9, s2, 1
	ds_read_b64 v[74:75], v72 offset:4096
	s_set_gpr_idx_on s9, gpr_idx(SRC0)
	v_mov_b32_e32 v42, v2
	s_set_gpr_idx_off
	v_lshlrev_b32_e32 v42, 2, v42
	ds_read_b32 v42, v42
	v_mov_b32_e32 v78, s47
	s_waitcnt lgkmcnt(0)
	v_add3_u32 v42, v73, v42, s3
	v_lshlrev_b64 v[76:77], 3, v[42:43]
	v_add_co_u32_e32 v76, vcc, s46, v76
	v_addc_co_u32_e32 v77, vcc, v78, v77, vcc
	global_store_dwordx2 v[76:77], v[74:75], off
	s_branch .LBB557_114
.LBB557_119:
	s_add_i32 s33, s33, -1
	s_cmp_eq_u32 s33, s6
	s_cselect_b64 s[0:1], -1, 0
	s_and_b64 s[8:9], s[34:35], s[0:1]
	s_mov_b64 s[0:1], 0
	s_mov_b64 s[2:3], 0
                                        ; implicit-def: $vgpr2
	s_and_saveexec_b64 s[10:11], s[8:9]
	s_xor_b64 s[8:9], exec, s[10:11]
; %bb.120:
	s_mov_b64 s[2:3], exec
	v_add_u32_e32 v2, v54, v57
; %bb.121:
	s_or_b64 exec, exec, s[8:9]
	s_and_b64 vcc, exec, s[0:1]
	s_cbranch_vccz .LBB557_181
.LBB557_122:
	v_and_b32_e32 v18, 0x3ff, v0
	s_lshl_b32 s8, s6, 13
	s_mov_b32 s9, 0
	v_mbcnt_hi_u32_b32 v4, -1, v1
	s_lshl_b64 s[0:1], s[8:9], 2
	v_and_b32_e32 v20, 63, v4
	v_lshlrev_b32_e32 v1, 4, v18
	s_add_u32 s0, s40, s0
	v_and_b32_e32 v19, 0x1c00, v1
	v_lshlrev_b32_e32 v1, 2, v20
	v_add_co_u32_e32 v1, vcc, s0, v1
	s_load_dword s7, s[4:5], 0x58
	s_load_dword s0, s[4:5], 0x64
	s_addc_u32 s1, s41, s1
	v_mov_b32_e32 v3, s1
	s_add_u32 s1, s4, 0x58
	v_addc_co_u32_e32 v3, vcc, 0, v3, vcc
	v_lshlrev_b32_e32 v5, 2, v19
	s_addc_u32 s4, s5, 0
	s_waitcnt lgkmcnt(0)
	s_lshr_b32 s5, s0, 16
	v_add_co_u32_e32 v6, vcc, v1, v5
	s_cmp_lt_u32 s6, s7
	v_addc_co_u32_e32 v7, vcc, 0, v3, vcc
	s_cselect_b32 s0, 12, 18
	global_load_dword v21, v[6:7], off
	s_add_u32 s0, s1, s0
	v_mov_b32_e32 v2, 0
	s_addc_u32 s1, s4, 0
	global_load_ushort v1, v2, s[0:1]
	v_mul_u32_u24_e32 v5, 5, v18
	v_lshlrev_b32_e32 v5, 2, v5
	ds_write2_b32 v5, v2, v2 offset0:8 offset1:9
	ds_write2_b32 v5, v2, v2 offset0:10 offset1:11
	ds_write_b32 v5, v2 offset:48
	global_load_dword v22, v[6:7], off offset:256
	global_load_dword v23, v[6:7], off offset:512
	;; [unrolled: 1-line block ×15, first 2 shown]
	v_bfe_u32 v3, v0, 10, 10
	v_bfe_u32 v0, v0, 20, 10
	s_lshl_b32 s0, -1, s53
	v_mad_u32_u24 v0, v0, s5, v3
	s_not_b32 s16, s0
	s_waitcnt lgkmcnt(0)
	s_barrier
	s_waitcnt lgkmcnt(0)
	; wave barrier
	s_waitcnt vmcnt(16)
	v_lshrrev_b32_e32 v3, s52, v21
	v_and_b32_e32 v6, s16, v3
	v_and_b32_e32 v8, 1, v6
	v_lshlrev_b32_e32 v3, 30, v6
	s_waitcnt vmcnt(15)
	v_mad_u64_u32 v[0:1], s[0:1], v0, v1, v[18:19]
	v_add_co_u32_e32 v1, vcc, -1, v8
	v_addc_co_u32_e64 v9, s[0:1], 0, -1, vcc
	v_cmp_ne_u32_e32 vcc, 0, v8
	v_cmp_gt_i64_e64 s[0:1], 0, v[2:3]
	v_not_b32_e32 v8, v3
	v_lshlrev_b32_e32 v3, 29, v6
	v_lshl_add_u32 v7, v6, 3, v6
	v_lshrrev_b32_e32 v16, 6, v0
	v_xor_b32_e32 v0, vcc_hi, v9
	v_xor_b32_e32 v1, vcc_lo, v1
	v_ashrrev_i32_e32 v8, 31, v8
	v_not_b32_e32 v10, v3
	v_cmp_gt_i64_e32 vcc, 0, v[2:3]
	v_lshlrev_b32_e32 v3, 28, v6
	v_add_lshl_u32 v9, v16, v7, 2
	v_and_b32_e32 v0, exec_hi, v0
	v_and_b32_e32 v1, exec_lo, v1
	v_xor_b32_e32 v7, s1, v8
	v_xor_b32_e32 v8, s0, v8
	v_ashrrev_i32_e32 v10, 31, v10
	v_and_b32_e32 v0, v0, v7
	v_and_b32_e32 v1, v1, v8
	v_xor_b32_e32 v7, vcc_hi, v10
	v_xor_b32_e32 v8, vcc_lo, v10
	v_cmp_gt_i64_e32 vcc, 0, v[2:3]
	v_not_b32_e32 v3, v3
	v_ashrrev_i32_e32 v3, 31, v3
	v_and_b32_e32 v0, v0, v7
	v_and_b32_e32 v1, v1, v8
	v_xor_b32_e32 v7, vcc_hi, v3
	v_xor_b32_e32 v3, vcc_lo, v3
	v_and_b32_e32 v1, v1, v3
	v_lshlrev_b32_e32 v3, 27, v6
	v_cmp_gt_i64_e32 vcc, 0, v[2:3]
	v_not_b32_e32 v3, v3
	v_ashrrev_i32_e32 v3, 31, v3
	v_and_b32_e32 v0, v0, v7
	v_xor_b32_e32 v7, vcc_hi, v3
	v_xor_b32_e32 v3, vcc_lo, v3
	v_and_b32_e32 v1, v1, v3
	v_lshlrev_b32_e32 v3, 26, v6
	v_cmp_gt_i64_e32 vcc, 0, v[2:3]
	v_not_b32_e32 v3, v3
	v_ashrrev_i32_e32 v3, 31, v3
	;; [unrolled: 8-line block ×3, first 2 shown]
	v_and_b32_e32 v0, v0, v7
	v_xor_b32_e32 v7, vcc_hi, v3
	v_xor_b32_e32 v3, vcc_lo, v3
	v_and_b32_e32 v0, v0, v7
	v_and_b32_e32 v7, v1, v3
	v_lshlrev_b32_e32 v3, 24, v6
	v_not_b32_e32 v1, v3
	v_cmp_gt_i64_e32 vcc, 0, v[2:3]
	v_ashrrev_i32_e32 v1, 31, v1
	v_xor_b32_e32 v3, vcc_hi, v1
	v_xor_b32_e32 v6, vcc_lo, v1
	v_and_b32_e32 v1, v0, v3
	v_and_b32_e32 v0, v7, v6
	v_mbcnt_lo_u32_b32 v3, v0, 0
	v_mbcnt_hi_u32_b32 v6, v1, v3
	v_cmp_eq_u32_e32 vcc, 0, v6
	v_cmp_ne_u64_e64 s[0:1], 0, v[0:1]
	s_and_b64 s[4:5], s[0:1], vcc
	s_and_saveexec_b64 s[0:1], s[4:5]
	s_cbranch_execz .LBB557_124
; %bb.123:
	v_bcnt_u32_b32 v0, v0, 0
	v_bcnt_u32_b32 v0, v1, v0
	ds_write_b32 v9, v0 offset:32
.LBB557_124:
	s_or_b64 exec, exec, s[0:1]
	s_waitcnt vmcnt(14)
	v_lshrrev_b32_e32 v0, s52, v22
	v_and_b32_e32 v0, s16, v0
	v_lshl_add_u32 v1, v0, 3, v0
	v_add_lshl_u32 v11, v16, v1, 2
	v_and_b32_e32 v1, 1, v0
	v_add_co_u32_e32 v3, vcc, -1, v1
	v_addc_co_u32_e64 v8, s[0:1], 0, -1, vcc
	v_cmp_ne_u32_e32 vcc, 0, v1
	v_xor_b32_e32 v3, vcc_lo, v3
	v_xor_b32_e32 v1, vcc_hi, v8
	v_and_b32_e32 v8, exec_lo, v3
	v_lshlrev_b32_e32 v3, 30, v0
	v_cmp_gt_i64_e32 vcc, 0, v[2:3]
	v_not_b32_e32 v3, v3
	v_ashrrev_i32_e32 v3, 31, v3
	v_xor_b32_e32 v10, vcc_hi, v3
	v_xor_b32_e32 v3, vcc_lo, v3
	v_and_b32_e32 v8, v8, v3
	v_lshlrev_b32_e32 v3, 29, v0
	v_cmp_gt_i64_e32 vcc, 0, v[2:3]
	v_not_b32_e32 v3, v3
	v_and_b32_e32 v1, exec_hi, v1
	v_ashrrev_i32_e32 v3, 31, v3
	v_and_b32_e32 v1, v1, v10
	v_xor_b32_e32 v10, vcc_hi, v3
	v_xor_b32_e32 v3, vcc_lo, v3
	v_and_b32_e32 v8, v8, v3
	v_lshlrev_b32_e32 v3, 28, v0
	v_cmp_gt_i64_e32 vcc, 0, v[2:3]
	v_not_b32_e32 v3, v3
	v_ashrrev_i32_e32 v3, 31, v3
	v_and_b32_e32 v1, v1, v10
	v_xor_b32_e32 v10, vcc_hi, v3
	v_xor_b32_e32 v3, vcc_lo, v3
	v_and_b32_e32 v8, v8, v3
	v_lshlrev_b32_e32 v3, 27, v0
	v_cmp_gt_i64_e32 vcc, 0, v[2:3]
	v_not_b32_e32 v3, v3
	;; [unrolled: 8-line block ×4, first 2 shown]
	v_ashrrev_i32_e32 v3, 31, v3
	v_and_b32_e32 v1, v1, v10
	v_xor_b32_e32 v10, vcc_hi, v3
	v_xor_b32_e32 v3, vcc_lo, v3
	v_and_b32_e32 v8, v8, v3
	v_lshlrev_b32_e32 v3, 24, v0
	v_not_b32_e32 v0, v3
	v_cmp_gt_i64_e32 vcc, 0, v[2:3]
	v_ashrrev_i32_e32 v0, 31, v0
	v_xor_b32_e32 v2, vcc_hi, v0
	v_xor_b32_e32 v0, vcc_lo, v0
	; wave barrier
	ds_read_b32 v7, v11 offset:32
	v_and_b32_e32 v1, v1, v10
	v_and_b32_e32 v0, v8, v0
	v_and_b32_e32 v1, v1, v2
	v_mbcnt_lo_u32_b32 v2, v0, 0
	v_mbcnt_hi_u32_b32 v8, v1, v2
	v_cmp_eq_u32_e32 vcc, 0, v8
	v_cmp_ne_u64_e64 s[0:1], 0, v[0:1]
	s_and_b64 s[4:5], s[0:1], vcc
	; wave barrier
	s_and_saveexec_b64 s[0:1], s[4:5]
	s_cbranch_execz .LBB557_126
; %bb.125:
	v_bcnt_u32_b32 v0, v0, 0
	v_bcnt_u32_b32 v0, v1, v0
	s_waitcnt lgkmcnt(0)
	v_add_u32_e32 v0, v7, v0
	ds_write_b32 v11, v0 offset:32
.LBB557_126:
	s_or_b64 exec, exec, s[0:1]
	s_waitcnt vmcnt(13)
	v_lshrrev_b32_e32 v0, s52, v23
	v_and_b32_e32 v2, s16, v0
	v_and_b32_e32 v1, 1, v2
	v_add_co_u32_e32 v3, vcc, -1, v1
	v_addc_co_u32_e64 v12, s[0:1], 0, -1, vcc
	v_cmp_ne_u32_e32 vcc, 0, v1
	v_lshl_add_u32 v0, v2, 3, v2
	v_xor_b32_e32 v1, vcc_hi, v12
	v_add_lshl_u32 v14, v16, v0, 2
	v_mov_b32_e32 v0, 0
	v_and_b32_e32 v12, exec_hi, v1
	v_lshlrev_b32_e32 v1, 30, v2
	v_xor_b32_e32 v3, vcc_lo, v3
	v_cmp_gt_i64_e32 vcc, 0, v[0:1]
	v_not_b32_e32 v1, v1
	v_ashrrev_i32_e32 v1, 31, v1
	v_and_b32_e32 v3, exec_lo, v3
	v_xor_b32_e32 v13, vcc_hi, v1
	v_xor_b32_e32 v1, vcc_lo, v1
	v_and_b32_e32 v3, v3, v1
	v_lshlrev_b32_e32 v1, 29, v2
	v_cmp_gt_i64_e32 vcc, 0, v[0:1]
	v_not_b32_e32 v1, v1
	v_ashrrev_i32_e32 v1, 31, v1
	v_and_b32_e32 v12, v12, v13
	v_xor_b32_e32 v13, vcc_hi, v1
	v_xor_b32_e32 v1, vcc_lo, v1
	v_and_b32_e32 v3, v3, v1
	v_lshlrev_b32_e32 v1, 28, v2
	v_cmp_gt_i64_e32 vcc, 0, v[0:1]
	v_not_b32_e32 v1, v1
	v_ashrrev_i32_e32 v1, 31, v1
	v_and_b32_e32 v12, v12, v13
	;; [unrolled: 8-line block ×5, first 2 shown]
	v_xor_b32_e32 v13, vcc_hi, v1
	v_xor_b32_e32 v1, vcc_lo, v1
	v_and_b32_e32 v12, v12, v13
	v_and_b32_e32 v13, v3, v1
	v_lshlrev_b32_e32 v1, 24, v2
	v_cmp_gt_i64_e32 vcc, 0, v[0:1]
	v_not_b32_e32 v1, v1
	v_ashrrev_i32_e32 v1, 31, v1
	v_xor_b32_e32 v2, vcc_hi, v1
	v_xor_b32_e32 v1, vcc_lo, v1
	; wave barrier
	ds_read_b32 v10, v14 offset:32
	v_and_b32_e32 v3, v12, v2
	v_and_b32_e32 v2, v13, v1
	v_mbcnt_lo_u32_b32 v1, v2, 0
	v_mbcnt_hi_u32_b32 v12, v3, v1
	v_cmp_eq_u32_e32 vcc, 0, v12
	v_cmp_ne_u64_e64 s[0:1], 0, v[2:3]
	s_and_b64 s[4:5], s[0:1], vcc
	; wave barrier
	s_and_saveexec_b64 s[0:1], s[4:5]
	s_cbranch_execz .LBB557_128
; %bb.127:
	v_bcnt_u32_b32 v1, v2, 0
	v_bcnt_u32_b32 v1, v3, v1
	s_waitcnt lgkmcnt(0)
	v_add_u32_e32 v1, v10, v1
	ds_write_b32 v14, v1 offset:32
.LBB557_128:
	s_or_b64 exec, exec, s[0:1]
	s_waitcnt vmcnt(12)
	v_lshrrev_b32_e32 v1, s52, v24
	v_and_b32_e32 v2, s16, v1
	v_lshl_add_u32 v1, v2, 3, v2
	v_add_lshl_u32 v37, v16, v1, 2
	v_and_b32_e32 v1, 1, v2
	v_add_co_u32_e32 v3, vcc, -1, v1
	v_addc_co_u32_e64 v15, s[0:1], 0, -1, vcc
	v_cmp_ne_u32_e32 vcc, 0, v1
	v_xor_b32_e32 v1, vcc_hi, v15
	v_and_b32_e32 v15, exec_hi, v1
	v_lshlrev_b32_e32 v1, 30, v2
	v_xor_b32_e32 v3, vcc_lo, v3
	v_cmp_gt_i64_e32 vcc, 0, v[0:1]
	v_not_b32_e32 v1, v1
	v_ashrrev_i32_e32 v1, 31, v1
	v_and_b32_e32 v3, exec_lo, v3
	v_xor_b32_e32 v17, vcc_hi, v1
	v_xor_b32_e32 v1, vcc_lo, v1
	v_and_b32_e32 v3, v3, v1
	v_lshlrev_b32_e32 v1, 29, v2
	v_cmp_gt_i64_e32 vcc, 0, v[0:1]
	v_not_b32_e32 v1, v1
	v_ashrrev_i32_e32 v1, 31, v1
	v_and_b32_e32 v15, v15, v17
	v_xor_b32_e32 v17, vcc_hi, v1
	v_xor_b32_e32 v1, vcc_lo, v1
	v_and_b32_e32 v3, v3, v1
	v_lshlrev_b32_e32 v1, 28, v2
	v_cmp_gt_i64_e32 vcc, 0, v[0:1]
	v_not_b32_e32 v1, v1
	v_ashrrev_i32_e32 v1, 31, v1
	v_and_b32_e32 v15, v15, v17
	;; [unrolled: 8-line block ×5, first 2 shown]
	v_xor_b32_e32 v17, vcc_hi, v1
	v_xor_b32_e32 v1, vcc_lo, v1
	v_and_b32_e32 v3, v3, v1
	v_lshlrev_b32_e32 v1, 24, v2
	v_cmp_gt_i64_e32 vcc, 0, v[0:1]
	v_not_b32_e32 v0, v1
	v_ashrrev_i32_e32 v0, 31, v0
	v_xor_b32_e32 v1, vcc_hi, v0
	v_xor_b32_e32 v0, vcc_lo, v0
	; wave barrier
	ds_read_b32 v13, v37 offset:32
	v_and_b32_e32 v15, v15, v17
	v_and_b32_e32 v0, v3, v0
	;; [unrolled: 1-line block ×3, first 2 shown]
	v_mbcnt_lo_u32_b32 v2, v0, 0
	v_mbcnt_hi_u32_b32 v15, v1, v2
	v_cmp_eq_u32_e32 vcc, 0, v15
	v_cmp_ne_u64_e64 s[0:1], 0, v[0:1]
	s_and_b64 s[4:5], s[0:1], vcc
	; wave barrier
	s_and_saveexec_b64 s[0:1], s[4:5]
	s_cbranch_execz .LBB557_130
; %bb.129:
	v_bcnt_u32_b32 v0, v0, 0
	v_bcnt_u32_b32 v0, v1, v0
	s_waitcnt lgkmcnt(0)
	v_add_u32_e32 v0, v13, v0
	ds_write_b32 v37, v0 offset:32
.LBB557_130:
	s_or_b64 exec, exec, s[0:1]
	s_waitcnt vmcnt(11)
	v_lshrrev_b32_e32 v0, s52, v25
	v_and_b32_e32 v2, s16, v0
	v_and_b32_e32 v1, 1, v2
	v_add_co_u32_e32 v3, vcc, -1, v1
	v_addc_co_u32_e64 v38, s[0:1], 0, -1, vcc
	v_cmp_ne_u32_e32 vcc, 0, v1
	v_lshl_add_u32 v0, v2, 3, v2
	v_xor_b32_e32 v1, vcc_hi, v38
	v_add_lshl_u32 v40, v16, v0, 2
	v_mov_b32_e32 v0, 0
	v_and_b32_e32 v38, exec_hi, v1
	v_lshlrev_b32_e32 v1, 30, v2
	v_xor_b32_e32 v3, vcc_lo, v3
	v_cmp_gt_i64_e32 vcc, 0, v[0:1]
	v_not_b32_e32 v1, v1
	v_ashrrev_i32_e32 v1, 31, v1
	v_and_b32_e32 v3, exec_lo, v3
	v_xor_b32_e32 v39, vcc_hi, v1
	v_xor_b32_e32 v1, vcc_lo, v1
	v_and_b32_e32 v3, v3, v1
	v_lshlrev_b32_e32 v1, 29, v2
	v_cmp_gt_i64_e32 vcc, 0, v[0:1]
	v_not_b32_e32 v1, v1
	v_ashrrev_i32_e32 v1, 31, v1
	v_and_b32_e32 v38, v38, v39
	v_xor_b32_e32 v39, vcc_hi, v1
	v_xor_b32_e32 v1, vcc_lo, v1
	v_and_b32_e32 v3, v3, v1
	v_lshlrev_b32_e32 v1, 28, v2
	v_cmp_gt_i64_e32 vcc, 0, v[0:1]
	v_not_b32_e32 v1, v1
	v_ashrrev_i32_e32 v1, 31, v1
	v_and_b32_e32 v38, v38, v39
	;; [unrolled: 8-line block ×5, first 2 shown]
	v_xor_b32_e32 v39, vcc_hi, v1
	v_xor_b32_e32 v1, vcc_lo, v1
	v_and_b32_e32 v38, v38, v39
	v_and_b32_e32 v39, v3, v1
	v_lshlrev_b32_e32 v1, 24, v2
	v_cmp_gt_i64_e32 vcc, 0, v[0:1]
	v_not_b32_e32 v1, v1
	v_ashrrev_i32_e32 v1, 31, v1
	v_xor_b32_e32 v2, vcc_hi, v1
	v_xor_b32_e32 v1, vcc_lo, v1
	; wave barrier
	ds_read_b32 v17, v40 offset:32
	v_and_b32_e32 v3, v38, v2
	v_and_b32_e32 v2, v39, v1
	v_mbcnt_lo_u32_b32 v1, v2, 0
	v_mbcnt_hi_u32_b32 v38, v3, v1
	v_cmp_eq_u32_e32 vcc, 0, v38
	v_cmp_ne_u64_e64 s[0:1], 0, v[2:3]
	s_and_b64 s[4:5], s[0:1], vcc
	; wave barrier
	s_and_saveexec_b64 s[0:1], s[4:5]
	s_cbranch_execz .LBB557_132
; %bb.131:
	v_bcnt_u32_b32 v1, v2, 0
	v_bcnt_u32_b32 v1, v3, v1
	s_waitcnt lgkmcnt(0)
	v_add_u32_e32 v1, v17, v1
	ds_write_b32 v40, v1 offset:32
.LBB557_132:
	s_or_b64 exec, exec, s[0:1]
	s_waitcnt vmcnt(10)
	v_lshrrev_b32_e32 v1, s52, v26
	v_and_b32_e32 v2, s16, v1
	v_lshl_add_u32 v1, v2, 3, v2
	v_add_lshl_u32 v43, v16, v1, 2
	v_and_b32_e32 v1, 1, v2
	v_add_co_u32_e32 v3, vcc, -1, v1
	v_addc_co_u32_e64 v41, s[0:1], 0, -1, vcc
	v_cmp_ne_u32_e32 vcc, 0, v1
	v_xor_b32_e32 v1, vcc_hi, v41
	v_and_b32_e32 v41, exec_hi, v1
	v_lshlrev_b32_e32 v1, 30, v2
	v_xor_b32_e32 v3, vcc_lo, v3
	v_cmp_gt_i64_e32 vcc, 0, v[0:1]
	v_not_b32_e32 v1, v1
	v_ashrrev_i32_e32 v1, 31, v1
	v_and_b32_e32 v3, exec_lo, v3
	v_xor_b32_e32 v42, vcc_hi, v1
	v_xor_b32_e32 v1, vcc_lo, v1
	v_and_b32_e32 v3, v3, v1
	v_lshlrev_b32_e32 v1, 29, v2
	v_cmp_gt_i64_e32 vcc, 0, v[0:1]
	v_not_b32_e32 v1, v1
	v_ashrrev_i32_e32 v1, 31, v1
	v_and_b32_e32 v41, v41, v42
	v_xor_b32_e32 v42, vcc_hi, v1
	v_xor_b32_e32 v1, vcc_lo, v1
	v_and_b32_e32 v3, v3, v1
	v_lshlrev_b32_e32 v1, 28, v2
	v_cmp_gt_i64_e32 vcc, 0, v[0:1]
	v_not_b32_e32 v1, v1
	v_ashrrev_i32_e32 v1, 31, v1
	v_and_b32_e32 v41, v41, v42
	;; [unrolled: 8-line block ×5, first 2 shown]
	v_xor_b32_e32 v42, vcc_hi, v1
	v_xor_b32_e32 v1, vcc_lo, v1
	v_and_b32_e32 v3, v3, v1
	v_lshlrev_b32_e32 v1, 24, v2
	v_cmp_gt_i64_e32 vcc, 0, v[0:1]
	v_not_b32_e32 v0, v1
	v_ashrrev_i32_e32 v0, 31, v0
	v_xor_b32_e32 v1, vcc_hi, v0
	v_xor_b32_e32 v0, vcc_lo, v0
	; wave barrier
	ds_read_b32 v39, v43 offset:32
	v_and_b32_e32 v41, v41, v42
	v_and_b32_e32 v0, v3, v0
	;; [unrolled: 1-line block ×3, first 2 shown]
	v_mbcnt_lo_u32_b32 v2, v0, 0
	v_mbcnt_hi_u32_b32 v41, v1, v2
	v_cmp_eq_u32_e32 vcc, 0, v41
	v_cmp_ne_u64_e64 s[0:1], 0, v[0:1]
	s_and_b64 s[4:5], s[0:1], vcc
	; wave barrier
	s_and_saveexec_b64 s[0:1], s[4:5]
	s_cbranch_execz .LBB557_134
; %bb.133:
	v_bcnt_u32_b32 v0, v0, 0
	v_bcnt_u32_b32 v0, v1, v0
	s_waitcnt lgkmcnt(0)
	v_add_u32_e32 v0, v39, v0
	ds_write_b32 v43, v0 offset:32
.LBB557_134:
	s_or_b64 exec, exec, s[0:1]
	s_waitcnt vmcnt(9)
	v_lshrrev_b32_e32 v0, s52, v27
	v_and_b32_e32 v2, s16, v0
	v_and_b32_e32 v1, 1, v2
	v_add_co_u32_e32 v3, vcc, -1, v1
	v_addc_co_u32_e64 v44, s[0:1], 0, -1, vcc
	v_cmp_ne_u32_e32 vcc, 0, v1
	v_lshl_add_u32 v0, v2, 3, v2
	v_xor_b32_e32 v1, vcc_hi, v44
	v_add_lshl_u32 v46, v16, v0, 2
	v_mov_b32_e32 v0, 0
	v_and_b32_e32 v44, exec_hi, v1
	v_lshlrev_b32_e32 v1, 30, v2
	v_xor_b32_e32 v3, vcc_lo, v3
	v_cmp_gt_i64_e32 vcc, 0, v[0:1]
	v_not_b32_e32 v1, v1
	v_ashrrev_i32_e32 v1, 31, v1
	v_and_b32_e32 v3, exec_lo, v3
	v_xor_b32_e32 v45, vcc_hi, v1
	v_xor_b32_e32 v1, vcc_lo, v1
	v_and_b32_e32 v3, v3, v1
	v_lshlrev_b32_e32 v1, 29, v2
	v_cmp_gt_i64_e32 vcc, 0, v[0:1]
	v_not_b32_e32 v1, v1
	v_ashrrev_i32_e32 v1, 31, v1
	v_and_b32_e32 v44, v44, v45
	v_xor_b32_e32 v45, vcc_hi, v1
	v_xor_b32_e32 v1, vcc_lo, v1
	v_and_b32_e32 v3, v3, v1
	v_lshlrev_b32_e32 v1, 28, v2
	v_cmp_gt_i64_e32 vcc, 0, v[0:1]
	v_not_b32_e32 v1, v1
	v_ashrrev_i32_e32 v1, 31, v1
	v_and_b32_e32 v44, v44, v45
	;; [unrolled: 8-line block ×5, first 2 shown]
	v_xor_b32_e32 v45, vcc_hi, v1
	v_xor_b32_e32 v1, vcc_lo, v1
	v_and_b32_e32 v44, v44, v45
	v_and_b32_e32 v45, v3, v1
	v_lshlrev_b32_e32 v1, 24, v2
	v_cmp_gt_i64_e32 vcc, 0, v[0:1]
	v_not_b32_e32 v1, v1
	v_ashrrev_i32_e32 v1, 31, v1
	v_xor_b32_e32 v2, vcc_hi, v1
	v_xor_b32_e32 v1, vcc_lo, v1
	; wave barrier
	ds_read_b32 v42, v46 offset:32
	v_and_b32_e32 v3, v44, v2
	v_and_b32_e32 v2, v45, v1
	v_mbcnt_lo_u32_b32 v1, v2, 0
	v_mbcnt_hi_u32_b32 v44, v3, v1
	v_cmp_eq_u32_e32 vcc, 0, v44
	v_cmp_ne_u64_e64 s[0:1], 0, v[2:3]
	s_and_b64 s[4:5], s[0:1], vcc
	; wave barrier
	s_and_saveexec_b64 s[0:1], s[4:5]
	s_cbranch_execz .LBB557_136
; %bb.135:
	v_bcnt_u32_b32 v1, v2, 0
	v_bcnt_u32_b32 v1, v3, v1
	s_waitcnt lgkmcnt(0)
	v_add_u32_e32 v1, v42, v1
	ds_write_b32 v46, v1 offset:32
.LBB557_136:
	s_or_b64 exec, exec, s[0:1]
	s_waitcnt vmcnt(8)
	v_lshrrev_b32_e32 v1, s52, v28
	v_and_b32_e32 v2, s16, v1
	v_lshl_add_u32 v1, v2, 3, v2
	v_add_lshl_u32 v49, v16, v1, 2
	v_and_b32_e32 v1, 1, v2
	v_add_co_u32_e32 v3, vcc, -1, v1
	v_addc_co_u32_e64 v47, s[0:1], 0, -1, vcc
	v_cmp_ne_u32_e32 vcc, 0, v1
	v_xor_b32_e32 v1, vcc_hi, v47
	v_and_b32_e32 v47, exec_hi, v1
	v_lshlrev_b32_e32 v1, 30, v2
	v_xor_b32_e32 v3, vcc_lo, v3
	v_cmp_gt_i64_e32 vcc, 0, v[0:1]
	v_not_b32_e32 v1, v1
	v_ashrrev_i32_e32 v1, 31, v1
	v_and_b32_e32 v3, exec_lo, v3
	v_xor_b32_e32 v48, vcc_hi, v1
	v_xor_b32_e32 v1, vcc_lo, v1
	v_and_b32_e32 v3, v3, v1
	v_lshlrev_b32_e32 v1, 29, v2
	v_cmp_gt_i64_e32 vcc, 0, v[0:1]
	v_not_b32_e32 v1, v1
	v_ashrrev_i32_e32 v1, 31, v1
	v_and_b32_e32 v47, v47, v48
	v_xor_b32_e32 v48, vcc_hi, v1
	v_xor_b32_e32 v1, vcc_lo, v1
	v_and_b32_e32 v3, v3, v1
	v_lshlrev_b32_e32 v1, 28, v2
	v_cmp_gt_i64_e32 vcc, 0, v[0:1]
	v_not_b32_e32 v1, v1
	v_ashrrev_i32_e32 v1, 31, v1
	v_and_b32_e32 v47, v47, v48
	;; [unrolled: 8-line block ×5, first 2 shown]
	v_xor_b32_e32 v48, vcc_hi, v1
	v_xor_b32_e32 v1, vcc_lo, v1
	v_and_b32_e32 v3, v3, v1
	v_lshlrev_b32_e32 v1, 24, v2
	v_cmp_gt_i64_e32 vcc, 0, v[0:1]
	v_not_b32_e32 v0, v1
	v_ashrrev_i32_e32 v0, 31, v0
	v_xor_b32_e32 v1, vcc_hi, v0
	v_xor_b32_e32 v0, vcc_lo, v0
	; wave barrier
	ds_read_b32 v45, v49 offset:32
	v_and_b32_e32 v47, v47, v48
	v_and_b32_e32 v0, v3, v0
	;; [unrolled: 1-line block ×3, first 2 shown]
	v_mbcnt_lo_u32_b32 v2, v0, 0
	v_mbcnt_hi_u32_b32 v47, v1, v2
	v_cmp_eq_u32_e32 vcc, 0, v47
	v_cmp_ne_u64_e64 s[0:1], 0, v[0:1]
	s_and_b64 s[4:5], s[0:1], vcc
	; wave barrier
	s_and_saveexec_b64 s[0:1], s[4:5]
	s_cbranch_execz .LBB557_138
; %bb.137:
	v_bcnt_u32_b32 v0, v0, 0
	v_bcnt_u32_b32 v0, v1, v0
	s_waitcnt lgkmcnt(0)
	v_add_u32_e32 v0, v45, v0
	ds_write_b32 v49, v0 offset:32
.LBB557_138:
	s_or_b64 exec, exec, s[0:1]
	s_waitcnt vmcnt(7)
	v_lshrrev_b32_e32 v0, s52, v29
	v_and_b32_e32 v2, s16, v0
	v_and_b32_e32 v1, 1, v2
	v_add_co_u32_e32 v3, vcc, -1, v1
	v_addc_co_u32_e64 v50, s[0:1], 0, -1, vcc
	v_cmp_ne_u32_e32 vcc, 0, v1
	v_lshl_add_u32 v0, v2, 3, v2
	v_xor_b32_e32 v1, vcc_hi, v50
	v_add_lshl_u32 v52, v16, v0, 2
	v_mov_b32_e32 v0, 0
	v_and_b32_e32 v50, exec_hi, v1
	v_lshlrev_b32_e32 v1, 30, v2
	v_xor_b32_e32 v3, vcc_lo, v3
	v_cmp_gt_i64_e32 vcc, 0, v[0:1]
	v_not_b32_e32 v1, v1
	v_ashrrev_i32_e32 v1, 31, v1
	v_and_b32_e32 v3, exec_lo, v3
	v_xor_b32_e32 v51, vcc_hi, v1
	v_xor_b32_e32 v1, vcc_lo, v1
	v_and_b32_e32 v3, v3, v1
	v_lshlrev_b32_e32 v1, 29, v2
	v_cmp_gt_i64_e32 vcc, 0, v[0:1]
	v_not_b32_e32 v1, v1
	v_ashrrev_i32_e32 v1, 31, v1
	v_and_b32_e32 v50, v50, v51
	v_xor_b32_e32 v51, vcc_hi, v1
	v_xor_b32_e32 v1, vcc_lo, v1
	v_and_b32_e32 v3, v3, v1
	v_lshlrev_b32_e32 v1, 28, v2
	v_cmp_gt_i64_e32 vcc, 0, v[0:1]
	v_not_b32_e32 v1, v1
	v_ashrrev_i32_e32 v1, 31, v1
	v_and_b32_e32 v50, v50, v51
	;; [unrolled: 8-line block ×5, first 2 shown]
	v_xor_b32_e32 v51, vcc_hi, v1
	v_xor_b32_e32 v1, vcc_lo, v1
	v_and_b32_e32 v50, v50, v51
	v_and_b32_e32 v51, v3, v1
	v_lshlrev_b32_e32 v1, 24, v2
	v_cmp_gt_i64_e32 vcc, 0, v[0:1]
	v_not_b32_e32 v1, v1
	v_ashrrev_i32_e32 v1, 31, v1
	v_xor_b32_e32 v2, vcc_hi, v1
	v_xor_b32_e32 v1, vcc_lo, v1
	; wave barrier
	ds_read_b32 v48, v52 offset:32
	v_and_b32_e32 v3, v50, v2
	v_and_b32_e32 v2, v51, v1
	v_mbcnt_lo_u32_b32 v1, v2, 0
	v_mbcnt_hi_u32_b32 v50, v3, v1
	v_cmp_eq_u32_e32 vcc, 0, v50
	v_cmp_ne_u64_e64 s[0:1], 0, v[2:3]
	s_and_b64 s[4:5], s[0:1], vcc
	; wave barrier
	s_and_saveexec_b64 s[0:1], s[4:5]
	s_cbranch_execz .LBB557_140
; %bb.139:
	v_bcnt_u32_b32 v1, v2, 0
	v_bcnt_u32_b32 v1, v3, v1
	s_waitcnt lgkmcnt(0)
	v_add_u32_e32 v1, v48, v1
	ds_write_b32 v52, v1 offset:32
.LBB557_140:
	s_or_b64 exec, exec, s[0:1]
	s_waitcnt vmcnt(6)
	v_lshrrev_b32_e32 v1, s52, v30
	v_and_b32_e32 v2, s16, v1
	v_lshl_add_u32 v1, v2, 3, v2
	v_add_lshl_u32 v55, v16, v1, 2
	v_and_b32_e32 v1, 1, v2
	v_add_co_u32_e32 v3, vcc, -1, v1
	v_addc_co_u32_e64 v53, s[0:1], 0, -1, vcc
	v_cmp_ne_u32_e32 vcc, 0, v1
	v_xor_b32_e32 v1, vcc_hi, v53
	v_and_b32_e32 v53, exec_hi, v1
	v_lshlrev_b32_e32 v1, 30, v2
	v_xor_b32_e32 v3, vcc_lo, v3
	v_cmp_gt_i64_e32 vcc, 0, v[0:1]
	v_not_b32_e32 v1, v1
	v_ashrrev_i32_e32 v1, 31, v1
	v_and_b32_e32 v3, exec_lo, v3
	v_xor_b32_e32 v54, vcc_hi, v1
	v_xor_b32_e32 v1, vcc_lo, v1
	v_and_b32_e32 v3, v3, v1
	v_lshlrev_b32_e32 v1, 29, v2
	v_cmp_gt_i64_e32 vcc, 0, v[0:1]
	v_not_b32_e32 v1, v1
	v_ashrrev_i32_e32 v1, 31, v1
	v_and_b32_e32 v53, v53, v54
	v_xor_b32_e32 v54, vcc_hi, v1
	v_xor_b32_e32 v1, vcc_lo, v1
	v_and_b32_e32 v3, v3, v1
	v_lshlrev_b32_e32 v1, 28, v2
	v_cmp_gt_i64_e32 vcc, 0, v[0:1]
	v_not_b32_e32 v1, v1
	v_ashrrev_i32_e32 v1, 31, v1
	v_and_b32_e32 v53, v53, v54
	v_xor_b32_e32 v54, vcc_hi, v1
	v_xor_b32_e32 v1, vcc_lo, v1
	v_and_b32_e32 v3, v3, v1
	v_lshlrev_b32_e32 v1, 27, v2
	v_cmp_gt_i64_e32 vcc, 0, v[0:1]
	v_not_b32_e32 v1, v1
	v_ashrrev_i32_e32 v1, 31, v1
	v_and_b32_e32 v53, v53, v54
	v_xor_b32_e32 v54, vcc_hi, v1
	v_xor_b32_e32 v1, vcc_lo, v1
	v_and_b32_e32 v3, v3, v1
	v_lshlrev_b32_e32 v1, 26, v2
	v_cmp_gt_i64_e32 vcc, 0, v[0:1]
	v_not_b32_e32 v1, v1
	v_ashrrev_i32_e32 v1, 31, v1
	v_and_b32_e32 v53, v53, v54
	v_xor_b32_e32 v54, vcc_hi, v1
	v_xor_b32_e32 v1, vcc_lo, v1
	v_and_b32_e32 v3, v3, v1
	v_lshlrev_b32_e32 v1, 25, v2
	v_cmp_gt_i64_e32 vcc, 0, v[0:1]
	v_not_b32_e32 v1, v1
	v_ashrrev_i32_e32 v1, 31, v1
	v_and_b32_e32 v53, v53, v54
	v_xor_b32_e32 v54, vcc_hi, v1
	v_xor_b32_e32 v1, vcc_lo, v1
	v_and_b32_e32 v3, v3, v1
	v_lshlrev_b32_e32 v1, 24, v2
	v_cmp_gt_i64_e32 vcc, 0, v[0:1]
	v_not_b32_e32 v0, v1
	v_ashrrev_i32_e32 v0, 31, v0
	v_xor_b32_e32 v1, vcc_hi, v0
	v_xor_b32_e32 v0, vcc_lo, v0
	; wave barrier
	ds_read_b32 v51, v55 offset:32
	v_and_b32_e32 v53, v53, v54
	v_and_b32_e32 v0, v3, v0
	;; [unrolled: 1-line block ×3, first 2 shown]
	v_mbcnt_lo_u32_b32 v2, v0, 0
	v_mbcnt_hi_u32_b32 v53, v1, v2
	v_cmp_eq_u32_e32 vcc, 0, v53
	v_cmp_ne_u64_e64 s[0:1], 0, v[0:1]
	s_and_b64 s[4:5], s[0:1], vcc
	; wave barrier
	s_and_saveexec_b64 s[0:1], s[4:5]
	s_cbranch_execz .LBB557_142
; %bb.141:
	v_bcnt_u32_b32 v0, v0, 0
	v_bcnt_u32_b32 v0, v1, v0
	s_waitcnt lgkmcnt(0)
	v_add_u32_e32 v0, v51, v0
	ds_write_b32 v55, v0 offset:32
.LBB557_142:
	s_or_b64 exec, exec, s[0:1]
	s_waitcnt vmcnt(5)
	v_lshrrev_b32_e32 v0, s52, v31
	v_and_b32_e32 v2, s16, v0
	v_and_b32_e32 v1, 1, v2
	v_add_co_u32_e32 v3, vcc, -1, v1
	v_addc_co_u32_e64 v56, s[0:1], 0, -1, vcc
	v_cmp_ne_u32_e32 vcc, 0, v1
	v_lshl_add_u32 v0, v2, 3, v2
	v_xor_b32_e32 v1, vcc_hi, v56
	v_add_lshl_u32 v58, v16, v0, 2
	v_mov_b32_e32 v0, 0
	v_and_b32_e32 v56, exec_hi, v1
	v_lshlrev_b32_e32 v1, 30, v2
	v_xor_b32_e32 v3, vcc_lo, v3
	v_cmp_gt_i64_e32 vcc, 0, v[0:1]
	v_not_b32_e32 v1, v1
	v_ashrrev_i32_e32 v1, 31, v1
	v_and_b32_e32 v3, exec_lo, v3
	v_xor_b32_e32 v57, vcc_hi, v1
	v_xor_b32_e32 v1, vcc_lo, v1
	v_and_b32_e32 v3, v3, v1
	v_lshlrev_b32_e32 v1, 29, v2
	v_cmp_gt_i64_e32 vcc, 0, v[0:1]
	v_not_b32_e32 v1, v1
	v_ashrrev_i32_e32 v1, 31, v1
	v_and_b32_e32 v56, v56, v57
	v_xor_b32_e32 v57, vcc_hi, v1
	v_xor_b32_e32 v1, vcc_lo, v1
	v_and_b32_e32 v3, v3, v1
	v_lshlrev_b32_e32 v1, 28, v2
	v_cmp_gt_i64_e32 vcc, 0, v[0:1]
	v_not_b32_e32 v1, v1
	v_ashrrev_i32_e32 v1, 31, v1
	v_and_b32_e32 v56, v56, v57
	;; [unrolled: 8-line block ×5, first 2 shown]
	v_xor_b32_e32 v57, vcc_hi, v1
	v_xor_b32_e32 v1, vcc_lo, v1
	v_and_b32_e32 v56, v56, v57
	v_and_b32_e32 v57, v3, v1
	v_lshlrev_b32_e32 v1, 24, v2
	v_cmp_gt_i64_e32 vcc, 0, v[0:1]
	v_not_b32_e32 v1, v1
	v_ashrrev_i32_e32 v1, 31, v1
	v_xor_b32_e32 v2, vcc_hi, v1
	v_xor_b32_e32 v1, vcc_lo, v1
	; wave barrier
	ds_read_b32 v54, v58 offset:32
	v_and_b32_e32 v3, v56, v2
	v_and_b32_e32 v2, v57, v1
	v_mbcnt_lo_u32_b32 v1, v2, 0
	v_mbcnt_hi_u32_b32 v56, v3, v1
	v_cmp_eq_u32_e32 vcc, 0, v56
	v_cmp_ne_u64_e64 s[0:1], 0, v[2:3]
	s_and_b64 s[4:5], s[0:1], vcc
	; wave barrier
	s_and_saveexec_b64 s[0:1], s[4:5]
	s_cbranch_execz .LBB557_144
; %bb.143:
	v_bcnt_u32_b32 v1, v2, 0
	v_bcnt_u32_b32 v1, v3, v1
	s_waitcnt lgkmcnt(0)
	v_add_u32_e32 v1, v54, v1
	ds_write_b32 v58, v1 offset:32
.LBB557_144:
	s_or_b64 exec, exec, s[0:1]
	s_waitcnt vmcnt(4)
	v_lshrrev_b32_e32 v1, s52, v32
	v_and_b32_e32 v2, s16, v1
	v_lshl_add_u32 v1, v2, 3, v2
	v_add_lshl_u32 v61, v16, v1, 2
	v_and_b32_e32 v1, 1, v2
	v_add_co_u32_e32 v3, vcc, -1, v1
	v_addc_co_u32_e64 v59, s[0:1], 0, -1, vcc
	v_cmp_ne_u32_e32 vcc, 0, v1
	v_xor_b32_e32 v1, vcc_hi, v59
	v_and_b32_e32 v59, exec_hi, v1
	v_lshlrev_b32_e32 v1, 30, v2
	v_xor_b32_e32 v3, vcc_lo, v3
	v_cmp_gt_i64_e32 vcc, 0, v[0:1]
	v_not_b32_e32 v1, v1
	v_ashrrev_i32_e32 v1, 31, v1
	v_and_b32_e32 v3, exec_lo, v3
	v_xor_b32_e32 v60, vcc_hi, v1
	v_xor_b32_e32 v1, vcc_lo, v1
	v_and_b32_e32 v3, v3, v1
	v_lshlrev_b32_e32 v1, 29, v2
	v_cmp_gt_i64_e32 vcc, 0, v[0:1]
	v_not_b32_e32 v1, v1
	v_ashrrev_i32_e32 v1, 31, v1
	v_and_b32_e32 v59, v59, v60
	v_xor_b32_e32 v60, vcc_hi, v1
	v_xor_b32_e32 v1, vcc_lo, v1
	v_and_b32_e32 v3, v3, v1
	v_lshlrev_b32_e32 v1, 28, v2
	v_cmp_gt_i64_e32 vcc, 0, v[0:1]
	v_not_b32_e32 v1, v1
	v_ashrrev_i32_e32 v1, 31, v1
	v_and_b32_e32 v59, v59, v60
	;; [unrolled: 8-line block ×5, first 2 shown]
	v_xor_b32_e32 v60, vcc_hi, v1
	v_xor_b32_e32 v1, vcc_lo, v1
	v_and_b32_e32 v3, v3, v1
	v_lshlrev_b32_e32 v1, 24, v2
	v_cmp_gt_i64_e32 vcc, 0, v[0:1]
	v_not_b32_e32 v0, v1
	v_ashrrev_i32_e32 v0, 31, v0
	v_xor_b32_e32 v1, vcc_hi, v0
	v_xor_b32_e32 v0, vcc_lo, v0
	; wave barrier
	ds_read_b32 v57, v61 offset:32
	v_and_b32_e32 v59, v59, v60
	v_and_b32_e32 v0, v3, v0
	;; [unrolled: 1-line block ×3, first 2 shown]
	v_mbcnt_lo_u32_b32 v2, v0, 0
	v_mbcnt_hi_u32_b32 v59, v1, v2
	v_cmp_eq_u32_e32 vcc, 0, v59
	v_cmp_ne_u64_e64 s[0:1], 0, v[0:1]
	s_and_b64 s[4:5], s[0:1], vcc
	; wave barrier
	s_and_saveexec_b64 s[0:1], s[4:5]
	s_cbranch_execz .LBB557_146
; %bb.145:
	v_bcnt_u32_b32 v0, v0, 0
	v_bcnt_u32_b32 v0, v1, v0
	s_waitcnt lgkmcnt(0)
	v_add_u32_e32 v0, v57, v0
	ds_write_b32 v61, v0 offset:32
.LBB557_146:
	s_or_b64 exec, exec, s[0:1]
	s_waitcnt vmcnt(3)
	v_lshrrev_b32_e32 v0, s52, v33
	v_and_b32_e32 v2, s16, v0
	v_and_b32_e32 v1, 1, v2
	v_add_co_u32_e32 v3, vcc, -1, v1
	v_addc_co_u32_e64 v62, s[0:1], 0, -1, vcc
	v_cmp_ne_u32_e32 vcc, 0, v1
	v_lshl_add_u32 v0, v2, 3, v2
	v_xor_b32_e32 v1, vcc_hi, v62
	v_add_lshl_u32 v63, v16, v0, 2
	v_mov_b32_e32 v0, 0
	v_and_b32_e32 v62, exec_hi, v1
	v_lshlrev_b32_e32 v1, 30, v2
	v_xor_b32_e32 v3, vcc_lo, v3
	v_cmp_gt_i64_e32 vcc, 0, v[0:1]
	v_not_b32_e32 v1, v1
	v_ashrrev_i32_e32 v1, 31, v1
	v_and_b32_e32 v3, exec_lo, v3
	v_xor_b32_e32 v64, vcc_hi, v1
	v_xor_b32_e32 v1, vcc_lo, v1
	v_and_b32_e32 v3, v3, v1
	v_lshlrev_b32_e32 v1, 29, v2
	v_cmp_gt_i64_e32 vcc, 0, v[0:1]
	v_not_b32_e32 v1, v1
	v_ashrrev_i32_e32 v1, 31, v1
	v_and_b32_e32 v62, v62, v64
	v_xor_b32_e32 v64, vcc_hi, v1
	v_xor_b32_e32 v1, vcc_lo, v1
	v_and_b32_e32 v3, v3, v1
	v_lshlrev_b32_e32 v1, 28, v2
	v_cmp_gt_i64_e32 vcc, 0, v[0:1]
	v_not_b32_e32 v1, v1
	v_ashrrev_i32_e32 v1, 31, v1
	v_and_b32_e32 v62, v62, v64
	;; [unrolled: 8-line block ×5, first 2 shown]
	v_xor_b32_e32 v64, vcc_hi, v1
	v_xor_b32_e32 v1, vcc_lo, v1
	v_and_b32_e32 v62, v62, v64
	v_and_b32_e32 v64, v3, v1
	v_lshlrev_b32_e32 v1, 24, v2
	v_cmp_gt_i64_e32 vcc, 0, v[0:1]
	v_not_b32_e32 v1, v1
	v_ashrrev_i32_e32 v1, 31, v1
	v_xor_b32_e32 v2, vcc_hi, v1
	v_xor_b32_e32 v1, vcc_lo, v1
	; wave barrier
	ds_read_b32 v60, v63 offset:32
	v_and_b32_e32 v3, v62, v2
	v_and_b32_e32 v2, v64, v1
	v_mbcnt_lo_u32_b32 v1, v2, 0
	v_mbcnt_hi_u32_b32 v62, v3, v1
	v_cmp_eq_u32_e32 vcc, 0, v62
	v_cmp_ne_u64_e64 s[0:1], 0, v[2:3]
	s_and_b64 s[4:5], s[0:1], vcc
	; wave barrier
	s_and_saveexec_b64 s[0:1], s[4:5]
	s_cbranch_execz .LBB557_148
; %bb.147:
	v_bcnt_u32_b32 v1, v2, 0
	v_bcnt_u32_b32 v1, v3, v1
	s_waitcnt lgkmcnt(0)
	v_add_u32_e32 v1, v60, v1
	ds_write_b32 v63, v1 offset:32
.LBB557_148:
	s_or_b64 exec, exec, s[0:1]
	s_waitcnt vmcnt(2)
	v_lshrrev_b32_e32 v1, s52, v34
	v_and_b32_e32 v2, s16, v1
	v_lshl_add_u32 v1, v2, 3, v2
	v_add_lshl_u32 v67, v16, v1, 2
	v_and_b32_e32 v1, 1, v2
	v_add_co_u32_e32 v3, vcc, -1, v1
	v_addc_co_u32_e64 v65, s[0:1], 0, -1, vcc
	v_cmp_ne_u32_e32 vcc, 0, v1
	v_xor_b32_e32 v1, vcc_hi, v65
	v_and_b32_e32 v65, exec_hi, v1
	v_lshlrev_b32_e32 v1, 30, v2
	v_xor_b32_e32 v3, vcc_lo, v3
	v_cmp_gt_i64_e32 vcc, 0, v[0:1]
	v_not_b32_e32 v1, v1
	v_ashrrev_i32_e32 v1, 31, v1
	v_and_b32_e32 v3, exec_lo, v3
	v_xor_b32_e32 v66, vcc_hi, v1
	v_xor_b32_e32 v1, vcc_lo, v1
	v_and_b32_e32 v3, v3, v1
	v_lshlrev_b32_e32 v1, 29, v2
	v_cmp_gt_i64_e32 vcc, 0, v[0:1]
	v_not_b32_e32 v1, v1
	v_ashrrev_i32_e32 v1, 31, v1
	v_and_b32_e32 v65, v65, v66
	v_xor_b32_e32 v66, vcc_hi, v1
	v_xor_b32_e32 v1, vcc_lo, v1
	v_and_b32_e32 v3, v3, v1
	v_lshlrev_b32_e32 v1, 28, v2
	v_cmp_gt_i64_e32 vcc, 0, v[0:1]
	v_not_b32_e32 v1, v1
	v_ashrrev_i32_e32 v1, 31, v1
	v_and_b32_e32 v65, v65, v66
	;; [unrolled: 8-line block ×5, first 2 shown]
	v_xor_b32_e32 v66, vcc_hi, v1
	v_xor_b32_e32 v1, vcc_lo, v1
	v_and_b32_e32 v3, v3, v1
	v_lshlrev_b32_e32 v1, 24, v2
	v_cmp_gt_i64_e32 vcc, 0, v[0:1]
	v_not_b32_e32 v0, v1
	v_ashrrev_i32_e32 v0, 31, v0
	v_xor_b32_e32 v1, vcc_hi, v0
	v_xor_b32_e32 v0, vcc_lo, v0
	; wave barrier
	ds_read_b32 v64, v67 offset:32
	v_and_b32_e32 v65, v65, v66
	v_and_b32_e32 v0, v3, v0
	;; [unrolled: 1-line block ×3, first 2 shown]
	v_mbcnt_lo_u32_b32 v2, v0, 0
	v_mbcnt_hi_u32_b32 v65, v1, v2
	v_cmp_eq_u32_e32 vcc, 0, v65
	v_cmp_ne_u64_e64 s[0:1], 0, v[0:1]
	s_and_b64 s[4:5], s[0:1], vcc
	; wave barrier
	s_and_saveexec_b64 s[0:1], s[4:5]
	s_cbranch_execz .LBB557_150
; %bb.149:
	v_bcnt_u32_b32 v0, v0, 0
	v_bcnt_u32_b32 v0, v1, v0
	s_waitcnt lgkmcnt(0)
	v_add_u32_e32 v0, v64, v0
	ds_write_b32 v67, v0 offset:32
.LBB557_150:
	s_or_b64 exec, exec, s[0:1]
	s_waitcnt vmcnt(1)
	v_lshrrev_b32_e32 v0, s52, v35
	v_and_b32_e32 v2, s16, v0
	v_and_b32_e32 v1, 1, v2
	v_add_co_u32_e32 v3, vcc, -1, v1
	v_addc_co_u32_e64 v68, s[0:1], 0, -1, vcc
	v_cmp_ne_u32_e32 vcc, 0, v1
	v_lshl_add_u32 v0, v2, 3, v2
	v_xor_b32_e32 v1, vcc_hi, v68
	v_add_lshl_u32 v69, v16, v0, 2
	v_mov_b32_e32 v0, 0
	v_and_b32_e32 v68, exec_hi, v1
	v_lshlrev_b32_e32 v1, 30, v2
	v_xor_b32_e32 v3, vcc_lo, v3
	v_cmp_gt_i64_e32 vcc, 0, v[0:1]
	v_not_b32_e32 v1, v1
	v_ashrrev_i32_e32 v1, 31, v1
	v_and_b32_e32 v3, exec_lo, v3
	v_xor_b32_e32 v70, vcc_hi, v1
	v_xor_b32_e32 v1, vcc_lo, v1
	v_and_b32_e32 v3, v3, v1
	v_lshlrev_b32_e32 v1, 29, v2
	v_cmp_gt_i64_e32 vcc, 0, v[0:1]
	v_not_b32_e32 v1, v1
	v_ashrrev_i32_e32 v1, 31, v1
	v_and_b32_e32 v68, v68, v70
	v_xor_b32_e32 v70, vcc_hi, v1
	v_xor_b32_e32 v1, vcc_lo, v1
	v_and_b32_e32 v3, v3, v1
	v_lshlrev_b32_e32 v1, 28, v2
	v_cmp_gt_i64_e32 vcc, 0, v[0:1]
	v_not_b32_e32 v1, v1
	v_ashrrev_i32_e32 v1, 31, v1
	v_and_b32_e32 v68, v68, v70
	v_xor_b32_e32 v70, vcc_hi, v1
	v_xor_b32_e32 v1, vcc_lo, v1
	v_and_b32_e32 v3, v3, v1
	v_lshlrev_b32_e32 v1, 27, v2
	v_cmp_gt_i64_e32 vcc, 0, v[0:1]
	v_not_b32_e32 v1, v1
	v_ashrrev_i32_e32 v1, 31, v1
	v_and_b32_e32 v68, v68, v70
	v_xor_b32_e32 v70, vcc_hi, v1
	v_xor_b32_e32 v1, vcc_lo, v1
	v_and_b32_e32 v3, v3, v1
	v_lshlrev_b32_e32 v1, 26, v2
	v_cmp_gt_i64_e32 vcc, 0, v[0:1]
	v_not_b32_e32 v1, v1
	v_ashrrev_i32_e32 v1, 31, v1
	v_and_b32_e32 v68, v68, v70
	v_xor_b32_e32 v70, vcc_hi, v1
	v_xor_b32_e32 v1, vcc_lo, v1
	v_and_b32_e32 v3, v3, v1
	v_lshlrev_b32_e32 v1, 25, v2
	v_cmp_gt_i64_e32 vcc, 0, v[0:1]
	v_not_b32_e32 v1, v1
	v_ashrrev_i32_e32 v1, 31, v1
	v_and_b32_e32 v68, v68, v70
	v_xor_b32_e32 v70, vcc_hi, v1
	v_xor_b32_e32 v1, vcc_lo, v1
	v_and_b32_e32 v68, v68, v70
	v_and_b32_e32 v70, v3, v1
	v_lshlrev_b32_e32 v1, 24, v2
	v_cmp_gt_i64_e32 vcc, 0, v[0:1]
	v_not_b32_e32 v1, v1
	v_ashrrev_i32_e32 v1, 31, v1
	v_xor_b32_e32 v2, vcc_hi, v1
	v_xor_b32_e32 v1, vcc_lo, v1
	; wave barrier
	ds_read_b32 v66, v69 offset:32
	v_and_b32_e32 v3, v68, v2
	v_and_b32_e32 v2, v70, v1
	v_mbcnt_lo_u32_b32 v1, v2, 0
	v_mbcnt_hi_u32_b32 v68, v3, v1
	v_cmp_eq_u32_e32 vcc, 0, v68
	v_cmp_ne_u64_e64 s[0:1], 0, v[2:3]
	s_and_b64 s[4:5], s[0:1], vcc
	; wave barrier
	s_and_saveexec_b64 s[0:1], s[4:5]
	s_cbranch_execz .LBB557_152
; %bb.151:
	v_bcnt_u32_b32 v1, v2, 0
	v_bcnt_u32_b32 v1, v3, v1
	s_waitcnt lgkmcnt(0)
	v_add_u32_e32 v1, v66, v1
	ds_write_b32 v69, v1 offset:32
.LBB557_152:
	s_or_b64 exec, exec, s[0:1]
	s_waitcnt vmcnt(0)
	v_lshrrev_b32_e32 v1, s52, v36
	v_and_b32_e32 v2, s16, v1
	v_lshl_add_u32 v1, v2, 3, v2
	v_add_lshl_u32 v72, v16, v1, 2
	v_and_b32_e32 v1, 1, v2
	v_add_co_u32_e32 v3, vcc, -1, v1
	v_addc_co_u32_e64 v70, s[0:1], 0, -1, vcc
	v_cmp_ne_u32_e32 vcc, 0, v1
	v_xor_b32_e32 v1, vcc_hi, v70
	v_and_b32_e32 v70, exec_hi, v1
	v_lshlrev_b32_e32 v1, 30, v2
	v_xor_b32_e32 v3, vcc_lo, v3
	v_cmp_gt_i64_e32 vcc, 0, v[0:1]
	v_not_b32_e32 v1, v1
	v_ashrrev_i32_e32 v1, 31, v1
	v_and_b32_e32 v3, exec_lo, v3
	v_xor_b32_e32 v71, vcc_hi, v1
	v_xor_b32_e32 v1, vcc_lo, v1
	v_and_b32_e32 v3, v3, v1
	v_lshlrev_b32_e32 v1, 29, v2
	v_cmp_gt_i64_e32 vcc, 0, v[0:1]
	v_not_b32_e32 v1, v1
	v_ashrrev_i32_e32 v1, 31, v1
	v_and_b32_e32 v70, v70, v71
	v_xor_b32_e32 v71, vcc_hi, v1
	v_xor_b32_e32 v1, vcc_lo, v1
	v_and_b32_e32 v3, v3, v1
	v_lshlrev_b32_e32 v1, 28, v2
	v_cmp_gt_i64_e32 vcc, 0, v[0:1]
	v_not_b32_e32 v1, v1
	v_ashrrev_i32_e32 v1, 31, v1
	v_and_b32_e32 v70, v70, v71
	;; [unrolled: 8-line block ×5, first 2 shown]
	v_xor_b32_e32 v71, vcc_hi, v1
	v_xor_b32_e32 v1, vcc_lo, v1
	v_and_b32_e32 v3, v3, v1
	v_lshlrev_b32_e32 v1, 24, v2
	v_cmp_gt_i64_e32 vcc, 0, v[0:1]
	v_not_b32_e32 v0, v1
	v_ashrrev_i32_e32 v0, 31, v0
	v_xor_b32_e32 v1, vcc_hi, v0
	v_xor_b32_e32 v0, vcc_lo, v0
	; wave barrier
	ds_read_b32 v16, v72 offset:32
	v_and_b32_e32 v70, v70, v71
	v_and_b32_e32 v0, v3, v0
	;; [unrolled: 1-line block ×3, first 2 shown]
	v_mbcnt_lo_u32_b32 v2, v0, 0
	v_mbcnt_hi_u32_b32 v71, v1, v2
	v_cmp_eq_u32_e32 vcc, 0, v71
	v_cmp_ne_u64_e64 s[0:1], 0, v[0:1]
	v_add_u32_e32 v73, 32, v5
	s_and_b64 s[4:5], s[0:1], vcc
	; wave barrier
	s_and_saveexec_b64 s[0:1], s[4:5]
	s_cbranch_execz .LBB557_154
; %bb.153:
	v_bcnt_u32_b32 v0, v0, 0
	v_bcnt_u32_b32 v0, v1, v0
	s_waitcnt lgkmcnt(0)
	v_add_u32_e32 v0, v16, v0
	ds_write_b32 v72, v0 offset:32
.LBB557_154:
	s_or_b64 exec, exec, s[0:1]
	; wave barrier
	s_waitcnt lgkmcnt(0)
	s_barrier
	ds_read2_b32 v[2:3], v5 offset0:8 offset1:9
	ds_read2_b32 v[0:1], v73 offset0:2 offset1:3
	ds_read_b32 v70, v73 offset:16
	s_waitcnt lgkmcnt(1)
	v_add3_u32 v74, v3, v2, v0
	s_waitcnt lgkmcnt(0)
	v_add3_u32 v70, v74, v1, v70
	v_and_b32_e32 v74, 15, v4
	v_cmp_ne_u32_e32 vcc, 0, v74
	v_mov_b32_dpp v75, v70 row_shr:1 row_mask:0xf bank_mask:0xf
	v_cndmask_b32_e32 v75, 0, v75, vcc
	v_add_u32_e32 v70, v75, v70
	v_cmp_lt_u32_e32 vcc, 1, v74
	s_nop 0
	v_mov_b32_dpp v75, v70 row_shr:2 row_mask:0xf bank_mask:0xf
	v_cndmask_b32_e32 v75, 0, v75, vcc
	v_add_u32_e32 v70, v70, v75
	v_cmp_lt_u32_e32 vcc, 3, v74
	s_nop 0
	;; [unrolled: 5-line block ×3, first 2 shown]
	v_mov_b32_dpp v75, v70 row_shr:8 row_mask:0xf bank_mask:0xf
	v_cndmask_b32_e32 v74, 0, v75, vcc
	v_add_u32_e32 v70, v70, v74
	v_bfe_i32 v75, v4, 4, 1
	v_cmp_lt_u32_e32 vcc, 31, v4
	v_mov_b32_dpp v74, v70 row_bcast:15 row_mask:0xf bank_mask:0xf
	v_and_b32_e32 v74, v75, v74
	v_add_u32_e32 v70, v70, v74
	v_lshrrev_b32_e32 v75, 6, v18
	s_nop 0
	v_mov_b32_dpp v74, v70 row_bcast:31 row_mask:0xf bank_mask:0xf
	v_cndmask_b32_e32 v74, 0, v74, vcc
	v_add_u32_e32 v74, v70, v74
	v_and_b32_e32 v70, 0x3c0, v18
	v_min_u32_e32 v70, 0x1c0, v70
	v_or_b32_e32 v70, 63, v70
	v_cmp_eq_u32_e32 vcc, v70, v18
	s_and_saveexec_b64 s[0:1], vcc
	s_cbranch_execz .LBB557_156
; %bb.155:
	v_lshlrev_b32_e32 v70, 2, v75
	ds_write_b32 v70, v74
.LBB557_156:
	s_or_b64 exec, exec, s[0:1]
	v_cmp_gt_u32_e32 vcc, 8, v18
	v_lshlrev_b32_e32 v70, 2, v18
	s_waitcnt lgkmcnt(0)
	s_barrier
	s_and_saveexec_b64 s[0:1], vcc
	s_cbranch_execz .LBB557_158
; %bb.157:
	ds_read_b32 v76, v70
	v_and_b32_e32 v77, 7, v4
	v_cmp_ne_u32_e32 vcc, 0, v77
	s_waitcnt lgkmcnt(0)
	v_mov_b32_dpp v78, v76 row_shr:1 row_mask:0xf bank_mask:0xf
	v_cndmask_b32_e32 v78, 0, v78, vcc
	v_add_u32_e32 v76, v78, v76
	v_cmp_lt_u32_e32 vcc, 1, v77
	s_nop 0
	v_mov_b32_dpp v78, v76 row_shr:2 row_mask:0xf bank_mask:0xf
	v_cndmask_b32_e32 v78, 0, v78, vcc
	v_add_u32_e32 v76, v76, v78
	v_cmp_lt_u32_e32 vcc, 3, v77
	s_nop 0
	v_mov_b32_dpp v78, v76 row_shr:4 row_mask:0xf bank_mask:0xf
	v_cndmask_b32_e32 v77, 0, v78, vcc
	v_add_u32_e32 v76, v76, v77
	ds_write_b32 v70, v76
.LBB557_158:
	s_or_b64 exec, exec, s[0:1]
	v_cmp_lt_u32_e32 vcc, 63, v18
	v_mov_b32_e32 v76, 0
	s_waitcnt lgkmcnt(0)
	s_barrier
	s_and_saveexec_b64 s[0:1], vcc
	s_cbranch_execz .LBB557_160
; %bb.159:
	v_lshl_add_u32 v75, v75, 2, -4
	ds_read_b32 v76, v75
.LBB557_160:
	s_or_b64 exec, exec, s[0:1]
	v_add_u32_e32 v75, -1, v4
	v_and_b32_e32 v77, 64, v4
	v_cmp_lt_i32_e32 vcc, v75, v77
	v_cndmask_b32_e32 v75, v75, v4, vcc
	s_waitcnt lgkmcnt(0)
	v_add_u32_e32 v74, v76, v74
	v_lshlrev_b32_e32 v75, 2, v75
	ds_bpermute_b32 v74, v75, v74
	v_cmp_eq_u32_e32 vcc, 0, v4
	s_movk_i32 s0, 0x100
	s_waitcnt lgkmcnt(0)
	v_cndmask_b32_e32 v4, v74, v76, vcc
	v_cmp_ne_u32_e32 vcc, 0, v18
	v_cndmask_b32_e32 v4, 0, v4, vcc
	v_add_u32_e32 v2, v4, v2
	v_add_u32_e32 v3, v2, v3
	;; [unrolled: 1-line block ×4, first 2 shown]
	ds_write2_b32 v5, v4, v2 offset0:8 offset1:9
	ds_write2_b32 v73, v3, v0 offset0:2 offset1:3
	ds_write_b32 v73, v1 offset:16
	s_waitcnt lgkmcnt(0)
	s_barrier
	ds_read_b32 v74, v9 offset:32
	ds_read_b32 v9, v11 offset:32
	;; [unrolled: 1-line block ×16, first 2 shown]
	v_cmp_gt_u32_e32 vcc, s0, v18
                                        ; implicit-def: $vgpr52
                                        ; implicit-def: $vgpr55
	s_and_saveexec_b64 s[4:5], vcc
	s_cbranch_execz .LBB557_164
; %bb.161:
	v_mul_u32_u24_e32 v0, 9, v18
	v_lshlrev_b32_e32 v1, 2, v0
	ds_read_b32 v52, v1 offset:32
	s_movk_i32 s0, 0xff
	v_cmp_ne_u32_e64 s[0:1], s0, v18
	v_mov_b32_e32 v0, 0x2000
	s_and_saveexec_b64 s[10:11], s[0:1]
	s_cbranch_execz .LBB557_163
; %bb.162:
	ds_read_b32 v0, v1 offset:68
.LBB557_163:
	s_or_b64 exec, exec, s[10:11]
	s_waitcnt lgkmcnt(0)
	v_sub_u32_e32 v55, v0, v52
.LBB557_164:
	s_or_b64 exec, exec, s[4:5]
	s_waitcnt lgkmcnt(0)
	s_barrier
	s_and_saveexec_b64 s[4:5], vcc
	s_cbranch_execz .LBB557_174
; %bb.165:
	v_lshl_or_b32 v0, s6, 8, v18
	v_mov_b32_e32 v1, 0
	v_lshlrev_b64 v[2:3], 2, v[0:1]
	v_mov_b32_e32 v37, s57
	v_add_co_u32_e64 v2, s[0:1], s56, v2
	v_addc_co_u32_e64 v3, s[0:1], v37, v3, s[0:1]
	v_or_b32_e32 v0, 2.0, v55
	s_mov_b64 s[10:11], 0
	s_brev_b32 s17, 1
	s_mov_b32 s18, s6
	v_mov_b32_e32 v58, 0
	global_store_dword v[2:3], v0, off
                                        ; implicit-def: $sgpr0_sgpr1
	s_branch .LBB557_168
.LBB557_166:                            ;   in Loop: Header=BB557_168 Depth=1
	s_or_b64 exec, exec, s[14:15]
.LBB557_167:                            ;   in Loop: Header=BB557_168 Depth=1
	s_or_b64 exec, exec, s[12:13]
	v_and_b32_e32 v4, 0x3fffffff, v69
	v_add_u32_e32 v58, v4, v58
	v_cmp_eq_u32_e64 s[0:1], s17, v0
	s_and_b64 s[12:13], exec, s[0:1]
	s_or_b64 s[10:11], s[12:13], s[10:11]
	s_andn2_b64 exec, exec, s[10:11]
	s_cbranch_execz .LBB557_173
.LBB557_168:                            ; =>This Loop Header: Depth=1
                                        ;     Child Loop BB557_171 Depth 2
	s_or_b64 s[0:1], s[0:1], exec
	s_cmp_eq_u32 s18, 0
	s_cbranch_scc1 .LBB557_172
; %bb.169:                              ;   in Loop: Header=BB557_168 Depth=1
	s_add_i32 s18, s18, -1
	v_lshl_or_b32 v0, s18, 8, v18
	v_lshlrev_b64 v[4:5], 2, v[0:1]
	v_add_co_u32_e64 v4, s[0:1], s56, v4
	v_addc_co_u32_e64 v5, s[0:1], v37, v5, s[0:1]
	global_load_dword v69, v[4:5], off glc
	s_waitcnt vmcnt(0)
	v_and_b32_e32 v0, -2.0, v69
	v_cmp_eq_u32_e64 s[0:1], 0, v0
	s_and_saveexec_b64 s[12:13], s[0:1]
	s_cbranch_execz .LBB557_167
; %bb.170:                              ;   in Loop: Header=BB557_168 Depth=1
	s_mov_b64 s[14:15], 0
.LBB557_171:                            ;   Parent Loop BB557_168 Depth=1
                                        ; =>  This Inner Loop Header: Depth=2
	global_load_dword v69, v[4:5], off glc
	s_waitcnt vmcnt(0)
	v_and_b32_e32 v0, -2.0, v69
	v_cmp_ne_u32_e64 s[0:1], 0, v0
	s_or_b64 s[14:15], s[0:1], s[14:15]
	s_andn2_b64 exec, exec, s[14:15]
	s_cbranch_execnz .LBB557_171
	s_branch .LBB557_166
.LBB557_172:                            ;   in Loop: Header=BB557_168 Depth=1
                                        ; implicit-def: $sgpr18
	s_and_b64 s[12:13], exec, s[0:1]
	s_or_b64 s[10:11], s[12:13], s[10:11]
	s_andn2_b64 exec, exec, s[10:11]
	s_cbranch_execnz .LBB557_168
.LBB557_173:
	s_or_b64 exec, exec, s[10:11]
	v_add_u32_e32 v0, v58, v55
	v_or_b32_e32 v0, 0x80000000, v0
	global_store_dword v[2:3], v0, off
	global_load_dword v0, v70, s[48:49]
	v_sub_u32_e32 v1, v58, v52
	s_waitcnt vmcnt(0)
	v_add_u32_e32 v0, v1, v0
	ds_write_b32 v70, v0
.LBB557_174:
	s_or_b64 exec, exec, s[4:5]
	v_add_u32_e32 v58, v74, v6
	s_movk_i32 s4, 0x400
	v_add_u32_e32 v37, 0x400, v70
	v_add3_u32 v61, v71, v61, v16
	v_add3_u32 v63, v68, v63, v66
	;; [unrolled: 1-line block ×15, first 2 shown]
	s_mov_b32 s5, 0
	s_mov_b32 s10, 3
	s_movk_i32 s11, 0x200
	s_movk_i32 s12, 0x600
	v_mov_b32_e32 v17, 0
	v_mov_b32_e32 v38, s43
	s_mov_b32 s13, 0
                                        ; implicit-def: $vgpr0
.LBB557_175:                            ; =>This Inner Loop Header: Depth=1
	v_add_u32_e32 v16, s5, v58
	v_add_u32_e32 v39, s5, v69
	;; [unrolled: 1-line block ×16, first 2 shown]
	v_min_u32_e32 v16, 0x800, v16
	v_min_u32_e32 v39, 0x800, v39
	;; [unrolled: 1-line block ×16, first 2 shown]
	v_lshlrev_b32_e32 v16, 2, v16
	v_lshlrev_b32_e32 v39, 2, v39
	;; [unrolled: 1-line block ×16, first 2 shown]
	ds_write_b32 v16, v21 offset:1024
	ds_write_b32 v39, v22 offset:1024
	;; [unrolled: 1-line block ×16, first 2 shown]
	s_waitcnt lgkmcnt(0)
	s_barrier
	ds_read_b32 v39, v70 offset:1024
	v_add_u32_e32 v73, s13, v18
	s_add_i32 s14, s10, -3
	s_add_i32 s15, s10, -2
	s_add_i32 s17, s10, -1
	s_waitcnt lgkmcnt(0)
	v_lshrrev_b32_e32 v16, s52, v39
	v_and_b32_e32 v42, s16, v16
	v_lshlrev_b32_e32 v16, 2, v42
	ds_read_b32 v16, v16
	s_addk_i32 s13, 0x800
	s_addk_i32 s5, 0xf800
	s_waitcnt lgkmcnt(0)
	v_add_u32_e32 v16, v73, v16
	v_lshlrev_b64 v[40:41], 2, v[16:17]
	v_add_co_u32_e64 v40, s[0:1], s42, v40
	v_addc_co_u32_e64 v41, s[0:1], v38, v41, s[0:1]
	global_store_dword v[40:41], v39, off
	s_set_gpr_idx_on s14, gpr_idx(DST)
	v_mov_b32_e32 v0, v42
	s_set_gpr_idx_off
	ds_read_b32 v39, v37 offset:2048
	s_waitcnt lgkmcnt(0)
	v_lshrrev_b32_e32 v16, s52, v39
	v_and_b32_e32 v42, s16, v16
	v_lshlrev_b32_e32 v16, 2, v42
	ds_read_b32 v16, v16
	s_waitcnt lgkmcnt(0)
	v_add3_u32 v16, v73, v16, s11
	v_lshlrev_b64 v[40:41], 2, v[16:17]
	v_add_co_u32_e64 v40, s[0:1], s42, v40
	v_addc_co_u32_e64 v41, s[0:1], v38, v41, s[0:1]
	global_store_dword v[40:41], v39, off
	s_set_gpr_idx_on s15, gpr_idx(DST)
	v_mov_b32_e32 v0, v42
	s_set_gpr_idx_off
	ds_read_b32 v39, v37 offset:4096
	s_waitcnt lgkmcnt(0)
	v_lshrrev_b32_e32 v16, s52, v39
	v_and_b32_e32 v42, s16, v16
	v_lshlrev_b32_e32 v16, 2, v42
	ds_read_b32 v16, v16
	s_waitcnt lgkmcnt(0)
	v_add3_u32 v16, v73, v16, s4
	;; [unrolled: 15-line block ×3, first 2 shown]
	v_lshlrev_b64 v[40:41], 2, v[16:17]
	v_add_co_u32_e64 v40, s[0:1], s42, v40
	v_addc_co_u32_e64 v41, s[0:1], v38, v41, s[0:1]
	global_store_dword v[40:41], v39, off
	s_set_gpr_idx_on s10, gpr_idx(DST)
	v_mov_b32_e32 v0, v42
	s_set_gpr_idx_off
	s_add_i32 s10, s10, 4
	s_cmpk_lg_i32 s5, 0xe000
	s_barrier
	s_cbranch_scc1 .LBB557_175
; %bb.176:
	s_lshl_b64 s[0:1], s[8:9], 3
	s_add_u32 s0, s44, s0
	s_addc_u32 s1, s45, s1
	v_lshlrev_b32_e32 v16, 3, v20
	v_mov_b32_e32 v17, s1
	v_add_co_u32_e64 v16, s[0:1], s0, v16
	v_addc_co_u32_e64 v17, s[0:1], 0, v17, s[0:1]
	v_lshlrev_b32_e32 v19, 3, v19
	v_add_co_u32_e64 v34, s[0:1], v16, v19
	v_addc_co_u32_e64 v35, s[0:1], 0, v17, s[0:1]
	s_movk_i32 s0, 0x1000
	v_add_co_u32_e64 v50, s[0:1], s0, v34
	v_addc_co_u32_e64 v51, s[0:1], 0, v35, s[0:1]
	global_load_dwordx2 v[16:17], v[34:35], off
	global_load_dwordx2 v[20:21], v[34:35], off offset:512
	global_load_dwordx2 v[22:23], v[34:35], off offset:1024
	;; [unrolled: 1-line block ×7, first 2 shown]
	s_nop 0
	global_load_dwordx2 v[34:35], v[50:51], off
	global_load_dwordx2 v[36:37], v[50:51], off offset:512
	global_load_dwordx2 v[38:39], v[50:51], off offset:1024
	;; [unrolled: 1-line block ×7, first 2 shown]
	v_lshlrev_b32_e32 v19, 3, v18
	s_mov_b32 s4, 0
	v_add_u32_e32 v70, 0x400, v19
	s_mov_b32 s5, 1
	s_movk_i32 s8, 0x200
	v_mov_b32_e32 v51, 0
	v_mov_b32_e32 v71, v18
	s_waitcnt vmcnt(0)
.LBB557_177:                            ; =>This Inner Loop Header: Depth=1
	v_add_u32_e32 v50, s4, v58
	v_add_u32_e32 v72, s4, v69
	;; [unrolled: 1-line block ×16, first 2 shown]
	v_min_u32_e32 v50, 0x400, v50
	v_min_u32_e32 v72, 0x400, v72
	v_min_u32_e32 v73, 0x400, v73
	s_add_i32 s0, s5, -1
	v_min_u32_e32 v74, 0x400, v74
	v_min_u32_e32 v75, 0x400, v75
	v_min_u32_e32 v76, 0x400, v76
	v_min_u32_e32 v77, 0x400, v77
	v_min_u32_e32 v78, 0x400, v78
	v_min_u32_e32 v79, 0x400, v79
	v_min_u32_e32 v80, 0x400, v80
	v_min_u32_e32 v81, 0x400, v81
	v_min_u32_e32 v82, 0x400, v82
	v_min_u32_e32 v83, 0x400, v83
	v_min_u32_e32 v84, 0x400, v84
	v_min_u32_e32 v85, 0x400, v85
	v_min_u32_e32 v86, 0x400, v86
	v_lshlrev_b32_e32 v50, 3, v50
	v_lshlrev_b32_e32 v72, 3, v72
	;; [unrolled: 1-line block ×16, first 2 shown]
	ds_write_b64 v50, v[16:17] offset:1024
	ds_write_b64 v72, v[20:21] offset:1024
	;; [unrolled: 1-line block ×16, first 2 shown]
	s_waitcnt lgkmcnt(0)
	s_barrier
	ds_read_b64 v[72:73], v19 offset:1024
	s_set_gpr_idx_on s0, gpr_idx(SRC0)
	v_mov_b32_e32 v50, v0
	s_set_gpr_idx_off
	v_lshlrev_b32_e32 v50, 2, v50
	ds_read_b32 v50, v50
	ds_read_b64 v[74:75], v70 offset:4096
	v_mov_b32_e32 v87, s47
	s_addk_i32 s4, 0xfc00
	s_waitcnt lgkmcnt(1)
	v_add_u32_e32 v50, v71, v50
	v_lshlrev_b64 v[76:77], 3, v[50:51]
	v_add_co_u32_e64 v76, s[0:1], s46, v76
	v_addc_co_u32_e64 v77, s[0:1], v87, v77, s[0:1]
	global_store_dwordx2 v[76:77], v[72:73], off
	s_set_gpr_idx_on s5, gpr_idx(SRC0)
	v_mov_b32_e32 v50, v0
	s_set_gpr_idx_off
	v_lshlrev_b32_e32 v50, 2, v50
	ds_read_b32 v50, v50
	s_add_i32 s5, s5, 2
	s_cmpk_lg_i32 s4, 0xe000
	s_waitcnt lgkmcnt(0)
	v_add3_u32 v50, v71, v50, s8
	v_lshlrev_b64 v[72:73], 3, v[50:51]
	v_add_co_u32_e64 v72, s[0:1], s46, v72
	v_add_u32_e32 v71, 0x400, v71
	v_addc_co_u32_e64 v73, s[0:1], v87, v73, s[0:1]
	global_store_dwordx2 v[72:73], v[74:75], off
	s_barrier
	s_cbranch_scc1 .LBB557_177
; %bb.178:
	s_add_i32 s7, s7, -1
	s_cmp_eq_u32 s7, s6
	s_cselect_b64 s[0:1], -1, 0
	s_and_b64 s[4:5], vcc, s[0:1]
                                        ; implicit-def: $vgpr2
	s_and_saveexec_b64 s[0:1], s[4:5]
; %bb.179:
	v_add_u32_e32 v2, v52, v55
	s_or_b64 s[2:3], s[2:3], exec
; %bb.180:
	s_or_b64 exec, exec, s[0:1]
.LBB557_181:
	s_and_saveexec_b64 s[0:1], s[2:3]
	s_cbranch_execnz .LBB557_183
; %bb.182:
	s_endpgm
.LBB557_183:
	v_lshlrev_b32_e32 v3, 2, v18
	ds_read_b32 v3, v3
	v_mov_b32_e32 v19, 0
	v_lshlrev_b64 v[0:1], 2, v[18:19]
	v_mov_b32_e32 v4, s51
	v_add_co_u32_e32 v0, vcc, s50, v0
	v_addc_co_u32_e32 v1, vcc, v4, v1, vcc
	s_waitcnt lgkmcnt(0)
	v_add_u32_e32 v2, v3, v2
	global_store_dword v[0:1], v2, off
	s_endpgm
.LBB557_184:
	global_load_dwordx2 v[20:21], v[42:43], off
	s_or_b64 exec, exec, s[38:39]
                                        ; implicit-def: $vgpr22_vgpr23
	s_and_saveexec_b64 s[38:39], s[8:9]
	s_cbranch_execz .LBB557_98
.LBB557_185:
	global_load_dwordx2 v[22:23], v[42:43], off offset:512
	s_or_b64 exec, exec, s[38:39]
                                        ; implicit-def: $vgpr24_vgpr25
	s_and_saveexec_b64 s[8:9], s[10:11]
	s_cbranch_execz .LBB557_99
.LBB557_186:
	global_load_dwordx2 v[24:25], v[42:43], off offset:1024
	s_or_b64 exec, exec, s[8:9]
                                        ; implicit-def: $vgpr26_vgpr27
	s_and_saveexec_b64 s[8:9], s[14:15]
	s_cbranch_execz .LBB557_100
.LBB557_187:
	global_load_dwordx2 v[26:27], v[42:43], off offset:1536
	s_or_b64 exec, exec, s[8:9]
                                        ; implicit-def: $vgpr28_vgpr29
	s_and_saveexec_b64 s[8:9], s[18:19]
	s_cbranch_execz .LBB557_101
.LBB557_188:
	global_load_dwordx2 v[28:29], v[42:43], off offset:2048
	s_or_b64 exec, exec, s[8:9]
                                        ; implicit-def: $vgpr30_vgpr31
	s_and_saveexec_b64 s[8:9], s[20:21]
	s_cbranch_execz .LBB557_102
.LBB557_189:
	global_load_dwordx2 v[30:31], v[42:43], off offset:2560
	s_or_b64 exec, exec, s[8:9]
                                        ; implicit-def: $vgpr32_vgpr33
	s_and_saveexec_b64 s[8:9], s[24:25]
	s_cbranch_execz .LBB557_103
.LBB557_190:
	global_load_dwordx2 v[32:33], v[42:43], off offset:3072
	s_or_b64 exec, exec, s[8:9]
                                        ; implicit-def: $vgpr34_vgpr35
	s_and_saveexec_b64 s[8:9], s[28:29]
	s_cbranch_execz .LBB557_104
.LBB557_191:
	global_load_dwordx2 v[34:35], v[42:43], off offset:3584
	s_or_b64 exec, exec, s[8:9]
                                        ; implicit-def: $vgpr36_vgpr37
	s_and_saveexec_b64 s[8:9], s[30:31]
	s_cbranch_execz .LBB557_105
.LBB557_192:
	v_add_co_u32_e32 v36, vcc, 0x1000, v42
	v_addc_co_u32_e32 v37, vcc, 0, v43, vcc
	global_load_dwordx2 v[36:37], v[36:37], off
	s_or_b64 exec, exec, s[8:9]
                                        ; implicit-def: $vgpr38_vgpr39
	s_and_saveexec_b64 s[8:9], s[26:27]
	s_cbranch_execz .LBB557_106
.LBB557_193:
	v_add_co_u32_e32 v38, vcc, 0x1000, v42
	v_addc_co_u32_e32 v39, vcc, 0, v43, vcc
	global_load_dwordx2 v[38:39], v[38:39], off offset:512
	s_or_b64 exec, exec, s[8:9]
                                        ; implicit-def: $vgpr40_vgpr41
	s_and_saveexec_b64 s[8:9], s[22:23]
	s_cbranch_execz .LBB557_107
.LBB557_194:
	v_add_co_u32_e32 v40, vcc, 0x1000, v42
	v_addc_co_u32_e32 v41, vcc, 0, v43, vcc
	global_load_dwordx2 v[40:41], v[40:41], off offset:1024
	s_or_b64 exec, exec, s[8:9]
                                        ; implicit-def: $vgpr44_vgpr45
	s_and_saveexec_b64 s[8:9], s[16:17]
	s_cbranch_execz .LBB557_108
.LBB557_195:
	v_add_co_u32_e32 v44, vcc, 0x1000, v42
	v_addc_co_u32_e32 v45, vcc, 0, v43, vcc
	global_load_dwordx2 v[44:45], v[44:45], off offset:1536
	s_or_b64 exec, exec, s[8:9]
                                        ; implicit-def: $vgpr46_vgpr47
	s_and_saveexec_b64 s[8:9], s[12:13]
	s_cbranch_execz .LBB557_109
.LBB557_196:
	v_add_co_u32_e32 v46, vcc, 0x1000, v42
	v_addc_co_u32_e32 v47, vcc, 0, v43, vcc
	global_load_dwordx2 v[46:47], v[46:47], off offset:2048
	s_or_b64 exec, exec, s[8:9]
                                        ; implicit-def: $vgpr48_vgpr49
	s_and_saveexec_b64 s[8:9], s[36:37]
	s_cbranch_execz .LBB557_110
.LBB557_197:
	v_add_co_u32_e32 v48, vcc, 0x1000, v42
	v_addc_co_u32_e32 v49, vcc, 0, v43, vcc
	global_load_dwordx2 v[48:49], v[48:49], off offset:2560
	s_or_b64 exec, exec, s[8:9]
                                        ; implicit-def: $vgpr50_vgpr51
	s_and_saveexec_b64 s[8:9], s[2:3]
	s_cbranch_execz .LBB557_111
.LBB557_198:
	v_add_co_u32_e32 v50, vcc, 0x1000, v42
	v_addc_co_u32_e32 v51, vcc, 0, v43, vcc
	global_load_dwordx2 v[50:51], v[50:51], off offset:3072
	s_or_b64 exec, exec, s[8:9]
                                        ; implicit-def: $vgpr52_vgpr53
	s_and_saveexec_b64 s[2:3], s[0:1]
	s_cbranch_execnz .LBB557_112
	s_branch .LBB557_113
	.section	.rodata,"a",@progbits
	.p2align	6, 0x0
	.amdhsa_kernel _ZN7rocprim17ROCPRIM_400000_NS6detail17trampoline_kernelINS0_14default_configENS1_35radix_sort_onesweep_config_selectorIjyEEZZNS1_29radix_sort_onesweep_iterationIS3_Lb0EPjS7_PyS8_jNS0_19identity_decomposerENS1_16block_id_wrapperIjLb0EEEEE10hipError_tT1_PNSt15iterator_traitsISD_E10value_typeET2_T3_PNSE_ISJ_E10value_typeET4_T5_PSO_SP_PNS1_23onesweep_lookback_stateEbbT6_jjT7_P12ihipStream_tbENKUlT_T0_SD_SI_E_clIS7_S7_S8_S8_EEDaSW_SX_SD_SI_EUlSW_E_NS1_11comp_targetILNS1_3genE4ELNS1_11target_archE910ELNS1_3gpuE8ELNS1_3repE0EEENS1_47radix_sort_onesweep_sort_config_static_selectorELNS0_4arch9wavefront6targetE1EEEvSD_
		.amdhsa_group_segment_fixed_size 10280
		.amdhsa_private_segment_fixed_size 0
		.amdhsa_kernarg_size 344
		.amdhsa_user_sgpr_count 6
		.amdhsa_user_sgpr_private_segment_buffer 1
		.amdhsa_user_sgpr_dispatch_ptr 0
		.amdhsa_user_sgpr_queue_ptr 0
		.amdhsa_user_sgpr_kernarg_segment_ptr 1
		.amdhsa_user_sgpr_dispatch_id 0
		.amdhsa_user_sgpr_flat_scratch_init 0
		.amdhsa_user_sgpr_kernarg_preload_length 0
		.amdhsa_user_sgpr_kernarg_preload_offset 0
		.amdhsa_user_sgpr_private_segment_size 0
		.amdhsa_uses_dynamic_stack 0
		.amdhsa_system_sgpr_private_segment_wavefront_offset 0
		.amdhsa_system_sgpr_workgroup_id_x 1
		.amdhsa_system_sgpr_workgroup_id_y 0
		.amdhsa_system_sgpr_workgroup_id_z 0
		.amdhsa_system_sgpr_workgroup_info 0
		.amdhsa_system_vgpr_workitem_id 2
		.amdhsa_next_free_vgpr 88
		.amdhsa_next_free_sgpr 69
		.amdhsa_accum_offset 88
		.amdhsa_reserve_vcc 1
		.amdhsa_reserve_flat_scratch 0
		.amdhsa_float_round_mode_32 0
		.amdhsa_float_round_mode_16_64 0
		.amdhsa_float_denorm_mode_32 3
		.amdhsa_float_denorm_mode_16_64 3
		.amdhsa_dx10_clamp 1
		.amdhsa_ieee_mode 1
		.amdhsa_fp16_overflow 0
		.amdhsa_tg_split 0
		.amdhsa_exception_fp_ieee_invalid_op 0
		.amdhsa_exception_fp_denorm_src 0
		.amdhsa_exception_fp_ieee_div_zero 0
		.amdhsa_exception_fp_ieee_overflow 0
		.amdhsa_exception_fp_ieee_underflow 0
		.amdhsa_exception_fp_ieee_inexact 0
		.amdhsa_exception_int_div_zero 0
	.end_amdhsa_kernel
	.section	.text._ZN7rocprim17ROCPRIM_400000_NS6detail17trampoline_kernelINS0_14default_configENS1_35radix_sort_onesweep_config_selectorIjyEEZZNS1_29radix_sort_onesweep_iterationIS3_Lb0EPjS7_PyS8_jNS0_19identity_decomposerENS1_16block_id_wrapperIjLb0EEEEE10hipError_tT1_PNSt15iterator_traitsISD_E10value_typeET2_T3_PNSE_ISJ_E10value_typeET4_T5_PSO_SP_PNS1_23onesweep_lookback_stateEbbT6_jjT7_P12ihipStream_tbENKUlT_T0_SD_SI_E_clIS7_S7_S8_S8_EEDaSW_SX_SD_SI_EUlSW_E_NS1_11comp_targetILNS1_3genE4ELNS1_11target_archE910ELNS1_3gpuE8ELNS1_3repE0EEENS1_47radix_sort_onesweep_sort_config_static_selectorELNS0_4arch9wavefront6targetE1EEEvSD_,"axG",@progbits,_ZN7rocprim17ROCPRIM_400000_NS6detail17trampoline_kernelINS0_14default_configENS1_35radix_sort_onesweep_config_selectorIjyEEZZNS1_29radix_sort_onesweep_iterationIS3_Lb0EPjS7_PyS8_jNS0_19identity_decomposerENS1_16block_id_wrapperIjLb0EEEEE10hipError_tT1_PNSt15iterator_traitsISD_E10value_typeET2_T3_PNSE_ISJ_E10value_typeET4_T5_PSO_SP_PNS1_23onesweep_lookback_stateEbbT6_jjT7_P12ihipStream_tbENKUlT_T0_SD_SI_E_clIS7_S7_S8_S8_EEDaSW_SX_SD_SI_EUlSW_E_NS1_11comp_targetILNS1_3genE4ELNS1_11target_archE910ELNS1_3gpuE8ELNS1_3repE0EEENS1_47radix_sort_onesweep_sort_config_static_selectorELNS0_4arch9wavefront6targetE1EEEvSD_,comdat
.Lfunc_end557:
	.size	_ZN7rocprim17ROCPRIM_400000_NS6detail17trampoline_kernelINS0_14default_configENS1_35radix_sort_onesweep_config_selectorIjyEEZZNS1_29radix_sort_onesweep_iterationIS3_Lb0EPjS7_PyS8_jNS0_19identity_decomposerENS1_16block_id_wrapperIjLb0EEEEE10hipError_tT1_PNSt15iterator_traitsISD_E10value_typeET2_T3_PNSE_ISJ_E10value_typeET4_T5_PSO_SP_PNS1_23onesweep_lookback_stateEbbT6_jjT7_P12ihipStream_tbENKUlT_T0_SD_SI_E_clIS7_S7_S8_S8_EEDaSW_SX_SD_SI_EUlSW_E_NS1_11comp_targetILNS1_3genE4ELNS1_11target_archE910ELNS1_3gpuE8ELNS1_3repE0EEENS1_47radix_sort_onesweep_sort_config_static_selectorELNS0_4arch9wavefront6targetE1EEEvSD_, .Lfunc_end557-_ZN7rocprim17ROCPRIM_400000_NS6detail17trampoline_kernelINS0_14default_configENS1_35radix_sort_onesweep_config_selectorIjyEEZZNS1_29radix_sort_onesweep_iterationIS3_Lb0EPjS7_PyS8_jNS0_19identity_decomposerENS1_16block_id_wrapperIjLb0EEEEE10hipError_tT1_PNSt15iterator_traitsISD_E10value_typeET2_T3_PNSE_ISJ_E10value_typeET4_T5_PSO_SP_PNS1_23onesweep_lookback_stateEbbT6_jjT7_P12ihipStream_tbENKUlT_T0_SD_SI_E_clIS7_S7_S8_S8_EEDaSW_SX_SD_SI_EUlSW_E_NS1_11comp_targetILNS1_3genE4ELNS1_11target_archE910ELNS1_3gpuE8ELNS1_3repE0EEENS1_47radix_sort_onesweep_sort_config_static_selectorELNS0_4arch9wavefront6targetE1EEEvSD_
                                        ; -- End function
	.section	.AMDGPU.csdata,"",@progbits
; Kernel info:
; codeLenInByte = 20344
; NumSgprs: 73
; NumVgprs: 88
; NumAgprs: 0
; TotalNumVgprs: 88
; ScratchSize: 0
; MemoryBound: 0
; FloatMode: 240
; IeeeMode: 1
; LDSByteSize: 10280 bytes/workgroup (compile time only)
; SGPRBlocks: 9
; VGPRBlocks: 10
; NumSGPRsForWavesPerEU: 73
; NumVGPRsForWavesPerEU: 88
; AccumOffset: 88
; Occupancy: 5
; WaveLimiterHint : 1
; COMPUTE_PGM_RSRC2:SCRATCH_EN: 0
; COMPUTE_PGM_RSRC2:USER_SGPR: 6
; COMPUTE_PGM_RSRC2:TRAP_HANDLER: 0
; COMPUTE_PGM_RSRC2:TGID_X_EN: 1
; COMPUTE_PGM_RSRC2:TGID_Y_EN: 0
; COMPUTE_PGM_RSRC2:TGID_Z_EN: 0
; COMPUTE_PGM_RSRC2:TIDIG_COMP_CNT: 2
; COMPUTE_PGM_RSRC3_GFX90A:ACCUM_OFFSET: 21
; COMPUTE_PGM_RSRC3_GFX90A:TG_SPLIT: 0
	.section	.text._ZN7rocprim17ROCPRIM_400000_NS6detail17trampoline_kernelINS0_14default_configENS1_35radix_sort_onesweep_config_selectorIjyEEZZNS1_29radix_sort_onesweep_iterationIS3_Lb0EPjS7_PyS8_jNS0_19identity_decomposerENS1_16block_id_wrapperIjLb0EEEEE10hipError_tT1_PNSt15iterator_traitsISD_E10value_typeET2_T3_PNSE_ISJ_E10value_typeET4_T5_PSO_SP_PNS1_23onesweep_lookback_stateEbbT6_jjT7_P12ihipStream_tbENKUlT_T0_SD_SI_E_clIS7_S7_S8_S8_EEDaSW_SX_SD_SI_EUlSW_E_NS1_11comp_targetILNS1_3genE3ELNS1_11target_archE908ELNS1_3gpuE7ELNS1_3repE0EEENS1_47radix_sort_onesweep_sort_config_static_selectorELNS0_4arch9wavefront6targetE1EEEvSD_,"axG",@progbits,_ZN7rocprim17ROCPRIM_400000_NS6detail17trampoline_kernelINS0_14default_configENS1_35radix_sort_onesweep_config_selectorIjyEEZZNS1_29radix_sort_onesweep_iterationIS3_Lb0EPjS7_PyS8_jNS0_19identity_decomposerENS1_16block_id_wrapperIjLb0EEEEE10hipError_tT1_PNSt15iterator_traitsISD_E10value_typeET2_T3_PNSE_ISJ_E10value_typeET4_T5_PSO_SP_PNS1_23onesweep_lookback_stateEbbT6_jjT7_P12ihipStream_tbENKUlT_T0_SD_SI_E_clIS7_S7_S8_S8_EEDaSW_SX_SD_SI_EUlSW_E_NS1_11comp_targetILNS1_3genE3ELNS1_11target_archE908ELNS1_3gpuE7ELNS1_3repE0EEENS1_47radix_sort_onesweep_sort_config_static_selectorELNS0_4arch9wavefront6targetE1EEEvSD_,comdat
	.protected	_ZN7rocprim17ROCPRIM_400000_NS6detail17trampoline_kernelINS0_14default_configENS1_35radix_sort_onesweep_config_selectorIjyEEZZNS1_29radix_sort_onesweep_iterationIS3_Lb0EPjS7_PyS8_jNS0_19identity_decomposerENS1_16block_id_wrapperIjLb0EEEEE10hipError_tT1_PNSt15iterator_traitsISD_E10value_typeET2_T3_PNSE_ISJ_E10value_typeET4_T5_PSO_SP_PNS1_23onesweep_lookback_stateEbbT6_jjT7_P12ihipStream_tbENKUlT_T0_SD_SI_E_clIS7_S7_S8_S8_EEDaSW_SX_SD_SI_EUlSW_E_NS1_11comp_targetILNS1_3genE3ELNS1_11target_archE908ELNS1_3gpuE7ELNS1_3repE0EEENS1_47radix_sort_onesweep_sort_config_static_selectorELNS0_4arch9wavefront6targetE1EEEvSD_ ; -- Begin function _ZN7rocprim17ROCPRIM_400000_NS6detail17trampoline_kernelINS0_14default_configENS1_35radix_sort_onesweep_config_selectorIjyEEZZNS1_29radix_sort_onesweep_iterationIS3_Lb0EPjS7_PyS8_jNS0_19identity_decomposerENS1_16block_id_wrapperIjLb0EEEEE10hipError_tT1_PNSt15iterator_traitsISD_E10value_typeET2_T3_PNSE_ISJ_E10value_typeET4_T5_PSO_SP_PNS1_23onesweep_lookback_stateEbbT6_jjT7_P12ihipStream_tbENKUlT_T0_SD_SI_E_clIS7_S7_S8_S8_EEDaSW_SX_SD_SI_EUlSW_E_NS1_11comp_targetILNS1_3genE3ELNS1_11target_archE908ELNS1_3gpuE7ELNS1_3repE0EEENS1_47radix_sort_onesweep_sort_config_static_selectorELNS0_4arch9wavefront6targetE1EEEvSD_
	.globl	_ZN7rocprim17ROCPRIM_400000_NS6detail17trampoline_kernelINS0_14default_configENS1_35radix_sort_onesweep_config_selectorIjyEEZZNS1_29radix_sort_onesweep_iterationIS3_Lb0EPjS7_PyS8_jNS0_19identity_decomposerENS1_16block_id_wrapperIjLb0EEEEE10hipError_tT1_PNSt15iterator_traitsISD_E10value_typeET2_T3_PNSE_ISJ_E10value_typeET4_T5_PSO_SP_PNS1_23onesweep_lookback_stateEbbT6_jjT7_P12ihipStream_tbENKUlT_T0_SD_SI_E_clIS7_S7_S8_S8_EEDaSW_SX_SD_SI_EUlSW_E_NS1_11comp_targetILNS1_3genE3ELNS1_11target_archE908ELNS1_3gpuE7ELNS1_3repE0EEENS1_47radix_sort_onesweep_sort_config_static_selectorELNS0_4arch9wavefront6targetE1EEEvSD_
	.p2align	8
	.type	_ZN7rocprim17ROCPRIM_400000_NS6detail17trampoline_kernelINS0_14default_configENS1_35radix_sort_onesweep_config_selectorIjyEEZZNS1_29radix_sort_onesweep_iterationIS3_Lb0EPjS7_PyS8_jNS0_19identity_decomposerENS1_16block_id_wrapperIjLb0EEEEE10hipError_tT1_PNSt15iterator_traitsISD_E10value_typeET2_T3_PNSE_ISJ_E10value_typeET4_T5_PSO_SP_PNS1_23onesweep_lookback_stateEbbT6_jjT7_P12ihipStream_tbENKUlT_T0_SD_SI_E_clIS7_S7_S8_S8_EEDaSW_SX_SD_SI_EUlSW_E_NS1_11comp_targetILNS1_3genE3ELNS1_11target_archE908ELNS1_3gpuE7ELNS1_3repE0EEENS1_47radix_sort_onesweep_sort_config_static_selectorELNS0_4arch9wavefront6targetE1EEEvSD_,@function
_ZN7rocprim17ROCPRIM_400000_NS6detail17trampoline_kernelINS0_14default_configENS1_35radix_sort_onesweep_config_selectorIjyEEZZNS1_29radix_sort_onesweep_iterationIS3_Lb0EPjS7_PyS8_jNS0_19identity_decomposerENS1_16block_id_wrapperIjLb0EEEEE10hipError_tT1_PNSt15iterator_traitsISD_E10value_typeET2_T3_PNSE_ISJ_E10value_typeET4_T5_PSO_SP_PNS1_23onesweep_lookback_stateEbbT6_jjT7_P12ihipStream_tbENKUlT_T0_SD_SI_E_clIS7_S7_S8_S8_EEDaSW_SX_SD_SI_EUlSW_E_NS1_11comp_targetILNS1_3genE3ELNS1_11target_archE908ELNS1_3gpuE7ELNS1_3repE0EEENS1_47radix_sort_onesweep_sort_config_static_selectorELNS0_4arch9wavefront6targetE1EEEvSD_: ; @_ZN7rocprim17ROCPRIM_400000_NS6detail17trampoline_kernelINS0_14default_configENS1_35radix_sort_onesweep_config_selectorIjyEEZZNS1_29radix_sort_onesweep_iterationIS3_Lb0EPjS7_PyS8_jNS0_19identity_decomposerENS1_16block_id_wrapperIjLb0EEEEE10hipError_tT1_PNSt15iterator_traitsISD_E10value_typeET2_T3_PNSE_ISJ_E10value_typeET4_T5_PSO_SP_PNS1_23onesweep_lookback_stateEbbT6_jjT7_P12ihipStream_tbENKUlT_T0_SD_SI_E_clIS7_S7_S8_S8_EEDaSW_SX_SD_SI_EUlSW_E_NS1_11comp_targetILNS1_3genE3ELNS1_11target_archE908ELNS1_3gpuE7ELNS1_3repE0EEENS1_47radix_sort_onesweep_sort_config_static_selectorELNS0_4arch9wavefront6targetE1EEEvSD_
; %bb.0:
	.section	.rodata,"a",@progbits
	.p2align	6, 0x0
	.amdhsa_kernel _ZN7rocprim17ROCPRIM_400000_NS6detail17trampoline_kernelINS0_14default_configENS1_35radix_sort_onesweep_config_selectorIjyEEZZNS1_29radix_sort_onesweep_iterationIS3_Lb0EPjS7_PyS8_jNS0_19identity_decomposerENS1_16block_id_wrapperIjLb0EEEEE10hipError_tT1_PNSt15iterator_traitsISD_E10value_typeET2_T3_PNSE_ISJ_E10value_typeET4_T5_PSO_SP_PNS1_23onesweep_lookback_stateEbbT6_jjT7_P12ihipStream_tbENKUlT_T0_SD_SI_E_clIS7_S7_S8_S8_EEDaSW_SX_SD_SI_EUlSW_E_NS1_11comp_targetILNS1_3genE3ELNS1_11target_archE908ELNS1_3gpuE7ELNS1_3repE0EEENS1_47radix_sort_onesweep_sort_config_static_selectorELNS0_4arch9wavefront6targetE1EEEvSD_
		.amdhsa_group_segment_fixed_size 0
		.amdhsa_private_segment_fixed_size 0
		.amdhsa_kernarg_size 88
		.amdhsa_user_sgpr_count 6
		.amdhsa_user_sgpr_private_segment_buffer 1
		.amdhsa_user_sgpr_dispatch_ptr 0
		.amdhsa_user_sgpr_queue_ptr 0
		.amdhsa_user_sgpr_kernarg_segment_ptr 1
		.amdhsa_user_sgpr_dispatch_id 0
		.amdhsa_user_sgpr_flat_scratch_init 0
		.amdhsa_user_sgpr_kernarg_preload_length 0
		.amdhsa_user_sgpr_kernarg_preload_offset 0
		.amdhsa_user_sgpr_private_segment_size 0
		.amdhsa_uses_dynamic_stack 0
		.amdhsa_system_sgpr_private_segment_wavefront_offset 0
		.amdhsa_system_sgpr_workgroup_id_x 1
		.amdhsa_system_sgpr_workgroup_id_y 0
		.amdhsa_system_sgpr_workgroup_id_z 0
		.amdhsa_system_sgpr_workgroup_info 0
		.amdhsa_system_vgpr_workitem_id 0
		.amdhsa_next_free_vgpr 1
		.amdhsa_next_free_sgpr 0
		.amdhsa_accum_offset 4
		.amdhsa_reserve_vcc 0
		.amdhsa_reserve_flat_scratch 0
		.amdhsa_float_round_mode_32 0
		.amdhsa_float_round_mode_16_64 0
		.amdhsa_float_denorm_mode_32 3
		.amdhsa_float_denorm_mode_16_64 3
		.amdhsa_dx10_clamp 1
		.amdhsa_ieee_mode 1
		.amdhsa_fp16_overflow 0
		.amdhsa_tg_split 0
		.amdhsa_exception_fp_ieee_invalid_op 0
		.amdhsa_exception_fp_denorm_src 0
		.amdhsa_exception_fp_ieee_div_zero 0
		.amdhsa_exception_fp_ieee_overflow 0
		.amdhsa_exception_fp_ieee_underflow 0
		.amdhsa_exception_fp_ieee_inexact 0
		.amdhsa_exception_int_div_zero 0
	.end_amdhsa_kernel
	.section	.text._ZN7rocprim17ROCPRIM_400000_NS6detail17trampoline_kernelINS0_14default_configENS1_35radix_sort_onesweep_config_selectorIjyEEZZNS1_29radix_sort_onesweep_iterationIS3_Lb0EPjS7_PyS8_jNS0_19identity_decomposerENS1_16block_id_wrapperIjLb0EEEEE10hipError_tT1_PNSt15iterator_traitsISD_E10value_typeET2_T3_PNSE_ISJ_E10value_typeET4_T5_PSO_SP_PNS1_23onesweep_lookback_stateEbbT6_jjT7_P12ihipStream_tbENKUlT_T0_SD_SI_E_clIS7_S7_S8_S8_EEDaSW_SX_SD_SI_EUlSW_E_NS1_11comp_targetILNS1_3genE3ELNS1_11target_archE908ELNS1_3gpuE7ELNS1_3repE0EEENS1_47radix_sort_onesweep_sort_config_static_selectorELNS0_4arch9wavefront6targetE1EEEvSD_,"axG",@progbits,_ZN7rocprim17ROCPRIM_400000_NS6detail17trampoline_kernelINS0_14default_configENS1_35radix_sort_onesweep_config_selectorIjyEEZZNS1_29radix_sort_onesweep_iterationIS3_Lb0EPjS7_PyS8_jNS0_19identity_decomposerENS1_16block_id_wrapperIjLb0EEEEE10hipError_tT1_PNSt15iterator_traitsISD_E10value_typeET2_T3_PNSE_ISJ_E10value_typeET4_T5_PSO_SP_PNS1_23onesweep_lookback_stateEbbT6_jjT7_P12ihipStream_tbENKUlT_T0_SD_SI_E_clIS7_S7_S8_S8_EEDaSW_SX_SD_SI_EUlSW_E_NS1_11comp_targetILNS1_3genE3ELNS1_11target_archE908ELNS1_3gpuE7ELNS1_3repE0EEENS1_47radix_sort_onesweep_sort_config_static_selectorELNS0_4arch9wavefront6targetE1EEEvSD_,comdat
.Lfunc_end558:
	.size	_ZN7rocprim17ROCPRIM_400000_NS6detail17trampoline_kernelINS0_14default_configENS1_35radix_sort_onesweep_config_selectorIjyEEZZNS1_29radix_sort_onesweep_iterationIS3_Lb0EPjS7_PyS8_jNS0_19identity_decomposerENS1_16block_id_wrapperIjLb0EEEEE10hipError_tT1_PNSt15iterator_traitsISD_E10value_typeET2_T3_PNSE_ISJ_E10value_typeET4_T5_PSO_SP_PNS1_23onesweep_lookback_stateEbbT6_jjT7_P12ihipStream_tbENKUlT_T0_SD_SI_E_clIS7_S7_S8_S8_EEDaSW_SX_SD_SI_EUlSW_E_NS1_11comp_targetILNS1_3genE3ELNS1_11target_archE908ELNS1_3gpuE7ELNS1_3repE0EEENS1_47radix_sort_onesweep_sort_config_static_selectorELNS0_4arch9wavefront6targetE1EEEvSD_, .Lfunc_end558-_ZN7rocprim17ROCPRIM_400000_NS6detail17trampoline_kernelINS0_14default_configENS1_35radix_sort_onesweep_config_selectorIjyEEZZNS1_29radix_sort_onesweep_iterationIS3_Lb0EPjS7_PyS8_jNS0_19identity_decomposerENS1_16block_id_wrapperIjLb0EEEEE10hipError_tT1_PNSt15iterator_traitsISD_E10value_typeET2_T3_PNSE_ISJ_E10value_typeET4_T5_PSO_SP_PNS1_23onesweep_lookback_stateEbbT6_jjT7_P12ihipStream_tbENKUlT_T0_SD_SI_E_clIS7_S7_S8_S8_EEDaSW_SX_SD_SI_EUlSW_E_NS1_11comp_targetILNS1_3genE3ELNS1_11target_archE908ELNS1_3gpuE7ELNS1_3repE0EEENS1_47radix_sort_onesweep_sort_config_static_selectorELNS0_4arch9wavefront6targetE1EEEvSD_
                                        ; -- End function
	.section	.AMDGPU.csdata,"",@progbits
; Kernel info:
; codeLenInByte = 0
; NumSgprs: 4
; NumVgprs: 0
; NumAgprs: 0
; TotalNumVgprs: 0
; ScratchSize: 0
; MemoryBound: 0
; FloatMode: 240
; IeeeMode: 1
; LDSByteSize: 0 bytes/workgroup (compile time only)
; SGPRBlocks: 0
; VGPRBlocks: 0
; NumSGPRsForWavesPerEU: 4
; NumVGPRsForWavesPerEU: 1
; AccumOffset: 4
; Occupancy: 8
; WaveLimiterHint : 0
; COMPUTE_PGM_RSRC2:SCRATCH_EN: 0
; COMPUTE_PGM_RSRC2:USER_SGPR: 6
; COMPUTE_PGM_RSRC2:TRAP_HANDLER: 0
; COMPUTE_PGM_RSRC2:TGID_X_EN: 1
; COMPUTE_PGM_RSRC2:TGID_Y_EN: 0
; COMPUTE_PGM_RSRC2:TGID_Z_EN: 0
; COMPUTE_PGM_RSRC2:TIDIG_COMP_CNT: 0
; COMPUTE_PGM_RSRC3_GFX90A:ACCUM_OFFSET: 0
; COMPUTE_PGM_RSRC3_GFX90A:TG_SPLIT: 0
	.section	.text._ZN7rocprim17ROCPRIM_400000_NS6detail17trampoline_kernelINS0_14default_configENS1_35radix_sort_onesweep_config_selectorIjyEEZZNS1_29radix_sort_onesweep_iterationIS3_Lb0EPjS7_PyS8_jNS0_19identity_decomposerENS1_16block_id_wrapperIjLb0EEEEE10hipError_tT1_PNSt15iterator_traitsISD_E10value_typeET2_T3_PNSE_ISJ_E10value_typeET4_T5_PSO_SP_PNS1_23onesweep_lookback_stateEbbT6_jjT7_P12ihipStream_tbENKUlT_T0_SD_SI_E_clIS7_S7_S8_S8_EEDaSW_SX_SD_SI_EUlSW_E_NS1_11comp_targetILNS1_3genE10ELNS1_11target_archE1201ELNS1_3gpuE5ELNS1_3repE0EEENS1_47radix_sort_onesweep_sort_config_static_selectorELNS0_4arch9wavefront6targetE1EEEvSD_,"axG",@progbits,_ZN7rocprim17ROCPRIM_400000_NS6detail17trampoline_kernelINS0_14default_configENS1_35radix_sort_onesweep_config_selectorIjyEEZZNS1_29radix_sort_onesweep_iterationIS3_Lb0EPjS7_PyS8_jNS0_19identity_decomposerENS1_16block_id_wrapperIjLb0EEEEE10hipError_tT1_PNSt15iterator_traitsISD_E10value_typeET2_T3_PNSE_ISJ_E10value_typeET4_T5_PSO_SP_PNS1_23onesweep_lookback_stateEbbT6_jjT7_P12ihipStream_tbENKUlT_T0_SD_SI_E_clIS7_S7_S8_S8_EEDaSW_SX_SD_SI_EUlSW_E_NS1_11comp_targetILNS1_3genE10ELNS1_11target_archE1201ELNS1_3gpuE5ELNS1_3repE0EEENS1_47radix_sort_onesweep_sort_config_static_selectorELNS0_4arch9wavefront6targetE1EEEvSD_,comdat
	.protected	_ZN7rocprim17ROCPRIM_400000_NS6detail17trampoline_kernelINS0_14default_configENS1_35radix_sort_onesweep_config_selectorIjyEEZZNS1_29radix_sort_onesweep_iterationIS3_Lb0EPjS7_PyS8_jNS0_19identity_decomposerENS1_16block_id_wrapperIjLb0EEEEE10hipError_tT1_PNSt15iterator_traitsISD_E10value_typeET2_T3_PNSE_ISJ_E10value_typeET4_T5_PSO_SP_PNS1_23onesweep_lookback_stateEbbT6_jjT7_P12ihipStream_tbENKUlT_T0_SD_SI_E_clIS7_S7_S8_S8_EEDaSW_SX_SD_SI_EUlSW_E_NS1_11comp_targetILNS1_3genE10ELNS1_11target_archE1201ELNS1_3gpuE5ELNS1_3repE0EEENS1_47radix_sort_onesweep_sort_config_static_selectorELNS0_4arch9wavefront6targetE1EEEvSD_ ; -- Begin function _ZN7rocprim17ROCPRIM_400000_NS6detail17trampoline_kernelINS0_14default_configENS1_35radix_sort_onesweep_config_selectorIjyEEZZNS1_29radix_sort_onesweep_iterationIS3_Lb0EPjS7_PyS8_jNS0_19identity_decomposerENS1_16block_id_wrapperIjLb0EEEEE10hipError_tT1_PNSt15iterator_traitsISD_E10value_typeET2_T3_PNSE_ISJ_E10value_typeET4_T5_PSO_SP_PNS1_23onesweep_lookback_stateEbbT6_jjT7_P12ihipStream_tbENKUlT_T0_SD_SI_E_clIS7_S7_S8_S8_EEDaSW_SX_SD_SI_EUlSW_E_NS1_11comp_targetILNS1_3genE10ELNS1_11target_archE1201ELNS1_3gpuE5ELNS1_3repE0EEENS1_47radix_sort_onesweep_sort_config_static_selectorELNS0_4arch9wavefront6targetE1EEEvSD_
	.globl	_ZN7rocprim17ROCPRIM_400000_NS6detail17trampoline_kernelINS0_14default_configENS1_35radix_sort_onesweep_config_selectorIjyEEZZNS1_29radix_sort_onesweep_iterationIS3_Lb0EPjS7_PyS8_jNS0_19identity_decomposerENS1_16block_id_wrapperIjLb0EEEEE10hipError_tT1_PNSt15iterator_traitsISD_E10value_typeET2_T3_PNSE_ISJ_E10value_typeET4_T5_PSO_SP_PNS1_23onesweep_lookback_stateEbbT6_jjT7_P12ihipStream_tbENKUlT_T0_SD_SI_E_clIS7_S7_S8_S8_EEDaSW_SX_SD_SI_EUlSW_E_NS1_11comp_targetILNS1_3genE10ELNS1_11target_archE1201ELNS1_3gpuE5ELNS1_3repE0EEENS1_47radix_sort_onesweep_sort_config_static_selectorELNS0_4arch9wavefront6targetE1EEEvSD_
	.p2align	8
	.type	_ZN7rocprim17ROCPRIM_400000_NS6detail17trampoline_kernelINS0_14default_configENS1_35radix_sort_onesweep_config_selectorIjyEEZZNS1_29radix_sort_onesweep_iterationIS3_Lb0EPjS7_PyS8_jNS0_19identity_decomposerENS1_16block_id_wrapperIjLb0EEEEE10hipError_tT1_PNSt15iterator_traitsISD_E10value_typeET2_T3_PNSE_ISJ_E10value_typeET4_T5_PSO_SP_PNS1_23onesweep_lookback_stateEbbT6_jjT7_P12ihipStream_tbENKUlT_T0_SD_SI_E_clIS7_S7_S8_S8_EEDaSW_SX_SD_SI_EUlSW_E_NS1_11comp_targetILNS1_3genE10ELNS1_11target_archE1201ELNS1_3gpuE5ELNS1_3repE0EEENS1_47radix_sort_onesweep_sort_config_static_selectorELNS0_4arch9wavefront6targetE1EEEvSD_,@function
_ZN7rocprim17ROCPRIM_400000_NS6detail17trampoline_kernelINS0_14default_configENS1_35radix_sort_onesweep_config_selectorIjyEEZZNS1_29radix_sort_onesweep_iterationIS3_Lb0EPjS7_PyS8_jNS0_19identity_decomposerENS1_16block_id_wrapperIjLb0EEEEE10hipError_tT1_PNSt15iterator_traitsISD_E10value_typeET2_T3_PNSE_ISJ_E10value_typeET4_T5_PSO_SP_PNS1_23onesweep_lookback_stateEbbT6_jjT7_P12ihipStream_tbENKUlT_T0_SD_SI_E_clIS7_S7_S8_S8_EEDaSW_SX_SD_SI_EUlSW_E_NS1_11comp_targetILNS1_3genE10ELNS1_11target_archE1201ELNS1_3gpuE5ELNS1_3repE0EEENS1_47radix_sort_onesweep_sort_config_static_selectorELNS0_4arch9wavefront6targetE1EEEvSD_: ; @_ZN7rocprim17ROCPRIM_400000_NS6detail17trampoline_kernelINS0_14default_configENS1_35radix_sort_onesweep_config_selectorIjyEEZZNS1_29radix_sort_onesweep_iterationIS3_Lb0EPjS7_PyS8_jNS0_19identity_decomposerENS1_16block_id_wrapperIjLb0EEEEE10hipError_tT1_PNSt15iterator_traitsISD_E10value_typeET2_T3_PNSE_ISJ_E10value_typeET4_T5_PSO_SP_PNS1_23onesweep_lookback_stateEbbT6_jjT7_P12ihipStream_tbENKUlT_T0_SD_SI_E_clIS7_S7_S8_S8_EEDaSW_SX_SD_SI_EUlSW_E_NS1_11comp_targetILNS1_3genE10ELNS1_11target_archE1201ELNS1_3gpuE5ELNS1_3repE0EEENS1_47radix_sort_onesweep_sort_config_static_selectorELNS0_4arch9wavefront6targetE1EEEvSD_
; %bb.0:
	.section	.rodata,"a",@progbits
	.p2align	6, 0x0
	.amdhsa_kernel _ZN7rocprim17ROCPRIM_400000_NS6detail17trampoline_kernelINS0_14default_configENS1_35radix_sort_onesweep_config_selectorIjyEEZZNS1_29radix_sort_onesweep_iterationIS3_Lb0EPjS7_PyS8_jNS0_19identity_decomposerENS1_16block_id_wrapperIjLb0EEEEE10hipError_tT1_PNSt15iterator_traitsISD_E10value_typeET2_T3_PNSE_ISJ_E10value_typeET4_T5_PSO_SP_PNS1_23onesweep_lookback_stateEbbT6_jjT7_P12ihipStream_tbENKUlT_T0_SD_SI_E_clIS7_S7_S8_S8_EEDaSW_SX_SD_SI_EUlSW_E_NS1_11comp_targetILNS1_3genE10ELNS1_11target_archE1201ELNS1_3gpuE5ELNS1_3repE0EEENS1_47radix_sort_onesweep_sort_config_static_selectorELNS0_4arch9wavefront6targetE1EEEvSD_
		.amdhsa_group_segment_fixed_size 0
		.amdhsa_private_segment_fixed_size 0
		.amdhsa_kernarg_size 88
		.amdhsa_user_sgpr_count 6
		.amdhsa_user_sgpr_private_segment_buffer 1
		.amdhsa_user_sgpr_dispatch_ptr 0
		.amdhsa_user_sgpr_queue_ptr 0
		.amdhsa_user_sgpr_kernarg_segment_ptr 1
		.amdhsa_user_sgpr_dispatch_id 0
		.amdhsa_user_sgpr_flat_scratch_init 0
		.amdhsa_user_sgpr_kernarg_preload_length 0
		.amdhsa_user_sgpr_kernarg_preload_offset 0
		.amdhsa_user_sgpr_private_segment_size 0
		.amdhsa_uses_dynamic_stack 0
		.amdhsa_system_sgpr_private_segment_wavefront_offset 0
		.amdhsa_system_sgpr_workgroup_id_x 1
		.amdhsa_system_sgpr_workgroup_id_y 0
		.amdhsa_system_sgpr_workgroup_id_z 0
		.amdhsa_system_sgpr_workgroup_info 0
		.amdhsa_system_vgpr_workitem_id 0
		.amdhsa_next_free_vgpr 1
		.amdhsa_next_free_sgpr 0
		.amdhsa_accum_offset 4
		.amdhsa_reserve_vcc 0
		.amdhsa_reserve_flat_scratch 0
		.amdhsa_float_round_mode_32 0
		.amdhsa_float_round_mode_16_64 0
		.amdhsa_float_denorm_mode_32 3
		.amdhsa_float_denorm_mode_16_64 3
		.amdhsa_dx10_clamp 1
		.amdhsa_ieee_mode 1
		.amdhsa_fp16_overflow 0
		.amdhsa_tg_split 0
		.amdhsa_exception_fp_ieee_invalid_op 0
		.amdhsa_exception_fp_denorm_src 0
		.amdhsa_exception_fp_ieee_div_zero 0
		.amdhsa_exception_fp_ieee_overflow 0
		.amdhsa_exception_fp_ieee_underflow 0
		.amdhsa_exception_fp_ieee_inexact 0
		.amdhsa_exception_int_div_zero 0
	.end_amdhsa_kernel
	.section	.text._ZN7rocprim17ROCPRIM_400000_NS6detail17trampoline_kernelINS0_14default_configENS1_35radix_sort_onesweep_config_selectorIjyEEZZNS1_29radix_sort_onesweep_iterationIS3_Lb0EPjS7_PyS8_jNS0_19identity_decomposerENS1_16block_id_wrapperIjLb0EEEEE10hipError_tT1_PNSt15iterator_traitsISD_E10value_typeET2_T3_PNSE_ISJ_E10value_typeET4_T5_PSO_SP_PNS1_23onesweep_lookback_stateEbbT6_jjT7_P12ihipStream_tbENKUlT_T0_SD_SI_E_clIS7_S7_S8_S8_EEDaSW_SX_SD_SI_EUlSW_E_NS1_11comp_targetILNS1_3genE10ELNS1_11target_archE1201ELNS1_3gpuE5ELNS1_3repE0EEENS1_47radix_sort_onesweep_sort_config_static_selectorELNS0_4arch9wavefront6targetE1EEEvSD_,"axG",@progbits,_ZN7rocprim17ROCPRIM_400000_NS6detail17trampoline_kernelINS0_14default_configENS1_35radix_sort_onesweep_config_selectorIjyEEZZNS1_29radix_sort_onesweep_iterationIS3_Lb0EPjS7_PyS8_jNS0_19identity_decomposerENS1_16block_id_wrapperIjLb0EEEEE10hipError_tT1_PNSt15iterator_traitsISD_E10value_typeET2_T3_PNSE_ISJ_E10value_typeET4_T5_PSO_SP_PNS1_23onesweep_lookback_stateEbbT6_jjT7_P12ihipStream_tbENKUlT_T0_SD_SI_E_clIS7_S7_S8_S8_EEDaSW_SX_SD_SI_EUlSW_E_NS1_11comp_targetILNS1_3genE10ELNS1_11target_archE1201ELNS1_3gpuE5ELNS1_3repE0EEENS1_47radix_sort_onesweep_sort_config_static_selectorELNS0_4arch9wavefront6targetE1EEEvSD_,comdat
.Lfunc_end559:
	.size	_ZN7rocprim17ROCPRIM_400000_NS6detail17trampoline_kernelINS0_14default_configENS1_35radix_sort_onesweep_config_selectorIjyEEZZNS1_29radix_sort_onesweep_iterationIS3_Lb0EPjS7_PyS8_jNS0_19identity_decomposerENS1_16block_id_wrapperIjLb0EEEEE10hipError_tT1_PNSt15iterator_traitsISD_E10value_typeET2_T3_PNSE_ISJ_E10value_typeET4_T5_PSO_SP_PNS1_23onesweep_lookback_stateEbbT6_jjT7_P12ihipStream_tbENKUlT_T0_SD_SI_E_clIS7_S7_S8_S8_EEDaSW_SX_SD_SI_EUlSW_E_NS1_11comp_targetILNS1_3genE10ELNS1_11target_archE1201ELNS1_3gpuE5ELNS1_3repE0EEENS1_47radix_sort_onesweep_sort_config_static_selectorELNS0_4arch9wavefront6targetE1EEEvSD_, .Lfunc_end559-_ZN7rocprim17ROCPRIM_400000_NS6detail17trampoline_kernelINS0_14default_configENS1_35radix_sort_onesweep_config_selectorIjyEEZZNS1_29radix_sort_onesweep_iterationIS3_Lb0EPjS7_PyS8_jNS0_19identity_decomposerENS1_16block_id_wrapperIjLb0EEEEE10hipError_tT1_PNSt15iterator_traitsISD_E10value_typeET2_T3_PNSE_ISJ_E10value_typeET4_T5_PSO_SP_PNS1_23onesweep_lookback_stateEbbT6_jjT7_P12ihipStream_tbENKUlT_T0_SD_SI_E_clIS7_S7_S8_S8_EEDaSW_SX_SD_SI_EUlSW_E_NS1_11comp_targetILNS1_3genE10ELNS1_11target_archE1201ELNS1_3gpuE5ELNS1_3repE0EEENS1_47radix_sort_onesweep_sort_config_static_selectorELNS0_4arch9wavefront6targetE1EEEvSD_
                                        ; -- End function
	.section	.AMDGPU.csdata,"",@progbits
; Kernel info:
; codeLenInByte = 0
; NumSgprs: 4
; NumVgprs: 0
; NumAgprs: 0
; TotalNumVgprs: 0
; ScratchSize: 0
; MemoryBound: 0
; FloatMode: 240
; IeeeMode: 1
; LDSByteSize: 0 bytes/workgroup (compile time only)
; SGPRBlocks: 0
; VGPRBlocks: 0
; NumSGPRsForWavesPerEU: 4
; NumVGPRsForWavesPerEU: 1
; AccumOffset: 4
; Occupancy: 8
; WaveLimiterHint : 0
; COMPUTE_PGM_RSRC2:SCRATCH_EN: 0
; COMPUTE_PGM_RSRC2:USER_SGPR: 6
; COMPUTE_PGM_RSRC2:TRAP_HANDLER: 0
; COMPUTE_PGM_RSRC2:TGID_X_EN: 1
; COMPUTE_PGM_RSRC2:TGID_Y_EN: 0
; COMPUTE_PGM_RSRC2:TGID_Z_EN: 0
; COMPUTE_PGM_RSRC2:TIDIG_COMP_CNT: 0
; COMPUTE_PGM_RSRC3_GFX90A:ACCUM_OFFSET: 0
; COMPUTE_PGM_RSRC3_GFX90A:TG_SPLIT: 0
	.section	.text._ZN7rocprim17ROCPRIM_400000_NS6detail17trampoline_kernelINS0_14default_configENS1_35radix_sort_onesweep_config_selectorIjyEEZZNS1_29radix_sort_onesweep_iterationIS3_Lb0EPjS7_PyS8_jNS0_19identity_decomposerENS1_16block_id_wrapperIjLb0EEEEE10hipError_tT1_PNSt15iterator_traitsISD_E10value_typeET2_T3_PNSE_ISJ_E10value_typeET4_T5_PSO_SP_PNS1_23onesweep_lookback_stateEbbT6_jjT7_P12ihipStream_tbENKUlT_T0_SD_SI_E_clIS7_S7_S8_S8_EEDaSW_SX_SD_SI_EUlSW_E_NS1_11comp_targetILNS1_3genE9ELNS1_11target_archE1100ELNS1_3gpuE3ELNS1_3repE0EEENS1_47radix_sort_onesweep_sort_config_static_selectorELNS0_4arch9wavefront6targetE1EEEvSD_,"axG",@progbits,_ZN7rocprim17ROCPRIM_400000_NS6detail17trampoline_kernelINS0_14default_configENS1_35radix_sort_onesweep_config_selectorIjyEEZZNS1_29radix_sort_onesweep_iterationIS3_Lb0EPjS7_PyS8_jNS0_19identity_decomposerENS1_16block_id_wrapperIjLb0EEEEE10hipError_tT1_PNSt15iterator_traitsISD_E10value_typeET2_T3_PNSE_ISJ_E10value_typeET4_T5_PSO_SP_PNS1_23onesweep_lookback_stateEbbT6_jjT7_P12ihipStream_tbENKUlT_T0_SD_SI_E_clIS7_S7_S8_S8_EEDaSW_SX_SD_SI_EUlSW_E_NS1_11comp_targetILNS1_3genE9ELNS1_11target_archE1100ELNS1_3gpuE3ELNS1_3repE0EEENS1_47radix_sort_onesweep_sort_config_static_selectorELNS0_4arch9wavefront6targetE1EEEvSD_,comdat
	.protected	_ZN7rocprim17ROCPRIM_400000_NS6detail17trampoline_kernelINS0_14default_configENS1_35radix_sort_onesweep_config_selectorIjyEEZZNS1_29radix_sort_onesweep_iterationIS3_Lb0EPjS7_PyS8_jNS0_19identity_decomposerENS1_16block_id_wrapperIjLb0EEEEE10hipError_tT1_PNSt15iterator_traitsISD_E10value_typeET2_T3_PNSE_ISJ_E10value_typeET4_T5_PSO_SP_PNS1_23onesweep_lookback_stateEbbT6_jjT7_P12ihipStream_tbENKUlT_T0_SD_SI_E_clIS7_S7_S8_S8_EEDaSW_SX_SD_SI_EUlSW_E_NS1_11comp_targetILNS1_3genE9ELNS1_11target_archE1100ELNS1_3gpuE3ELNS1_3repE0EEENS1_47radix_sort_onesweep_sort_config_static_selectorELNS0_4arch9wavefront6targetE1EEEvSD_ ; -- Begin function _ZN7rocprim17ROCPRIM_400000_NS6detail17trampoline_kernelINS0_14default_configENS1_35radix_sort_onesweep_config_selectorIjyEEZZNS1_29radix_sort_onesweep_iterationIS3_Lb0EPjS7_PyS8_jNS0_19identity_decomposerENS1_16block_id_wrapperIjLb0EEEEE10hipError_tT1_PNSt15iterator_traitsISD_E10value_typeET2_T3_PNSE_ISJ_E10value_typeET4_T5_PSO_SP_PNS1_23onesweep_lookback_stateEbbT6_jjT7_P12ihipStream_tbENKUlT_T0_SD_SI_E_clIS7_S7_S8_S8_EEDaSW_SX_SD_SI_EUlSW_E_NS1_11comp_targetILNS1_3genE9ELNS1_11target_archE1100ELNS1_3gpuE3ELNS1_3repE0EEENS1_47radix_sort_onesweep_sort_config_static_selectorELNS0_4arch9wavefront6targetE1EEEvSD_
	.globl	_ZN7rocprim17ROCPRIM_400000_NS6detail17trampoline_kernelINS0_14default_configENS1_35radix_sort_onesweep_config_selectorIjyEEZZNS1_29radix_sort_onesweep_iterationIS3_Lb0EPjS7_PyS8_jNS0_19identity_decomposerENS1_16block_id_wrapperIjLb0EEEEE10hipError_tT1_PNSt15iterator_traitsISD_E10value_typeET2_T3_PNSE_ISJ_E10value_typeET4_T5_PSO_SP_PNS1_23onesweep_lookback_stateEbbT6_jjT7_P12ihipStream_tbENKUlT_T0_SD_SI_E_clIS7_S7_S8_S8_EEDaSW_SX_SD_SI_EUlSW_E_NS1_11comp_targetILNS1_3genE9ELNS1_11target_archE1100ELNS1_3gpuE3ELNS1_3repE0EEENS1_47radix_sort_onesweep_sort_config_static_selectorELNS0_4arch9wavefront6targetE1EEEvSD_
	.p2align	8
	.type	_ZN7rocprim17ROCPRIM_400000_NS6detail17trampoline_kernelINS0_14default_configENS1_35radix_sort_onesweep_config_selectorIjyEEZZNS1_29radix_sort_onesweep_iterationIS3_Lb0EPjS7_PyS8_jNS0_19identity_decomposerENS1_16block_id_wrapperIjLb0EEEEE10hipError_tT1_PNSt15iterator_traitsISD_E10value_typeET2_T3_PNSE_ISJ_E10value_typeET4_T5_PSO_SP_PNS1_23onesweep_lookback_stateEbbT6_jjT7_P12ihipStream_tbENKUlT_T0_SD_SI_E_clIS7_S7_S8_S8_EEDaSW_SX_SD_SI_EUlSW_E_NS1_11comp_targetILNS1_3genE9ELNS1_11target_archE1100ELNS1_3gpuE3ELNS1_3repE0EEENS1_47radix_sort_onesweep_sort_config_static_selectorELNS0_4arch9wavefront6targetE1EEEvSD_,@function
_ZN7rocprim17ROCPRIM_400000_NS6detail17trampoline_kernelINS0_14default_configENS1_35radix_sort_onesweep_config_selectorIjyEEZZNS1_29radix_sort_onesweep_iterationIS3_Lb0EPjS7_PyS8_jNS0_19identity_decomposerENS1_16block_id_wrapperIjLb0EEEEE10hipError_tT1_PNSt15iterator_traitsISD_E10value_typeET2_T3_PNSE_ISJ_E10value_typeET4_T5_PSO_SP_PNS1_23onesweep_lookback_stateEbbT6_jjT7_P12ihipStream_tbENKUlT_T0_SD_SI_E_clIS7_S7_S8_S8_EEDaSW_SX_SD_SI_EUlSW_E_NS1_11comp_targetILNS1_3genE9ELNS1_11target_archE1100ELNS1_3gpuE3ELNS1_3repE0EEENS1_47radix_sort_onesweep_sort_config_static_selectorELNS0_4arch9wavefront6targetE1EEEvSD_: ; @_ZN7rocprim17ROCPRIM_400000_NS6detail17trampoline_kernelINS0_14default_configENS1_35radix_sort_onesweep_config_selectorIjyEEZZNS1_29radix_sort_onesweep_iterationIS3_Lb0EPjS7_PyS8_jNS0_19identity_decomposerENS1_16block_id_wrapperIjLb0EEEEE10hipError_tT1_PNSt15iterator_traitsISD_E10value_typeET2_T3_PNSE_ISJ_E10value_typeET4_T5_PSO_SP_PNS1_23onesweep_lookback_stateEbbT6_jjT7_P12ihipStream_tbENKUlT_T0_SD_SI_E_clIS7_S7_S8_S8_EEDaSW_SX_SD_SI_EUlSW_E_NS1_11comp_targetILNS1_3genE9ELNS1_11target_archE1100ELNS1_3gpuE3ELNS1_3repE0EEENS1_47radix_sort_onesweep_sort_config_static_selectorELNS0_4arch9wavefront6targetE1EEEvSD_
; %bb.0:
	.section	.rodata,"a",@progbits
	.p2align	6, 0x0
	.amdhsa_kernel _ZN7rocprim17ROCPRIM_400000_NS6detail17trampoline_kernelINS0_14default_configENS1_35radix_sort_onesweep_config_selectorIjyEEZZNS1_29radix_sort_onesweep_iterationIS3_Lb0EPjS7_PyS8_jNS0_19identity_decomposerENS1_16block_id_wrapperIjLb0EEEEE10hipError_tT1_PNSt15iterator_traitsISD_E10value_typeET2_T3_PNSE_ISJ_E10value_typeET4_T5_PSO_SP_PNS1_23onesweep_lookback_stateEbbT6_jjT7_P12ihipStream_tbENKUlT_T0_SD_SI_E_clIS7_S7_S8_S8_EEDaSW_SX_SD_SI_EUlSW_E_NS1_11comp_targetILNS1_3genE9ELNS1_11target_archE1100ELNS1_3gpuE3ELNS1_3repE0EEENS1_47radix_sort_onesweep_sort_config_static_selectorELNS0_4arch9wavefront6targetE1EEEvSD_
		.amdhsa_group_segment_fixed_size 0
		.amdhsa_private_segment_fixed_size 0
		.amdhsa_kernarg_size 88
		.amdhsa_user_sgpr_count 6
		.amdhsa_user_sgpr_private_segment_buffer 1
		.amdhsa_user_sgpr_dispatch_ptr 0
		.amdhsa_user_sgpr_queue_ptr 0
		.amdhsa_user_sgpr_kernarg_segment_ptr 1
		.amdhsa_user_sgpr_dispatch_id 0
		.amdhsa_user_sgpr_flat_scratch_init 0
		.amdhsa_user_sgpr_kernarg_preload_length 0
		.amdhsa_user_sgpr_kernarg_preload_offset 0
		.amdhsa_user_sgpr_private_segment_size 0
		.amdhsa_uses_dynamic_stack 0
		.amdhsa_system_sgpr_private_segment_wavefront_offset 0
		.amdhsa_system_sgpr_workgroup_id_x 1
		.amdhsa_system_sgpr_workgroup_id_y 0
		.amdhsa_system_sgpr_workgroup_id_z 0
		.amdhsa_system_sgpr_workgroup_info 0
		.amdhsa_system_vgpr_workitem_id 0
		.amdhsa_next_free_vgpr 1
		.amdhsa_next_free_sgpr 0
		.amdhsa_accum_offset 4
		.amdhsa_reserve_vcc 0
		.amdhsa_reserve_flat_scratch 0
		.amdhsa_float_round_mode_32 0
		.amdhsa_float_round_mode_16_64 0
		.amdhsa_float_denorm_mode_32 3
		.amdhsa_float_denorm_mode_16_64 3
		.amdhsa_dx10_clamp 1
		.amdhsa_ieee_mode 1
		.amdhsa_fp16_overflow 0
		.amdhsa_tg_split 0
		.amdhsa_exception_fp_ieee_invalid_op 0
		.amdhsa_exception_fp_denorm_src 0
		.amdhsa_exception_fp_ieee_div_zero 0
		.amdhsa_exception_fp_ieee_overflow 0
		.amdhsa_exception_fp_ieee_underflow 0
		.amdhsa_exception_fp_ieee_inexact 0
		.amdhsa_exception_int_div_zero 0
	.end_amdhsa_kernel
	.section	.text._ZN7rocprim17ROCPRIM_400000_NS6detail17trampoline_kernelINS0_14default_configENS1_35radix_sort_onesweep_config_selectorIjyEEZZNS1_29radix_sort_onesweep_iterationIS3_Lb0EPjS7_PyS8_jNS0_19identity_decomposerENS1_16block_id_wrapperIjLb0EEEEE10hipError_tT1_PNSt15iterator_traitsISD_E10value_typeET2_T3_PNSE_ISJ_E10value_typeET4_T5_PSO_SP_PNS1_23onesweep_lookback_stateEbbT6_jjT7_P12ihipStream_tbENKUlT_T0_SD_SI_E_clIS7_S7_S8_S8_EEDaSW_SX_SD_SI_EUlSW_E_NS1_11comp_targetILNS1_3genE9ELNS1_11target_archE1100ELNS1_3gpuE3ELNS1_3repE0EEENS1_47radix_sort_onesweep_sort_config_static_selectorELNS0_4arch9wavefront6targetE1EEEvSD_,"axG",@progbits,_ZN7rocprim17ROCPRIM_400000_NS6detail17trampoline_kernelINS0_14default_configENS1_35radix_sort_onesweep_config_selectorIjyEEZZNS1_29radix_sort_onesweep_iterationIS3_Lb0EPjS7_PyS8_jNS0_19identity_decomposerENS1_16block_id_wrapperIjLb0EEEEE10hipError_tT1_PNSt15iterator_traitsISD_E10value_typeET2_T3_PNSE_ISJ_E10value_typeET4_T5_PSO_SP_PNS1_23onesweep_lookback_stateEbbT6_jjT7_P12ihipStream_tbENKUlT_T0_SD_SI_E_clIS7_S7_S8_S8_EEDaSW_SX_SD_SI_EUlSW_E_NS1_11comp_targetILNS1_3genE9ELNS1_11target_archE1100ELNS1_3gpuE3ELNS1_3repE0EEENS1_47radix_sort_onesweep_sort_config_static_selectorELNS0_4arch9wavefront6targetE1EEEvSD_,comdat
.Lfunc_end560:
	.size	_ZN7rocprim17ROCPRIM_400000_NS6detail17trampoline_kernelINS0_14default_configENS1_35radix_sort_onesweep_config_selectorIjyEEZZNS1_29radix_sort_onesweep_iterationIS3_Lb0EPjS7_PyS8_jNS0_19identity_decomposerENS1_16block_id_wrapperIjLb0EEEEE10hipError_tT1_PNSt15iterator_traitsISD_E10value_typeET2_T3_PNSE_ISJ_E10value_typeET4_T5_PSO_SP_PNS1_23onesweep_lookback_stateEbbT6_jjT7_P12ihipStream_tbENKUlT_T0_SD_SI_E_clIS7_S7_S8_S8_EEDaSW_SX_SD_SI_EUlSW_E_NS1_11comp_targetILNS1_3genE9ELNS1_11target_archE1100ELNS1_3gpuE3ELNS1_3repE0EEENS1_47radix_sort_onesweep_sort_config_static_selectorELNS0_4arch9wavefront6targetE1EEEvSD_, .Lfunc_end560-_ZN7rocprim17ROCPRIM_400000_NS6detail17trampoline_kernelINS0_14default_configENS1_35radix_sort_onesweep_config_selectorIjyEEZZNS1_29radix_sort_onesweep_iterationIS3_Lb0EPjS7_PyS8_jNS0_19identity_decomposerENS1_16block_id_wrapperIjLb0EEEEE10hipError_tT1_PNSt15iterator_traitsISD_E10value_typeET2_T3_PNSE_ISJ_E10value_typeET4_T5_PSO_SP_PNS1_23onesweep_lookback_stateEbbT6_jjT7_P12ihipStream_tbENKUlT_T0_SD_SI_E_clIS7_S7_S8_S8_EEDaSW_SX_SD_SI_EUlSW_E_NS1_11comp_targetILNS1_3genE9ELNS1_11target_archE1100ELNS1_3gpuE3ELNS1_3repE0EEENS1_47radix_sort_onesweep_sort_config_static_selectorELNS0_4arch9wavefront6targetE1EEEvSD_
                                        ; -- End function
	.section	.AMDGPU.csdata,"",@progbits
; Kernel info:
; codeLenInByte = 0
; NumSgprs: 4
; NumVgprs: 0
; NumAgprs: 0
; TotalNumVgprs: 0
; ScratchSize: 0
; MemoryBound: 0
; FloatMode: 240
; IeeeMode: 1
; LDSByteSize: 0 bytes/workgroup (compile time only)
; SGPRBlocks: 0
; VGPRBlocks: 0
; NumSGPRsForWavesPerEU: 4
; NumVGPRsForWavesPerEU: 1
; AccumOffset: 4
; Occupancy: 8
; WaveLimiterHint : 0
; COMPUTE_PGM_RSRC2:SCRATCH_EN: 0
; COMPUTE_PGM_RSRC2:USER_SGPR: 6
; COMPUTE_PGM_RSRC2:TRAP_HANDLER: 0
; COMPUTE_PGM_RSRC2:TGID_X_EN: 1
; COMPUTE_PGM_RSRC2:TGID_Y_EN: 0
; COMPUTE_PGM_RSRC2:TGID_Z_EN: 0
; COMPUTE_PGM_RSRC2:TIDIG_COMP_CNT: 0
; COMPUTE_PGM_RSRC3_GFX90A:ACCUM_OFFSET: 0
; COMPUTE_PGM_RSRC3_GFX90A:TG_SPLIT: 0
	.section	.text._ZN7rocprim17ROCPRIM_400000_NS6detail17trampoline_kernelINS0_14default_configENS1_35radix_sort_onesweep_config_selectorIjyEEZZNS1_29radix_sort_onesweep_iterationIS3_Lb0EPjS7_PyS8_jNS0_19identity_decomposerENS1_16block_id_wrapperIjLb0EEEEE10hipError_tT1_PNSt15iterator_traitsISD_E10value_typeET2_T3_PNSE_ISJ_E10value_typeET4_T5_PSO_SP_PNS1_23onesweep_lookback_stateEbbT6_jjT7_P12ihipStream_tbENKUlT_T0_SD_SI_E_clIS7_S7_S8_S8_EEDaSW_SX_SD_SI_EUlSW_E_NS1_11comp_targetILNS1_3genE8ELNS1_11target_archE1030ELNS1_3gpuE2ELNS1_3repE0EEENS1_47radix_sort_onesweep_sort_config_static_selectorELNS0_4arch9wavefront6targetE1EEEvSD_,"axG",@progbits,_ZN7rocprim17ROCPRIM_400000_NS6detail17trampoline_kernelINS0_14default_configENS1_35radix_sort_onesweep_config_selectorIjyEEZZNS1_29radix_sort_onesweep_iterationIS3_Lb0EPjS7_PyS8_jNS0_19identity_decomposerENS1_16block_id_wrapperIjLb0EEEEE10hipError_tT1_PNSt15iterator_traitsISD_E10value_typeET2_T3_PNSE_ISJ_E10value_typeET4_T5_PSO_SP_PNS1_23onesweep_lookback_stateEbbT6_jjT7_P12ihipStream_tbENKUlT_T0_SD_SI_E_clIS7_S7_S8_S8_EEDaSW_SX_SD_SI_EUlSW_E_NS1_11comp_targetILNS1_3genE8ELNS1_11target_archE1030ELNS1_3gpuE2ELNS1_3repE0EEENS1_47radix_sort_onesweep_sort_config_static_selectorELNS0_4arch9wavefront6targetE1EEEvSD_,comdat
	.protected	_ZN7rocprim17ROCPRIM_400000_NS6detail17trampoline_kernelINS0_14default_configENS1_35radix_sort_onesweep_config_selectorIjyEEZZNS1_29radix_sort_onesweep_iterationIS3_Lb0EPjS7_PyS8_jNS0_19identity_decomposerENS1_16block_id_wrapperIjLb0EEEEE10hipError_tT1_PNSt15iterator_traitsISD_E10value_typeET2_T3_PNSE_ISJ_E10value_typeET4_T5_PSO_SP_PNS1_23onesweep_lookback_stateEbbT6_jjT7_P12ihipStream_tbENKUlT_T0_SD_SI_E_clIS7_S7_S8_S8_EEDaSW_SX_SD_SI_EUlSW_E_NS1_11comp_targetILNS1_3genE8ELNS1_11target_archE1030ELNS1_3gpuE2ELNS1_3repE0EEENS1_47radix_sort_onesweep_sort_config_static_selectorELNS0_4arch9wavefront6targetE1EEEvSD_ ; -- Begin function _ZN7rocprim17ROCPRIM_400000_NS6detail17trampoline_kernelINS0_14default_configENS1_35radix_sort_onesweep_config_selectorIjyEEZZNS1_29radix_sort_onesweep_iterationIS3_Lb0EPjS7_PyS8_jNS0_19identity_decomposerENS1_16block_id_wrapperIjLb0EEEEE10hipError_tT1_PNSt15iterator_traitsISD_E10value_typeET2_T3_PNSE_ISJ_E10value_typeET4_T5_PSO_SP_PNS1_23onesweep_lookback_stateEbbT6_jjT7_P12ihipStream_tbENKUlT_T0_SD_SI_E_clIS7_S7_S8_S8_EEDaSW_SX_SD_SI_EUlSW_E_NS1_11comp_targetILNS1_3genE8ELNS1_11target_archE1030ELNS1_3gpuE2ELNS1_3repE0EEENS1_47radix_sort_onesweep_sort_config_static_selectorELNS0_4arch9wavefront6targetE1EEEvSD_
	.globl	_ZN7rocprim17ROCPRIM_400000_NS6detail17trampoline_kernelINS0_14default_configENS1_35radix_sort_onesweep_config_selectorIjyEEZZNS1_29radix_sort_onesweep_iterationIS3_Lb0EPjS7_PyS8_jNS0_19identity_decomposerENS1_16block_id_wrapperIjLb0EEEEE10hipError_tT1_PNSt15iterator_traitsISD_E10value_typeET2_T3_PNSE_ISJ_E10value_typeET4_T5_PSO_SP_PNS1_23onesweep_lookback_stateEbbT6_jjT7_P12ihipStream_tbENKUlT_T0_SD_SI_E_clIS7_S7_S8_S8_EEDaSW_SX_SD_SI_EUlSW_E_NS1_11comp_targetILNS1_3genE8ELNS1_11target_archE1030ELNS1_3gpuE2ELNS1_3repE0EEENS1_47radix_sort_onesweep_sort_config_static_selectorELNS0_4arch9wavefront6targetE1EEEvSD_
	.p2align	8
	.type	_ZN7rocprim17ROCPRIM_400000_NS6detail17trampoline_kernelINS0_14default_configENS1_35radix_sort_onesweep_config_selectorIjyEEZZNS1_29radix_sort_onesweep_iterationIS3_Lb0EPjS7_PyS8_jNS0_19identity_decomposerENS1_16block_id_wrapperIjLb0EEEEE10hipError_tT1_PNSt15iterator_traitsISD_E10value_typeET2_T3_PNSE_ISJ_E10value_typeET4_T5_PSO_SP_PNS1_23onesweep_lookback_stateEbbT6_jjT7_P12ihipStream_tbENKUlT_T0_SD_SI_E_clIS7_S7_S8_S8_EEDaSW_SX_SD_SI_EUlSW_E_NS1_11comp_targetILNS1_3genE8ELNS1_11target_archE1030ELNS1_3gpuE2ELNS1_3repE0EEENS1_47radix_sort_onesweep_sort_config_static_selectorELNS0_4arch9wavefront6targetE1EEEvSD_,@function
_ZN7rocprim17ROCPRIM_400000_NS6detail17trampoline_kernelINS0_14default_configENS1_35radix_sort_onesweep_config_selectorIjyEEZZNS1_29radix_sort_onesweep_iterationIS3_Lb0EPjS7_PyS8_jNS0_19identity_decomposerENS1_16block_id_wrapperIjLb0EEEEE10hipError_tT1_PNSt15iterator_traitsISD_E10value_typeET2_T3_PNSE_ISJ_E10value_typeET4_T5_PSO_SP_PNS1_23onesweep_lookback_stateEbbT6_jjT7_P12ihipStream_tbENKUlT_T0_SD_SI_E_clIS7_S7_S8_S8_EEDaSW_SX_SD_SI_EUlSW_E_NS1_11comp_targetILNS1_3genE8ELNS1_11target_archE1030ELNS1_3gpuE2ELNS1_3repE0EEENS1_47radix_sort_onesweep_sort_config_static_selectorELNS0_4arch9wavefront6targetE1EEEvSD_: ; @_ZN7rocprim17ROCPRIM_400000_NS6detail17trampoline_kernelINS0_14default_configENS1_35radix_sort_onesweep_config_selectorIjyEEZZNS1_29radix_sort_onesweep_iterationIS3_Lb0EPjS7_PyS8_jNS0_19identity_decomposerENS1_16block_id_wrapperIjLb0EEEEE10hipError_tT1_PNSt15iterator_traitsISD_E10value_typeET2_T3_PNSE_ISJ_E10value_typeET4_T5_PSO_SP_PNS1_23onesweep_lookback_stateEbbT6_jjT7_P12ihipStream_tbENKUlT_T0_SD_SI_E_clIS7_S7_S8_S8_EEDaSW_SX_SD_SI_EUlSW_E_NS1_11comp_targetILNS1_3genE8ELNS1_11target_archE1030ELNS1_3gpuE2ELNS1_3repE0EEENS1_47radix_sort_onesweep_sort_config_static_selectorELNS0_4arch9wavefront6targetE1EEEvSD_
; %bb.0:
	.section	.rodata,"a",@progbits
	.p2align	6, 0x0
	.amdhsa_kernel _ZN7rocprim17ROCPRIM_400000_NS6detail17trampoline_kernelINS0_14default_configENS1_35radix_sort_onesweep_config_selectorIjyEEZZNS1_29radix_sort_onesweep_iterationIS3_Lb0EPjS7_PyS8_jNS0_19identity_decomposerENS1_16block_id_wrapperIjLb0EEEEE10hipError_tT1_PNSt15iterator_traitsISD_E10value_typeET2_T3_PNSE_ISJ_E10value_typeET4_T5_PSO_SP_PNS1_23onesweep_lookback_stateEbbT6_jjT7_P12ihipStream_tbENKUlT_T0_SD_SI_E_clIS7_S7_S8_S8_EEDaSW_SX_SD_SI_EUlSW_E_NS1_11comp_targetILNS1_3genE8ELNS1_11target_archE1030ELNS1_3gpuE2ELNS1_3repE0EEENS1_47radix_sort_onesweep_sort_config_static_selectorELNS0_4arch9wavefront6targetE1EEEvSD_
		.amdhsa_group_segment_fixed_size 0
		.amdhsa_private_segment_fixed_size 0
		.amdhsa_kernarg_size 88
		.amdhsa_user_sgpr_count 6
		.amdhsa_user_sgpr_private_segment_buffer 1
		.amdhsa_user_sgpr_dispatch_ptr 0
		.amdhsa_user_sgpr_queue_ptr 0
		.amdhsa_user_sgpr_kernarg_segment_ptr 1
		.amdhsa_user_sgpr_dispatch_id 0
		.amdhsa_user_sgpr_flat_scratch_init 0
		.amdhsa_user_sgpr_kernarg_preload_length 0
		.amdhsa_user_sgpr_kernarg_preload_offset 0
		.amdhsa_user_sgpr_private_segment_size 0
		.amdhsa_uses_dynamic_stack 0
		.amdhsa_system_sgpr_private_segment_wavefront_offset 0
		.amdhsa_system_sgpr_workgroup_id_x 1
		.amdhsa_system_sgpr_workgroup_id_y 0
		.amdhsa_system_sgpr_workgroup_id_z 0
		.amdhsa_system_sgpr_workgroup_info 0
		.amdhsa_system_vgpr_workitem_id 0
		.amdhsa_next_free_vgpr 1
		.amdhsa_next_free_sgpr 0
		.amdhsa_accum_offset 4
		.amdhsa_reserve_vcc 0
		.amdhsa_reserve_flat_scratch 0
		.amdhsa_float_round_mode_32 0
		.amdhsa_float_round_mode_16_64 0
		.amdhsa_float_denorm_mode_32 3
		.amdhsa_float_denorm_mode_16_64 3
		.amdhsa_dx10_clamp 1
		.amdhsa_ieee_mode 1
		.amdhsa_fp16_overflow 0
		.amdhsa_tg_split 0
		.amdhsa_exception_fp_ieee_invalid_op 0
		.amdhsa_exception_fp_denorm_src 0
		.amdhsa_exception_fp_ieee_div_zero 0
		.amdhsa_exception_fp_ieee_overflow 0
		.amdhsa_exception_fp_ieee_underflow 0
		.amdhsa_exception_fp_ieee_inexact 0
		.amdhsa_exception_int_div_zero 0
	.end_amdhsa_kernel
	.section	.text._ZN7rocprim17ROCPRIM_400000_NS6detail17trampoline_kernelINS0_14default_configENS1_35radix_sort_onesweep_config_selectorIjyEEZZNS1_29radix_sort_onesweep_iterationIS3_Lb0EPjS7_PyS8_jNS0_19identity_decomposerENS1_16block_id_wrapperIjLb0EEEEE10hipError_tT1_PNSt15iterator_traitsISD_E10value_typeET2_T3_PNSE_ISJ_E10value_typeET4_T5_PSO_SP_PNS1_23onesweep_lookback_stateEbbT6_jjT7_P12ihipStream_tbENKUlT_T0_SD_SI_E_clIS7_S7_S8_S8_EEDaSW_SX_SD_SI_EUlSW_E_NS1_11comp_targetILNS1_3genE8ELNS1_11target_archE1030ELNS1_3gpuE2ELNS1_3repE0EEENS1_47radix_sort_onesweep_sort_config_static_selectorELNS0_4arch9wavefront6targetE1EEEvSD_,"axG",@progbits,_ZN7rocprim17ROCPRIM_400000_NS6detail17trampoline_kernelINS0_14default_configENS1_35radix_sort_onesweep_config_selectorIjyEEZZNS1_29radix_sort_onesweep_iterationIS3_Lb0EPjS7_PyS8_jNS0_19identity_decomposerENS1_16block_id_wrapperIjLb0EEEEE10hipError_tT1_PNSt15iterator_traitsISD_E10value_typeET2_T3_PNSE_ISJ_E10value_typeET4_T5_PSO_SP_PNS1_23onesweep_lookback_stateEbbT6_jjT7_P12ihipStream_tbENKUlT_T0_SD_SI_E_clIS7_S7_S8_S8_EEDaSW_SX_SD_SI_EUlSW_E_NS1_11comp_targetILNS1_3genE8ELNS1_11target_archE1030ELNS1_3gpuE2ELNS1_3repE0EEENS1_47radix_sort_onesweep_sort_config_static_selectorELNS0_4arch9wavefront6targetE1EEEvSD_,comdat
.Lfunc_end561:
	.size	_ZN7rocprim17ROCPRIM_400000_NS6detail17trampoline_kernelINS0_14default_configENS1_35radix_sort_onesweep_config_selectorIjyEEZZNS1_29radix_sort_onesweep_iterationIS3_Lb0EPjS7_PyS8_jNS0_19identity_decomposerENS1_16block_id_wrapperIjLb0EEEEE10hipError_tT1_PNSt15iterator_traitsISD_E10value_typeET2_T3_PNSE_ISJ_E10value_typeET4_T5_PSO_SP_PNS1_23onesweep_lookback_stateEbbT6_jjT7_P12ihipStream_tbENKUlT_T0_SD_SI_E_clIS7_S7_S8_S8_EEDaSW_SX_SD_SI_EUlSW_E_NS1_11comp_targetILNS1_3genE8ELNS1_11target_archE1030ELNS1_3gpuE2ELNS1_3repE0EEENS1_47radix_sort_onesweep_sort_config_static_selectorELNS0_4arch9wavefront6targetE1EEEvSD_, .Lfunc_end561-_ZN7rocprim17ROCPRIM_400000_NS6detail17trampoline_kernelINS0_14default_configENS1_35radix_sort_onesweep_config_selectorIjyEEZZNS1_29radix_sort_onesweep_iterationIS3_Lb0EPjS7_PyS8_jNS0_19identity_decomposerENS1_16block_id_wrapperIjLb0EEEEE10hipError_tT1_PNSt15iterator_traitsISD_E10value_typeET2_T3_PNSE_ISJ_E10value_typeET4_T5_PSO_SP_PNS1_23onesweep_lookback_stateEbbT6_jjT7_P12ihipStream_tbENKUlT_T0_SD_SI_E_clIS7_S7_S8_S8_EEDaSW_SX_SD_SI_EUlSW_E_NS1_11comp_targetILNS1_3genE8ELNS1_11target_archE1030ELNS1_3gpuE2ELNS1_3repE0EEENS1_47radix_sort_onesweep_sort_config_static_selectorELNS0_4arch9wavefront6targetE1EEEvSD_
                                        ; -- End function
	.section	.AMDGPU.csdata,"",@progbits
; Kernel info:
; codeLenInByte = 0
; NumSgprs: 4
; NumVgprs: 0
; NumAgprs: 0
; TotalNumVgprs: 0
; ScratchSize: 0
; MemoryBound: 0
; FloatMode: 240
; IeeeMode: 1
; LDSByteSize: 0 bytes/workgroup (compile time only)
; SGPRBlocks: 0
; VGPRBlocks: 0
; NumSGPRsForWavesPerEU: 4
; NumVGPRsForWavesPerEU: 1
; AccumOffset: 4
; Occupancy: 8
; WaveLimiterHint : 0
; COMPUTE_PGM_RSRC2:SCRATCH_EN: 0
; COMPUTE_PGM_RSRC2:USER_SGPR: 6
; COMPUTE_PGM_RSRC2:TRAP_HANDLER: 0
; COMPUTE_PGM_RSRC2:TGID_X_EN: 1
; COMPUTE_PGM_RSRC2:TGID_Y_EN: 0
; COMPUTE_PGM_RSRC2:TGID_Z_EN: 0
; COMPUTE_PGM_RSRC2:TIDIG_COMP_CNT: 0
; COMPUTE_PGM_RSRC3_GFX90A:ACCUM_OFFSET: 0
; COMPUTE_PGM_RSRC3_GFX90A:TG_SPLIT: 0
	.section	.text._ZN6thrust23THRUST_200600_302600_NS11hip_rocprim14__parallel_for6kernelILj256ENS1_10__tabulate7functorIPjNS0_6system6detail7generic6detail22compute_sequence_valueIivEElEElLj1EEEvT0_T1_SF_,"axG",@progbits,_ZN6thrust23THRUST_200600_302600_NS11hip_rocprim14__parallel_for6kernelILj256ENS1_10__tabulate7functorIPjNS0_6system6detail7generic6detail22compute_sequence_valueIivEElEElLj1EEEvT0_T1_SF_,comdat
	.protected	_ZN6thrust23THRUST_200600_302600_NS11hip_rocprim14__parallel_for6kernelILj256ENS1_10__tabulate7functorIPjNS0_6system6detail7generic6detail22compute_sequence_valueIivEElEElLj1EEEvT0_T1_SF_ ; -- Begin function _ZN6thrust23THRUST_200600_302600_NS11hip_rocprim14__parallel_for6kernelILj256ENS1_10__tabulate7functorIPjNS0_6system6detail7generic6detail22compute_sequence_valueIivEElEElLj1EEEvT0_T1_SF_
	.globl	_ZN6thrust23THRUST_200600_302600_NS11hip_rocprim14__parallel_for6kernelILj256ENS1_10__tabulate7functorIPjNS0_6system6detail7generic6detail22compute_sequence_valueIivEElEElLj1EEEvT0_T1_SF_
	.p2align	8
	.type	_ZN6thrust23THRUST_200600_302600_NS11hip_rocprim14__parallel_for6kernelILj256ENS1_10__tabulate7functorIPjNS0_6system6detail7generic6detail22compute_sequence_valueIivEElEElLj1EEEvT0_T1_SF_,@function
_ZN6thrust23THRUST_200600_302600_NS11hip_rocprim14__parallel_for6kernelILj256ENS1_10__tabulate7functorIPjNS0_6system6detail7generic6detail22compute_sequence_valueIivEElEElLj1EEEvT0_T1_SF_: ; @_ZN6thrust23THRUST_200600_302600_NS11hip_rocprim14__parallel_for6kernelILj256ENS1_10__tabulate7functorIPjNS0_6system6detail7generic6detail22compute_sequence_valueIivEElEElLj1EEEvT0_T1_SF_
; %bb.0:
	s_load_dwordx4 s[8:11], s[4:5], 0x10
	s_lshl_b32 s0, s6, 8
	v_mov_b32_e32 v2, 0x100
	v_mov_b32_e32 v3, 0
	s_waitcnt lgkmcnt(0)
	s_add_u32 s0, s0, s10
	s_addc_u32 s1, 0, s11
	s_sub_u32 s2, s8, s0
	s_subb_u32 s3, s9, s1
	v_cmp_lt_i64_e32 vcc, s[2:3], v[2:3]
	s_and_b64 s[6:7], vcc, exec
	s_cselect_b32 s6, s2, 0x100
	s_cmpk_eq_i32 s6, 0x100
	s_cselect_b64 s[2:3], -1, 0
	v_cmp_gt_u32_e32 vcc, s6, v0
	s_or_b64 s[2:3], s[2:3], vcc
	s_and_saveexec_b64 s[6:7], s[2:3]
	s_cbranch_execz .LBB562_2
; %bb.1:
	s_load_dwordx4 s[4:7], s[4:5], 0x0
	v_mov_b32_e32 v1, s1
	v_add_co_u32_e32 v0, vcc, s0, v0
	v_addc_co_u32_e32 v1, vcc, 0, v1, vcc
	s_waitcnt lgkmcnt(0)
	v_mul_lo_u32 v2, s7, v0
	v_lshlrev_b64 v[0:1], 2, v[0:1]
	v_mov_b32_e32 v3, s5
	v_add_co_u32_e32 v0, vcc, s4, v0
	v_add_u32_e32 v2, s6, v2
	v_addc_co_u32_e32 v1, vcc, v3, v1, vcc
	global_store_dword v[0:1], v2, off
.LBB562_2:
	s_endpgm
	.section	.rodata,"a",@progbits
	.p2align	6, 0x0
	.amdhsa_kernel _ZN6thrust23THRUST_200600_302600_NS11hip_rocprim14__parallel_for6kernelILj256ENS1_10__tabulate7functorIPjNS0_6system6detail7generic6detail22compute_sequence_valueIivEElEElLj1EEEvT0_T1_SF_
		.amdhsa_group_segment_fixed_size 0
		.amdhsa_private_segment_fixed_size 0
		.amdhsa_kernarg_size 32
		.amdhsa_user_sgpr_count 6
		.amdhsa_user_sgpr_private_segment_buffer 1
		.amdhsa_user_sgpr_dispatch_ptr 0
		.amdhsa_user_sgpr_queue_ptr 0
		.amdhsa_user_sgpr_kernarg_segment_ptr 1
		.amdhsa_user_sgpr_dispatch_id 0
		.amdhsa_user_sgpr_flat_scratch_init 0
		.amdhsa_user_sgpr_kernarg_preload_length 0
		.amdhsa_user_sgpr_kernarg_preload_offset 0
		.amdhsa_user_sgpr_private_segment_size 0
		.amdhsa_uses_dynamic_stack 0
		.amdhsa_system_sgpr_private_segment_wavefront_offset 0
		.amdhsa_system_sgpr_workgroup_id_x 1
		.amdhsa_system_sgpr_workgroup_id_y 0
		.amdhsa_system_sgpr_workgroup_id_z 0
		.amdhsa_system_sgpr_workgroup_info 0
		.amdhsa_system_vgpr_workitem_id 0
		.amdhsa_next_free_vgpr 4
		.amdhsa_next_free_sgpr 12
		.amdhsa_accum_offset 4
		.amdhsa_reserve_vcc 1
		.amdhsa_reserve_flat_scratch 0
		.amdhsa_float_round_mode_32 0
		.amdhsa_float_round_mode_16_64 0
		.amdhsa_float_denorm_mode_32 3
		.amdhsa_float_denorm_mode_16_64 3
		.amdhsa_dx10_clamp 1
		.amdhsa_ieee_mode 1
		.amdhsa_fp16_overflow 0
		.amdhsa_tg_split 0
		.amdhsa_exception_fp_ieee_invalid_op 0
		.amdhsa_exception_fp_denorm_src 0
		.amdhsa_exception_fp_ieee_div_zero 0
		.amdhsa_exception_fp_ieee_overflow 0
		.amdhsa_exception_fp_ieee_underflow 0
		.amdhsa_exception_fp_ieee_inexact 0
		.amdhsa_exception_int_div_zero 0
	.end_amdhsa_kernel
	.section	.text._ZN6thrust23THRUST_200600_302600_NS11hip_rocprim14__parallel_for6kernelILj256ENS1_10__tabulate7functorIPjNS0_6system6detail7generic6detail22compute_sequence_valueIivEElEElLj1EEEvT0_T1_SF_,"axG",@progbits,_ZN6thrust23THRUST_200600_302600_NS11hip_rocprim14__parallel_for6kernelILj256ENS1_10__tabulate7functorIPjNS0_6system6detail7generic6detail22compute_sequence_valueIivEElEElLj1EEEvT0_T1_SF_,comdat
.Lfunc_end562:
	.size	_ZN6thrust23THRUST_200600_302600_NS11hip_rocprim14__parallel_for6kernelILj256ENS1_10__tabulate7functorIPjNS0_6system6detail7generic6detail22compute_sequence_valueIivEElEElLj1EEEvT0_T1_SF_, .Lfunc_end562-_ZN6thrust23THRUST_200600_302600_NS11hip_rocprim14__parallel_for6kernelILj256ENS1_10__tabulate7functorIPjNS0_6system6detail7generic6detail22compute_sequence_valueIivEElEElLj1EEEvT0_T1_SF_
                                        ; -- End function
	.section	.AMDGPU.csdata,"",@progbits
; Kernel info:
; codeLenInByte = 152
; NumSgprs: 16
; NumVgprs: 4
; NumAgprs: 0
; TotalNumVgprs: 4
; ScratchSize: 0
; MemoryBound: 0
; FloatMode: 240
; IeeeMode: 1
; LDSByteSize: 0 bytes/workgroup (compile time only)
; SGPRBlocks: 1
; VGPRBlocks: 0
; NumSGPRsForWavesPerEU: 16
; NumVGPRsForWavesPerEU: 4
; AccumOffset: 4
; Occupancy: 8
; WaveLimiterHint : 0
; COMPUTE_PGM_RSRC2:SCRATCH_EN: 0
; COMPUTE_PGM_RSRC2:USER_SGPR: 6
; COMPUTE_PGM_RSRC2:TRAP_HANDLER: 0
; COMPUTE_PGM_RSRC2:TGID_X_EN: 1
; COMPUTE_PGM_RSRC2:TGID_Y_EN: 0
; COMPUTE_PGM_RSRC2:TGID_Z_EN: 0
; COMPUTE_PGM_RSRC2:TIDIG_COMP_CNT: 0
; COMPUTE_PGM_RSRC3_GFX90A:ACCUM_OFFSET: 0
; COMPUTE_PGM_RSRC3_GFX90A:TG_SPLIT: 0
	.section	.text._Z29insert_batch_no_update_kernelIjjEvPT_PT0_PKS0_PKS2_ii,"axG",@progbits,_Z29insert_batch_no_update_kernelIjjEvPT_PT0_PKS0_PKS2_ii,comdat
	.protected	_Z29insert_batch_no_update_kernelIjjEvPT_PT0_PKS0_PKS2_ii ; -- Begin function _Z29insert_batch_no_update_kernelIjjEvPT_PT0_PKS0_PKS2_ii
	.globl	_Z29insert_batch_no_update_kernelIjjEvPT_PT0_PKS0_PKS2_ii
	.p2align	8
	.type	_Z29insert_batch_no_update_kernelIjjEvPT_PT0_PKS0_PKS2_ii,@function
_Z29insert_batch_no_update_kernelIjjEvPT_PT0_PKS0_PKS2_ii: ; @_Z29insert_batch_no_update_kernelIjjEvPT_PT0_PKS0_PKS2_ii
; %bb.0:
	s_load_dword s0, s[4:5], 0x34
	s_load_dwordx2 s[8:9], s[4:5], 0x20
	s_waitcnt lgkmcnt(0)
	s_and_b32 s0, s0, 0xffff
	s_mul_i32 s6, s6, s0
	v_add_u32_e32 v0, s6, v0
	v_cmp_gt_i32_e32 vcc, s8, v0
	s_and_saveexec_b64 s[0:1], vcc
	s_cbranch_execz .LBB563_9
; %bb.1:
	s_load_dwordx8 s[0:7], s[4:5], 0x0
	v_ashrrev_i32_e32 v1, 31, v0
	v_lshlrev_b64 v[2:3], 2, v[0:1]
	s_sub_i32 s8, 0, s9
	s_waitcnt lgkmcnt(0)
	v_mov_b32_e32 v1, s5
	v_add_co_u32_e32 v0, vcc, s4, v2
	v_addc_co_u32_e32 v1, vcc, v1, v3, vcc
	global_load_dword v0, v[0:1], off
	v_mov_b32_e32 v1, s7
	v_add_co_u32_e32 v2, vcc, s6, v2
	v_addc_co_u32_e32 v3, vcc, v1, v3, vcc
	global_load_dword v6, v[2:3], off
	v_cvt_f32_u32_e32 v1, s9
	s_mov_b32 s6, 0x85ebca6b
	s_mov_b32 s7, 0xc2b2ae35
	v_mov_b32_e32 v3, 0
	v_rcp_iflag_f32_e32 v1, v1
	s_mov_b64 s[4:5], 0
	v_mov_b32_e32 v7, s1
	v_mul_f32_e32 v1, 0x4f7ffffe, v1
	v_cvt_u32_f32_e32 v1, v1
	v_mul_lo_u32 v2, s8, v1
	v_mul_hi_u32 v2, v1, v2
	v_add_u32_e32 v8, v1, v2
	s_waitcnt vmcnt(1)
	v_xor_b32_sdwa v1, v0, v0 dst_sel:DWORD dst_unused:UNUSED_PAD src0_sel:WORD_1 src1_sel:DWORD
	v_mul_lo_u32 v1, v1, s6
	v_lshrrev_b32_e32 v2, 13, v1
	v_xor_b32_e32 v1, v2, v1
	v_mul_lo_u32 v1, v1, s7
	v_xor_b32_sdwa v1, v1, v1 dst_sel:DWORD dst_unused:UNUSED_PAD src0_sel:WORD_1 src1_sel:DWORD
	v_mul_hi_u32 v2, v1, v8
	v_mul_lo_u32 v2, v2, s9
	v_sub_u32_e32 v1, v1, v2
	v_subrev_u32_e32 v2, s9, v1
	v_cmp_le_u32_e32 vcc, s9, v1
	v_cndmask_b32_e32 v1, v1, v2, vcc
	v_subrev_u32_e32 v2, s9, v1
	v_cmp_le_u32_e32 vcc, s9, v1
	v_cndmask_b32_e32 v2, v1, v2, vcc
	v_mov_b32_e32 v1, -1
	s_branch .LBB563_3
.LBB563_2:                              ;   in Loop: Header=BB563_3 Depth=1
	s_or_b64 exec, exec, s[10:11]
	s_xor_b64 s[6:7], s[6:7], -1
	s_and_b64 s[6:7], exec, s[6:7]
	s_or_b64 s[4:5], s[6:7], s[4:5]
	s_andn2_b64 exec, exec, s[4:5]
	s_cbranch_execz .LBB563_9
.LBB563_3:                              ; =>This Inner Loop Header: Depth=1
	v_lshlrev_b64 v[4:5], 2, v[2:3]
	v_add_co_u32_e32 v10, vcc, s0, v4
	v_addc_co_u32_e32 v11, vcc, v7, v5, vcc
	global_atomic_cmpswap v9, v[10:11], v[0:1], off glc
                                        ; implicit-def: $sgpr6_sgpr7
	s_waitcnt vmcnt(0)
	v_cmp_ne_u32_e32 vcc, -1, v9
	s_and_saveexec_b64 s[10:11], vcc
	s_xor_b64 s[10:11], exec, s[10:11]
	s_cbranch_execz .LBB563_7
; %bb.4:                                ;   in Loop: Header=BB563_3 Depth=1
	v_cmp_ne_u32_e32 vcc, v9, v0
	s_mov_b64 s[6:7], 0
	s_and_saveexec_b64 s[12:13], vcc
; %bb.5:                                ;   in Loop: Header=BB563_3 Depth=1
	v_add_u32_e32 v2, 1, v2
	v_mul_hi_u32 v4, v2, v8
	v_mul_lo_u32 v4, v4, s9
	v_sub_u32_e32 v2, v2, v4
	v_subrev_u32_e32 v4, s9, v2
	v_cmp_le_u32_e32 vcc, s9, v2
	v_cndmask_b32_e32 v2, v2, v4, vcc
	v_subrev_u32_e32 v4, s9, v2
	v_cmp_le_u32_e32 vcc, s9, v2
	s_mov_b64 s[6:7], exec
	v_cndmask_b32_e32 v2, v2, v4, vcc
; %bb.6:                                ;   in Loop: Header=BB563_3 Depth=1
	s_or_b64 exec, exec, s[12:13]
	s_and_b64 s[6:7], s[6:7], exec
                                        ; implicit-def: $vgpr4_vgpr5
.LBB563_7:                              ;   in Loop: Header=BB563_3 Depth=1
	s_andn2_saveexec_b64 s[10:11], s[10:11]
	s_cbranch_execz .LBB563_2
; %bb.8:                                ;   in Loop: Header=BB563_3 Depth=1
	v_mov_b32_e32 v9, s3
	v_add_co_u32_e32 v4, vcc, s2, v4
	v_addc_co_u32_e32 v5, vcc, v9, v5, vcc
	s_andn2_b64 s[6:7], s[6:7], exec
	global_store_dword v[4:5], v6, off
	s_branch .LBB563_2
.LBB563_9:
	s_endpgm
	.section	.rodata,"a",@progbits
	.p2align	6, 0x0
	.amdhsa_kernel _Z29insert_batch_no_update_kernelIjjEvPT_PT0_PKS0_PKS2_ii
		.amdhsa_group_segment_fixed_size 0
		.amdhsa_private_segment_fixed_size 0
		.amdhsa_kernarg_size 296
		.amdhsa_user_sgpr_count 6
		.amdhsa_user_sgpr_private_segment_buffer 1
		.amdhsa_user_sgpr_dispatch_ptr 0
		.amdhsa_user_sgpr_queue_ptr 0
		.amdhsa_user_sgpr_kernarg_segment_ptr 1
		.amdhsa_user_sgpr_dispatch_id 0
		.amdhsa_user_sgpr_flat_scratch_init 0
		.amdhsa_user_sgpr_kernarg_preload_length 0
		.amdhsa_user_sgpr_kernarg_preload_offset 0
		.amdhsa_user_sgpr_private_segment_size 0
		.amdhsa_uses_dynamic_stack 0
		.amdhsa_system_sgpr_private_segment_wavefront_offset 0
		.amdhsa_system_sgpr_workgroup_id_x 1
		.amdhsa_system_sgpr_workgroup_id_y 0
		.amdhsa_system_sgpr_workgroup_id_z 0
		.amdhsa_system_sgpr_workgroup_info 0
		.amdhsa_system_vgpr_workitem_id 0
		.amdhsa_next_free_vgpr 12
		.amdhsa_next_free_sgpr 14
		.amdhsa_accum_offset 12
		.amdhsa_reserve_vcc 1
		.amdhsa_reserve_flat_scratch 0
		.amdhsa_float_round_mode_32 0
		.amdhsa_float_round_mode_16_64 0
		.amdhsa_float_denorm_mode_32 3
		.amdhsa_float_denorm_mode_16_64 3
		.amdhsa_dx10_clamp 1
		.amdhsa_ieee_mode 1
		.amdhsa_fp16_overflow 0
		.amdhsa_tg_split 0
		.amdhsa_exception_fp_ieee_invalid_op 0
		.amdhsa_exception_fp_denorm_src 0
		.amdhsa_exception_fp_ieee_div_zero 0
		.amdhsa_exception_fp_ieee_overflow 0
		.amdhsa_exception_fp_ieee_underflow 0
		.amdhsa_exception_fp_ieee_inexact 0
		.amdhsa_exception_int_div_zero 0
	.end_amdhsa_kernel
	.section	.text._Z29insert_batch_no_update_kernelIjjEvPT_PT0_PKS0_PKS2_ii,"axG",@progbits,_Z29insert_batch_no_update_kernelIjjEvPT_PT0_PKS0_PKS2_ii,comdat
.Lfunc_end563:
	.size	_Z29insert_batch_no_update_kernelIjjEvPT_PT0_PKS0_PKS2_ii, .Lfunc_end563-_Z29insert_batch_no_update_kernelIjjEvPT_PT0_PKS0_PKS2_ii
                                        ; -- End function
	.section	.AMDGPU.csdata,"",@progbits
; Kernel info:
; codeLenInByte = 460
; NumSgprs: 18
; NumVgprs: 12
; NumAgprs: 0
; TotalNumVgprs: 12
; ScratchSize: 0
; MemoryBound: 0
; FloatMode: 240
; IeeeMode: 1
; LDSByteSize: 0 bytes/workgroup (compile time only)
; SGPRBlocks: 2
; VGPRBlocks: 1
; NumSGPRsForWavesPerEU: 18
; NumVGPRsForWavesPerEU: 12
; AccumOffset: 12
; Occupancy: 8
; WaveLimiterHint : 0
; COMPUTE_PGM_RSRC2:SCRATCH_EN: 0
; COMPUTE_PGM_RSRC2:USER_SGPR: 6
; COMPUTE_PGM_RSRC2:TRAP_HANDLER: 0
; COMPUTE_PGM_RSRC2:TGID_X_EN: 1
; COMPUTE_PGM_RSRC2:TGID_Y_EN: 0
; COMPUTE_PGM_RSRC2:TGID_Z_EN: 0
; COMPUTE_PGM_RSRC2:TIDIG_COMP_CNT: 0
; COMPUTE_PGM_RSRC3_GFX90A:ACCUM_OFFSET: 2
; COMPUTE_PGM_RSRC3_GFX90A:TG_SPLIT: 0
	.text
	.p2alignl 6, 3212836864
	.fill 256, 4, 3212836864
	.type	__const.__assert_fail.fmt,@object ; @__const.__assert_fail.fmt
	.section	.rodata.str1.16,"aMS",@progbits,1
	.p2align	4, 0x0
__const.__assert_fail.fmt:
	.asciz	"%s:%u: %s: Device-side assertion `%s' failed.\n"
	.size	__const.__assert_fail.fmt, 47

	.protected	isEnd.managed           ; @isEnd.managed
	.type	isEnd.managed,@object
	.section	.bss,"aw",@nobits
	.globl	isEnd.managed
	.p2align	2, 0x0
isEnd.managed:
	.long	0                               ; 0x0
	.size	isEnd.managed, 4

	.type	.str,@object                    ; @.str
	.section	.rodata.str1.1,"aMS",@progbits,1
.str:
	.asciz	"length >= 0"
	.size	.str, 12

	.type	.str.1,@object                  ; @.str.1
.str.1:
	.asciz	"/root/src/amdgpu-assembly/repos/zjin-lcf__HeCBench/src/logic-rewrite-hip/balance.cu"
	.size	.str.1, 84

	.type	__PRETTY_FUNCTION__._Z19prepareDataToInsertPiS_S_PyPjS_S1_PKyPKjiS5_S5_iiiiii,@object ; @__PRETTY_FUNCTION__._Z19prepareDataToInsertPiS_S_PyPjS_S1_PKyPKjiS5_S5_iiiiii
__PRETTY_FUNCTION__._Z19prepareDataToInsertPiS_S_PyPjS_S1_PKyPKjiS5_S5_iiiiii:
	.asciz	"void prepareDataToInsert(int *, int *, int *, uint64 *, uint32 *, int *, uint32 *, const uint64 *, const uint32 *, const int, const uint32 *, const uint32 *, const int, const int, const int, const int, const int, const int)"
	.size	__PRETTY_FUNCTION__._Z19prepareDataToInsertPiS_S_PyPjS_S1_PKyPKjiS5_S5_iiiiii, 224

	.type	.str.2,@object                  ; @.str.2
.str.2:
	.asciz	"retrieveRes != (HASHTABLE_EMPTY_VALUE<uint32, uint32>)"
	.size	.str.2, 55

	.type	.str.3,@object                  ; @.str.3
.str.3:
	.asciz	"vLocalReconstructLevels[localArrayStartIdx + leftMostIdx] == borderLevel"
	.size	.str.3, 73

	.type	__PRETTY_FUNCTION__._Z23sharedNodeDrivenPermutePiS_S_PKyPKjiii,@object ; @__PRETTY_FUNCTION__._Z23sharedNodeDrivenPermutePiS_S_PKyPKjiii
__PRETTY_FUNCTION__._Z23sharedNodeDrivenPermutePiS_S_PKyPKjiii:
	.asciz	"void sharedNodeDrivenPermute(int *, int *, int *, const uint64 *, const uint32 *, const int, const int, const int)"
	.size	__PRETTY_FUNCTION__._Z23sharedNodeDrivenPermutePiS_S_PKyPKjiii, 115

	.type	.str.4,@object                  ; @.str.4
.str.4:
	.asciz	"leftMostIdx <= rightBoundIdx"
	.size	.str.4, 29

	.type	.str.5,@object                  ; @.str.5
.str.5:
	.asciz	"length <= maxCoverLen"
	.size	.str.5, 22

	.type	__PRETTY_FUNCTION__._Z24prepareReconstructArraysPKiS0_S0_S0_S0_S0_S0_PKjS2_iPiS3_S3_iiii,@object ; @__PRETTY_FUNCTION__._Z24prepareReconstructArraysPKiS0_S0_S0_S0_S0_S0_PKjS2_iPiS3_S3_iiii
__PRETTY_FUNCTION__._Z24prepareReconstructArraysPKiS0_S0_S0_S0_S0_S0_PKjS2_iPiS3_S3_iiii:
	.asciz	"void prepareReconstructArrays(const int *, const int *, const int *, const int *, const int *, const int *, const int *, const uint32 *, const uint32 *, const int, int *, int *, int *, const int, const int, const int, const int)"
	.size	__PRETTY_FUNCTION__._Z24prepareReconstructArraysPKiS0_S0_S0_S0_S0_S0_PKjS2_iPiS3_S3_iiii, 229

	.type	.str.6,@object                  ; @.str.6
.str.6:
	.asciz	"vLocalReconstructLens[idx] == 1"
	.size	.str.6, 32

	.type	__PRETTY_FUNCTION__._Z25recordReconstructedCoversPKiS0_S0_S0_Piii,@object ; @__PRETTY_FUNCTION__._Z25recordReconstructedCoversPKiS0_S0_S0_Piii
__PRETTY_FUNCTION__._Z25recordReconstructedCoversPKiS0_S0_S0_Piii:
	.asciz	"void recordReconstructedCovers(const int *, const int *, const int *, const int *, int *, const int, const int)"
	.size	__PRETTY_FUNCTION__._Z25recordReconstructedCoversPKiS0_S0_S0_Piii, 112

	.type	.str.7,@object                  ; @.str.7
.str.7:
	.asciz	"vCoverTableLinks[checkCurrRowIdx] > checkCurrRowIdx"
	.size	.str.7, 52

	.type	__PRETTY_FUNCTION__._Z21localCoverTravToTableiPKiS0_S0_PiS1_S1_S1_S1_i,@object ; @__PRETTY_FUNCTION__._Z21localCoverTravToTableiPKiS0_S0_PiS1_S1_S1_S1_i
__PRETTY_FUNCTION__._Z21localCoverTravToTableiPKiS0_S0_PiS1_S1_S1_S1_i:
	.asciz	"int localCoverTravToTable(int, const int *, const int *, const int *, int *, int *, int *, int *, int *, const int)"
	.size	__PRETTY_FUNCTION__._Z21localCoverTravToTableiPKiS0_S0_PiS1_S1_S1_S1_i, 116

	.type	.str.8,@object                  ; @.str.8
.str.8:
	.asciz	"stackTop < DFS_COVER_STACK_SIZE"
	.size	.str.8, 32

	.type	.str.9,@object                  ; @.str.9
.str.9:
	.asciz	"superLen > 1"
	.size	.str.9, 13

	.type	__PRETTY_FUNCTION__._Z19coverFindingToTablePiS_S_PKiS1_S1_S_S_S_S_iii,@object ; @__PRETTY_FUNCTION__._Z19coverFindingToTablePiS_S_PKiS1_S1_S_S_S_S_iii
__PRETTY_FUNCTION__._Z19coverFindingToTablePiS_S_PKiS1_S1_S_S_S_S_iii:
	.asciz	"void coverFindingToTable(int *, int *, int *, const int *, const int *, const int *, int *, int *, int *, int *, const int, const int, const int)"
	.size	__PRETTY_FUNCTION__._Z19coverFindingToTablePiS_S_PKiS1_S1_S_S_S_S_iii, 146

	.type	.str.10,@object                 ; @.str.10
.str.10:
	.asciz	"superLen <= MAX_LOCAL_COVER_SIZE"
	.size	.str.10, 33

	.type	.str.11,@object                 ; @.str.11
.str.11:
	.asciz	"*** Max Level: %d\n"
	.size	.str.11, 19

	.type	.str.12,@object                 ; @.str.12
.str.12:
	.asciz	"newId0 != (HASHTABLE_EMPTY_VALUE<uint32, uint32>)"
	.size	.str.12, 50

	.type	__PRETTY_FUNCTION__._Z14parseOutputResPKyPKjS2_iPiS3_S3_ii,@object ; @__PRETTY_FUNCTION__._Z14parseOutputResPKyPKjS2_iPiS3_S3_ii
__PRETTY_FUNCTION__._Z14parseOutputResPKyPKjS2_iPiS3_S3_ii:
	.asciz	"void parseOutputRes(const uint64 *, const uint32 *, const uint32 *, const int, int *, int *, int *, const int, const int)"
	.size	__PRETTY_FUNCTION__._Z14parseOutputResPKyPKjS2_iPiS3_S3_ii, 122

	.type	.str.13,@object                 ; @.str.13
.str.13:
	.asciz	"newId1 != (HASHTABLE_EMPTY_VALUE<uint32, uint32>)"
	.size	.str.13, 50

	.type	.str.14,@object                 ; @.str.14
.str.14:
	.asciz	"newLit != -1"
	.size	.str.14, 13

	.type	__PRETTY_FUNCTION__._Z9processPOPKiS0_S0_PKjS2_iPiS3_ii,@object ; @__PRETTY_FUNCTION__._Z9processPOPKiS0_S0_PKjS2_iPiS3_ii
__PRETTY_FUNCTION__._Z9processPOPKiS0_S0_PKjS2_iPiS3_ii:
	.asciz	"void processPO(const int *, const int *, const int *, const uint32 *, const uint32 *, const int, int *, int *, const int, const int)"
	.size	__PRETTY_FUNCTION__._Z9processPOPKiS0_S0_PKjS2_iPiS3_ii, 133

	.type	.str.15,@object                 ; @.str.15
.str.15:
	.asciz	"oldId: %d, coverId: %d, newLit: %d\n"
	.size	.str.15, 36

	.type	.str.16,@object                 ; @.str.16
.str.16:
	.asciz	"dUtils::AigIsPIConst(outId, nPIs)"
	.size	.str.16, 34

	.type	.str.17,@object                 ; @.str.17
.str.17:
	.asciz	"outId != (HASHTABLE_EMPTY_VALUE<uint32, uint32>)"
	.size	.str.17, 49

	.type	.str.18,@object                 ; @.str.18
.str.18:
	.asciz	"temporary_buffer::allocate: get_temporary_buffer failed"
	.size	.str.18, 56

	.type	.str.19,@object                 ; @.str.19
.str.19:
	.asciz	"%s\n"
	.size	.str.19, 4

	.protected	_ZN7rocprim17ROCPRIM_400000_NS16block_radix_sortIiLj256ELj4EiLj1ELj1ELj0ELNS0_26block_radix_rank_algorithmE1ELNS0_18block_padding_hintE2ELNS0_4arch9wavefront6targetE1EE19radix_bits_per_passE ; @_ZN7rocprim17ROCPRIM_400000_NS16block_radix_sortIiLj256ELj4EiLj1ELj1ELj0ELNS0_26block_radix_rank_algorithmE1ELNS0_18block_padding_hintE2ELNS0_4arch9wavefront6targetE1EE19radix_bits_per_passE
	.type	_ZN7rocprim17ROCPRIM_400000_NS16block_radix_sortIiLj256ELj4EiLj1ELj1ELj0ELNS0_26block_radix_rank_algorithmE1ELNS0_18block_padding_hintE2ELNS0_4arch9wavefront6targetE1EE19radix_bits_per_passE,@object
	.section	.rodata._ZN7rocprim17ROCPRIM_400000_NS16block_radix_sortIiLj256ELj4EiLj1ELj1ELj0ELNS0_26block_radix_rank_algorithmE1ELNS0_18block_padding_hintE2ELNS0_4arch9wavefront6targetE1EE19radix_bits_per_passE,"aG",@progbits,_ZN7rocprim17ROCPRIM_400000_NS16block_radix_sortIiLj256ELj4EiLj1ELj1ELj0ELNS0_26block_radix_rank_algorithmE1ELNS0_18block_padding_hintE2ELNS0_4arch9wavefront6targetE1EE19radix_bits_per_passE,comdat
	.weak	_ZN7rocprim17ROCPRIM_400000_NS16block_radix_sortIiLj256ELj4EiLj1ELj1ELj0ELNS0_26block_radix_rank_algorithmE1ELNS0_18block_padding_hintE2ELNS0_4arch9wavefront6targetE1EE19radix_bits_per_passE
	.p2align	2, 0x0
_ZN7rocprim17ROCPRIM_400000_NS16block_radix_sortIiLj256ELj4EiLj1ELj1ELj0ELNS0_26block_radix_rank_algorithmE1ELNS0_18block_padding_hintE2ELNS0_4arch9wavefront6targetE1EE19radix_bits_per_passE:
	.long	8                               ; 0x8
	.size	_ZN7rocprim17ROCPRIM_400000_NS16block_radix_sortIiLj256ELj4EiLj1ELj1ELj0ELNS0_26block_radix_rank_algorithmE1ELNS0_18block_padding_hintE2ELNS0_4arch9wavefront6targetE1EE19radix_bits_per_passE, 4

	.protected	_ZN7rocprim17ROCPRIM_400000_NS16block_radix_sortIjLj256ELj4EyLj1ELj1ELj0ELNS0_26block_radix_rank_algorithmE1ELNS0_18block_padding_hintE2ELNS0_4arch9wavefront6targetE1EE19radix_bits_per_passE ; @_ZN7rocprim17ROCPRIM_400000_NS16block_radix_sortIjLj256ELj4EyLj1ELj1ELj0ELNS0_26block_radix_rank_algorithmE1ELNS0_18block_padding_hintE2ELNS0_4arch9wavefront6targetE1EE19radix_bits_per_passE
	.type	_ZN7rocprim17ROCPRIM_400000_NS16block_radix_sortIjLj256ELj4EyLj1ELj1ELj0ELNS0_26block_radix_rank_algorithmE1ELNS0_18block_padding_hintE2ELNS0_4arch9wavefront6targetE1EE19radix_bits_per_passE,@object
	.section	.rodata._ZN7rocprim17ROCPRIM_400000_NS16block_radix_sortIjLj256ELj4EyLj1ELj1ELj0ELNS0_26block_radix_rank_algorithmE1ELNS0_18block_padding_hintE2ELNS0_4arch9wavefront6targetE1EE19radix_bits_per_passE,"aG",@progbits,_ZN7rocprim17ROCPRIM_400000_NS16block_radix_sortIjLj256ELj4EyLj1ELj1ELj0ELNS0_26block_radix_rank_algorithmE1ELNS0_18block_padding_hintE2ELNS0_4arch9wavefront6targetE1EE19radix_bits_per_passE,comdat
	.weak	_ZN7rocprim17ROCPRIM_400000_NS16block_radix_sortIjLj256ELj4EyLj1ELj1ELj0ELNS0_26block_radix_rank_algorithmE1ELNS0_18block_padding_hintE2ELNS0_4arch9wavefront6targetE1EE19radix_bits_per_passE
	.p2align	2, 0x0
_ZN7rocprim17ROCPRIM_400000_NS16block_radix_sortIjLj256ELj4EyLj1ELj1ELj0ELNS0_26block_radix_rank_algorithmE1ELNS0_18block_padding_hintE2ELNS0_4arch9wavefront6targetE1EE19radix_bits_per_passE:
	.long	8                               ; 0x8
	.size	_ZN7rocprim17ROCPRIM_400000_NS16block_radix_sortIjLj256ELj4EyLj1ELj1ELj0ELNS0_26block_radix_rank_algorithmE1ELNS0_18block_padding_hintE2ELNS0_4arch9wavefront6targetE1EE19radix_bits_per_passE, 4

	.protected	isEnd                   ; @isEnd
	.type	isEnd,@object
	.section	.bss,"aw",@nobits
	.globl	isEnd
	.p2align	3, 0x0
isEnd:
	.quad	0
	.size	isEnd, 8

	.type	__hip_cuid_dbca481001fda553,@object ; @__hip_cuid_dbca481001fda553
	.globl	__hip_cuid_dbca481001fda553
__hip_cuid_dbca481001fda553:
	.byte	0                               ; 0x0
	.size	__hip_cuid_dbca481001fda553, 1

	.type	__unnamed_1,@object             ; @0
	.section	.rodata,"a",@progbits
	.p2align	2, 0x0
__unnamed_1:
	.long	130054                          ; 0x1fc06
	.long	129546                          ; 0x1fa0a
	.long	110114                          ; 0x1ae22
	.long	16288                           ; 0x3fa0
	.long	6                               ; 0x6
	.long	256                             ; 0x100
	.long	0                               ; 0x0
	.long	4195                            ; 0x1063
	.long	86927                           ; 0x1538f
	.long	86758                           ; 0x152e6
	;; [unrolled: 1-line block ×4, first 2 shown]
	.long	399                             ; 0x18f
	.long	512                             ; 0x200
	.long	0                               ; 0x0
	.long	2804                            ; 0xaf4
	.long	65280                           ; 0xff00
	.long	64770                           ; 0xfd02
	;; [unrolled: 1-line block ×3, first 2 shown]
	.long	8192                            ; 0x2000
	.long	0                               ; 0x0
	.long	128                             ; 0x80
	.long	0                               ; 0x0
	.long	2107                            ; 0x83b
	.long	43576                           ; 0xaa38
	.long	43406                           ; 0xa98e
	;; [unrolled: 1-line block ×3, first 2 shown]
	.long	5504                            ; 0x1580
	.long	56                              ; 0x38
	.long	256                             ; 0x100
	.long	0                               ; 0x0
	.long	1405                            ; 0x57d
	.long	32703                           ; 0x7fbf
	.long	32193                           ; 0x7dc1
	;; [unrolled: 1-line block ×3, first 2 shown]
	.long	4160                            ; 0x1040
	.long	63                              ; 0x3f
	.long	64                              ; 0x40
	.long	0                               ; 0x0
	.long	1054                            ; 0x41e
	.long	21816                           ; 0x5538
	.long	21646                           ; 0x548e
	;; [unrolled: 1-line block ×3, first 2 shown]
	.long	2816                            ; 0xb00
	.long	56                              ; 0x38
	.long	128                             ; 0x80
	.long	0                               ; 0x0
	.long	703                             ; 0x2bf
	.long	16367                           ; 0x3fef
	.long	15856                           ; 0x3df0
	;; [unrolled: 1-line block ×3, first 2 shown]
	.long	2176                            ; 0x880
	.long	15                              ; 0xf
	.long	32                              ; 0x20
	.long	32768                           ; 0x8000
	.long	527                             ; 0x20f
	.long	10915                           ; 0x2aa3
	.long	10745                           ; 0x29f9
	.long	9133                            ; 0x23ad
	.long	1472                            ; 0x5c0
	.long	35                              ; 0x23
	.long	64                              ; 0x40
	.long	0                               ; 0x0
	.long	352                             ; 0x160
	.long	8187                            ; 0x1ffb
	.long	7676                            ; 0x1dfc
	;; [unrolled: 1-line block ×4, first 2 shown]
	.long	11                              ; 0xb
	.long	16                              ; 0x10
	.long	134219776                       ; 0x8000800
	.long	265                             ; 0x109
	.long	5459                            ; 0x1553
	.long	5289                            ; 0x14a9
	;; [unrolled: 1-line block ×3, first 2 shown]
	.long	896                             ; 0x380
	.long	19                              ; 0x13
	.long	32                              ; 0x20
	.long	524288                          ; 0x80000
	.long	176                             ; 0xb0
	.long	4094                            ; 0xffe
	.long	3583                            ; 0xdff
	;; [unrolled: 1-line block ×4, first 2 shown]
	.long	6                               ; 0x6
	.long	8                               ; 0x8
	.long	1077952576                      ; 0x40404040
	.long	133                             ; 0x85
	.long	2730                            ; 0xaaa
	.long	2560                            ; 0xa00
	;; [unrolled: 1-line block ×3, first 2 shown]
	.long	512                             ; 0x200
	.long	10                              ; 0xa
	.long	16                              ; 0x10
	.long	67109888                        ; 0x4000400
	.long	89                              ; 0x59
	.long	2047                            ; 0x7ff
	.long	1536                            ; 0x600
	.long	1305                            ; 0x519
	.long	1024                            ; 0x400
	.long	3                               ; 0x3
	.long	4                               ; 0x4
	.long	2290649224                      ; 0x88888888
	.long	66                              ; 0x42
	.long	1365                            ; 0x555
	.long	1195                            ; 0x4ab
	;; [unrolled: 1-line block ×3, first 2 shown]
	.long	512                             ; 0x200
	.long	5                               ; 0x5
	.long	8                               ; 0x8
	.long	538976288                       ; 0x20202020
	.long	44                              ; 0x2c
	.long	1023                            ; 0x3ff
	.long	512                             ; 0x200
	.long	435                             ; 0x1b3
	.long	2048                            ; 0x800
	.long	1                               ; 0x1
	.long	2                               ; 0x2
	.long	2863311530                      ; 0xaaaaaaaa
	.long	34                              ; 0x22
	.long	682                             ; 0x2aa
	.long	512                             ; 0x200
	;; [unrolled: 1-line block ×3, first 2 shown]
	.long	2048                            ; 0x800
	.long	2                               ; 0x2
	.long	4                               ; 0x4
	.long	1145324612                      ; 0x44444444
	.long	35                              ; 0x23
	.size	__unnamed_1, 512

	.ident	"AMD clang version 19.0.0git (https://github.com/RadeonOpenCompute/llvm-project roc-6.4.0 25133 c7fe45cf4b819c5991fe208aaa96edf142730f1d)"
	.section	".note.GNU-stack","",@progbits
	.addrsig
	.addrsig_sym isEnd.managed
	.addrsig_sym isEnd
	.addrsig_sym __hip_cuid_dbca481001fda553
	.amdgpu_metadata
---
amdhsa.kernels:
  - .agpr_count:     0
    .args:
      - .address_space:  global
        .offset:         0
        .size:           8
        .value_kind:     global_buffer
      - .address_space:  global
        .offset:         8
        .size:           8
        .value_kind:     global_buffer
      - .address_space:  global
        .offset:         16
        .size:           8
        .value_kind:     global_buffer
      - .address_space:  global
        .offset:         24
        .size:           8
        .value_kind:     global_buffer
      - .offset:         32
        .size:           4
        .value_kind:     by_value
      - .offset:         36
        .size:           4
        .value_kind:     by_value
      - .offset:         40
        .size:           4
        .value_kind:     hidden_block_count_x
      - .offset:         44
        .size:           4
        .value_kind:     hidden_block_count_y
      - .offset:         48
        .size:           4
        .value_kind:     hidden_block_count_z
      - .offset:         52
        .size:           2
        .value_kind:     hidden_group_size_x
      - .offset:         54
        .size:           2
        .value_kind:     hidden_group_size_y
      - .offset:         56
        .size:           2
        .value_kind:     hidden_group_size_z
      - .offset:         58
        .size:           2
        .value_kind:     hidden_remainder_x
      - .offset:         60
        .size:           2
        .value_kind:     hidden_remainder_y
      - .offset:         62
        .size:           2
        .value_kind:     hidden_remainder_z
      - .offset:         80
        .size:           8
        .value_kind:     hidden_global_offset_x
      - .offset:         88
        .size:           8
        .value_kind:     hidden_global_offset_y
      - .offset:         96
        .size:           8
        .value_kind:     hidden_global_offset_z
      - .offset:         104
        .size:           2
        .value_kind:     hidden_grid_dims
    .group_segment_fixed_size: 0
    .kernarg_segment_align: 8
    .kernarg_segment_size: 296
    .language:       OpenCL C
    .language_version:
      - 2
      - 0
    .max_flat_workgroup_size: 1024
    .name:           _Z17checkCoverTravEndPiS_S_S_ii
    .private_segment_fixed_size: 0
    .sgpr_count:     14
    .sgpr_spill_count: 0
    .symbol:         _Z17checkCoverTravEndPiS_S_S_ii.kd
    .uniform_work_group_size: 1
    .uses_dynamic_stack: false
    .vgpr_count:     8
    .vgpr_spill_count: 0
    .wavefront_size: 64
  - .agpr_count:     0
    .args:
      - .address_space:  global
        .offset:         0
        .size:           8
        .value_kind:     global_buffer
      - .address_space:  global
        .offset:         8
        .size:           8
        .value_kind:     global_buffer
      - .address_space:  global
        .offset:         16
        .size:           8
        .value_kind:     global_buffer
      - .address_space:  global
        .offset:         24
        .size:           8
        .value_kind:     global_buffer
      - .address_space:  global
        .offset:         32
        .size:           8
        .value_kind:     global_buffer
      - .address_space:  global
        .offset:         40
        .size:           8
        .value_kind:     global_buffer
      - .address_space:  global
        .offset:         48
        .size:           8
        .value_kind:     global_buffer
      - .address_space:  global
        .offset:         56
        .size:           8
        .value_kind:     global_buffer
      - .address_space:  global
        .offset:         64
        .size:           8
        .value_kind:     global_buffer
      - .offset:         72
        .size:           4
        .value_kind:     by_value
      - .address_space:  global
        .offset:         80
        .size:           8
        .value_kind:     global_buffer
      - .address_space:  global
        .offset:         88
        .size:           8
        .value_kind:     global_buffer
      - .offset:         96
        .size:           4
        .value_kind:     by_value
      - .offset:         100
        .size:           4
        .value_kind:     by_value
      - .offset:         104
        .size:           4
        .value_kind:     by_value
      - .offset:         108
        .size:           4
        .value_kind:     by_value
      - .offset:         112
        .size:           4
        .value_kind:     by_value
      - .offset:         116
        .size:           4
        .value_kind:     by_value
      - .offset:         120
        .size:           4
        .value_kind:     hidden_block_count_x
      - .offset:         124
        .size:           4
        .value_kind:     hidden_block_count_y
      - .offset:         128
        .size:           4
        .value_kind:     hidden_block_count_z
      - .offset:         132
        .size:           2
        .value_kind:     hidden_group_size_x
      - .offset:         134
        .size:           2
        .value_kind:     hidden_group_size_y
      - .offset:         136
        .size:           2
        .value_kind:     hidden_group_size_z
      - .offset:         138
        .size:           2
        .value_kind:     hidden_remainder_x
      - .offset:         140
        .size:           2
        .value_kind:     hidden_remainder_y
      - .offset:         142
        .size:           2
        .value_kind:     hidden_remainder_z
      - .offset:         160
        .size:           8
        .value_kind:     hidden_global_offset_x
      - .offset:         168
        .size:           8
        .value_kind:     hidden_global_offset_y
      - .offset:         176
        .size:           8
        .value_kind:     hidden_global_offset_z
      - .offset:         184
        .size:           2
        .value_kind:     hidden_grid_dims
      - .offset:         200
        .size:           8
        .value_kind:     hidden_hostcall_buffer
    .group_segment_fixed_size: 0
    .kernarg_segment_align: 8
    .kernarg_segment_size: 376
    .language:       OpenCL C
    .language_version:
      - 2
      - 0
    .max_flat_workgroup_size: 1024
    .name:           _Z19prepareDataToInsertPiS_S_PyPjS_S1_PKyPKjiS5_S5_iiiiii
    .private_segment_fixed_size: 64
    .sgpr_count:     62
    .sgpr_spill_count: 0
    .symbol:         _Z19prepareDataToInsertPiS_S_PyPjS_S1_PKyPKjiS5_S5_iiiiii.kd
    .uniform_work_group_size: 1
    .uses_dynamic_stack: false
    .vgpr_count:     56
    .vgpr_spill_count: 0
    .wavefront_size: 64
  - .agpr_count:     0
    .args:
      - .address_space:  global
        .offset:         0
        .size:           8
        .value_kind:     global_buffer
      - .address_space:  global
        .offset:         8
        .size:           8
        .value_kind:     global_buffer
      - .address_space:  global
        .offset:         16
        .size:           8
        .value_kind:     global_buffer
      - .address_space:  global
        .offset:         24
        .size:           8
        .value_kind:     global_buffer
      - .address_space:  global
        .offset:         32
        .size:           8
        .value_kind:     global_buffer
      - .offset:         40
        .size:           4
        .value_kind:     by_value
      - .offset:         44
        .size:           4
        .value_kind:     by_value
      - .offset:         48
        .size:           4
        .value_kind:     by_value
      - .offset:         56
        .size:           4
        .value_kind:     hidden_block_count_x
      - .offset:         60
        .size:           4
        .value_kind:     hidden_block_count_y
      - .offset:         64
        .size:           4
        .value_kind:     hidden_block_count_z
      - .offset:         68
        .size:           2
        .value_kind:     hidden_group_size_x
      - .offset:         70
        .size:           2
        .value_kind:     hidden_group_size_y
      - .offset:         72
        .size:           2
        .value_kind:     hidden_group_size_z
      - .offset:         74
        .size:           2
        .value_kind:     hidden_remainder_x
      - .offset:         76
        .size:           2
        .value_kind:     hidden_remainder_y
      - .offset:         78
        .size:           2
        .value_kind:     hidden_remainder_z
      - .offset:         96
        .size:           8
        .value_kind:     hidden_global_offset_x
      - .offset:         104
        .size:           8
        .value_kind:     hidden_global_offset_y
      - .offset:         112
        .size:           8
        .value_kind:     hidden_global_offset_z
      - .offset:         120
        .size:           2
        .value_kind:     hidden_grid_dims
      - .offset:         136
        .size:           8
        .value_kind:     hidden_hostcall_buffer
    .group_segment_fixed_size: 0
    .kernarg_segment_align: 8
    .kernarg_segment_size: 312
    .language:       OpenCL C
    .language_version:
      - 2
      - 0
    .max_flat_workgroup_size: 1024
    .name:           _Z23sharedNodeDrivenPermutePiS_S_PKyPKjiii
    .private_segment_fixed_size: 64
    .sgpr_count:     60
    .sgpr_spill_count: 0
    .symbol:         _Z23sharedNodeDrivenPermutePiS_S_PKyPKjiii.kd
    .uniform_work_group_size: 1
    .uses_dynamic_stack: false
    .vgpr_count:     54
    .vgpr_spill_count: 0
    .wavefront_size: 64
  - .agpr_count:     32
    .args:
      - .address_space:  global
        .offset:         0
        .size:           8
        .value_kind:     global_buffer
      - .address_space:  global
        .offset:         8
        .size:           8
        .value_kind:     global_buffer
      - .address_space:  global
        .offset:         16
        .size:           8
        .value_kind:     global_buffer
      - .address_space:  global
        .offset:         24
        .size:           8
        .value_kind:     global_buffer
      - .address_space:  global
        .offset:         32
        .size:           8
        .value_kind:     global_buffer
      - .address_space:  global
        .offset:         40
        .size:           8
        .value_kind:     global_buffer
      - .address_space:  global
        .offset:         48
        .size:           8
        .value_kind:     global_buffer
      - .address_space:  global
        .offset:         56
        .size:           8
        .value_kind:     global_buffer
      - .address_space:  global
        .offset:         64
        .size:           8
        .value_kind:     global_buffer
      - .offset:         72
        .size:           4
        .value_kind:     by_value
      - .address_space:  global
        .offset:         80
        .size:           8
        .value_kind:     global_buffer
      - .address_space:  global
        .offset:         88
        .size:           8
        .value_kind:     global_buffer
      - .address_space:  global
        .offset:         96
        .size:           8
        .value_kind:     global_buffer
      - .offset:         104
        .size:           4
        .value_kind:     by_value
      - .offset:         108
        .size:           4
        .value_kind:     by_value
      - .offset:         112
        .size:           4
        .value_kind:     by_value
      - .offset:         116
        .size:           4
        .value_kind:     by_value
      - .offset:         120
        .size:           4
        .value_kind:     hidden_block_count_x
      - .offset:         124
        .size:           4
        .value_kind:     hidden_block_count_y
      - .offset:         128
        .size:           4
        .value_kind:     hidden_block_count_z
      - .offset:         132
        .size:           2
        .value_kind:     hidden_group_size_x
      - .offset:         134
        .size:           2
        .value_kind:     hidden_group_size_y
      - .offset:         136
        .size:           2
        .value_kind:     hidden_group_size_z
      - .offset:         138
        .size:           2
        .value_kind:     hidden_remainder_x
      - .offset:         140
        .size:           2
        .value_kind:     hidden_remainder_y
      - .offset:         142
        .size:           2
        .value_kind:     hidden_remainder_z
      - .offset:         160
        .size:           8
        .value_kind:     hidden_global_offset_x
      - .offset:         168
        .size:           8
        .value_kind:     hidden_global_offset_y
      - .offset:         176
        .size:           8
        .value_kind:     hidden_global_offset_z
      - .offset:         184
        .size:           2
        .value_kind:     hidden_grid_dims
      - .offset:         200
        .size:           8
        .value_kind:     hidden_hostcall_buffer
      - .offset:         216
        .size:           8
        .value_kind:     hidden_heap_v1
    .group_segment_fixed_size: 0
    .kernarg_segment_align: 8
    .kernarg_segment_size: 376
    .language:       OpenCL C
    .language_version:
      - 2
      - 0
    .max_flat_workgroup_size: 1024
    .name:           _Z24prepareReconstructArraysPKiS0_S0_S0_S0_S0_S0_PKjS2_iPiS3_S3_iiii
    .private_segment_fixed_size: 64
    .sgpr_count:     106
    .sgpr_spill_count: 32
    .symbol:         _Z24prepareReconstructArraysPKiS0_S0_S0_S0_S0_S0_PKjS2_iPiS3_S3_iiii.kd
    .uniform_work_group_size: 1
    .uses_dynamic_stack: false
    .vgpr_count:     104
    .vgpr_spill_count: 0
    .wavefront_size: 64
  - .agpr_count:     0
    .args:
      - .address_space:  global
        .offset:         0
        .size:           8
        .value_kind:     global_buffer
      - .address_space:  global
        .offset:         8
        .size:           8
        .value_kind:     global_buffer
      - .address_space:  global
        .offset:         16
        .size:           8
        .value_kind:     global_buffer
      - .address_space:  global
        .offset:         24
        .size:           8
        .value_kind:     global_buffer
      - .address_space:  global
        .offset:         32
        .size:           8
        .value_kind:     global_buffer
      - .address_space:  global
        .offset:         40
        .size:           8
        .value_kind:     global_buffer
      - .offset:         48
        .size:           4
        .value_kind:     by_value
      - .offset:         52
        .size:           4
        .value_kind:     by_value
      - .offset:         56
        .size:           4
        .value_kind:     hidden_block_count_x
      - .offset:         60
        .size:           4
        .value_kind:     hidden_block_count_y
      - .offset:         64
        .size:           4
        .value_kind:     hidden_block_count_z
      - .offset:         68
        .size:           2
        .value_kind:     hidden_group_size_x
      - .offset:         70
        .size:           2
        .value_kind:     hidden_group_size_y
      - .offset:         72
        .size:           2
        .value_kind:     hidden_group_size_z
      - .offset:         74
        .size:           2
        .value_kind:     hidden_remainder_x
      - .offset:         76
        .size:           2
        .value_kind:     hidden_remainder_y
      - .offset:         78
        .size:           2
        .value_kind:     hidden_remainder_z
      - .offset:         96
        .size:           8
        .value_kind:     hidden_global_offset_x
      - .offset:         104
        .size:           8
        .value_kind:     hidden_global_offset_y
      - .offset:         112
        .size:           8
        .value_kind:     hidden_global_offset_z
      - .offset:         120
        .size:           2
        .value_kind:     hidden_grid_dims
    .group_segment_fixed_size: 0
    .kernarg_segment_align: 8
    .kernarg_segment_size: 312
    .language:       OpenCL C
    .language_version:
      - 2
      - 0
    .max_flat_workgroup_size: 1024
    .name:           _Z18addBackLocalArraysPiS_S_PKjPKiS1_ii
    .private_segment_fixed_size: 0
    .sgpr_count:     24
    .sgpr_spill_count: 0
    .symbol:         _Z18addBackLocalArraysPiS_S_PKjPKiS1_ii.kd
    .uniform_work_group_size: 1
    .uses_dynamic_stack: false
    .vgpr_count:     11
    .vgpr_spill_count: 0
    .wavefront_size: 64
  - .agpr_count:     0
    .args:
      - .address_space:  global
        .offset:         0
        .size:           8
        .value_kind:     global_buffer
      - .address_space:  global
        .offset:         8
        .size:           8
        .value_kind:     global_buffer
      - .address_space:  global
        .offset:         16
        .size:           8
        .value_kind:     global_buffer
      - .address_space:  global
        .offset:         24
        .size:           8
        .value_kind:     global_buffer
      - .address_space:  global
        .offset:         32
        .size:           8
        .value_kind:     global_buffer
      - .offset:         40
        .size:           4
        .value_kind:     by_value
      - .offset:         44
        .size:           4
        .value_kind:     by_value
      - .offset:         48
        .size:           4
        .value_kind:     hidden_block_count_x
      - .offset:         52
        .size:           4
        .value_kind:     hidden_block_count_y
      - .offset:         56
        .size:           4
        .value_kind:     hidden_block_count_z
      - .offset:         60
        .size:           2
        .value_kind:     hidden_group_size_x
      - .offset:         62
        .size:           2
        .value_kind:     hidden_group_size_y
      - .offset:         64
        .size:           2
        .value_kind:     hidden_group_size_z
      - .offset:         66
        .size:           2
        .value_kind:     hidden_remainder_x
      - .offset:         68
        .size:           2
        .value_kind:     hidden_remainder_y
      - .offset:         70
        .size:           2
        .value_kind:     hidden_remainder_z
      - .offset:         88
        .size:           8
        .value_kind:     hidden_global_offset_x
      - .offset:         96
        .size:           8
        .value_kind:     hidden_global_offset_y
      - .offset:         104
        .size:           8
        .value_kind:     hidden_global_offset_z
      - .offset:         112
        .size:           2
        .value_kind:     hidden_grid_dims
      - .offset:         128
        .size:           8
        .value_kind:     hidden_hostcall_buffer
    .group_segment_fixed_size: 0
    .kernarg_segment_align: 8
    .kernarg_segment_size: 304
    .language:       OpenCL C
    .language_version:
      - 2
      - 0
    .max_flat_workgroup_size: 1024
    .name:           _Z25recordReconstructedCoversPKiS0_S0_S0_Piii
    .private_segment_fixed_size: 64
    .sgpr_count:     50
    .sgpr_spill_count: 0
    .symbol:         _Z25recordReconstructedCoversPKiS0_S0_S0_Piii.kd
    .uniform_work_group_size: 1
    .uses_dynamic_stack: false
    .vgpr_count:     54
    .vgpr_spill_count: 0
    .wavefront_size: 64
  - .agpr_count:     0
    .args:
      - .address_space:  global
        .offset:         0
        .size:           8
        .value_kind:     global_buffer
      - .address_space:  global
        .offset:         8
        .size:           8
        .value_kind:     global_buffer
      - .address_space:  global
        .offset:         16
        .size:           8
        .value_kind:     global_buffer
      - .address_space:  global
        .offset:         24
        .size:           8
        .value_kind:     global_buffer
      - .address_space:  global
        .offset:         32
        .size:           8
        .value_kind:     global_buffer
      - .address_space:  global
        .offset:         40
        .size:           8
        .value_kind:     global_buffer
      - .address_space:  global
        .offset:         48
        .size:           8
        .value_kind:     global_buffer
      - .offset:         56
        .size:           4
        .value_kind:     by_value
      - .offset:         60
        .size:           4
        .value_kind:     by_value
      - .offset:         64
        .size:           4
        .value_kind:     hidden_block_count_x
      - .offset:         68
        .size:           4
        .value_kind:     hidden_block_count_y
      - .offset:         72
        .size:           4
        .value_kind:     hidden_block_count_z
      - .offset:         76
        .size:           2
        .value_kind:     hidden_group_size_x
      - .offset:         78
        .size:           2
        .value_kind:     hidden_group_size_y
      - .offset:         80
        .size:           2
        .value_kind:     hidden_group_size_z
      - .offset:         82
        .size:           2
        .value_kind:     hidden_remainder_x
      - .offset:         84
        .size:           2
        .value_kind:     hidden_remainder_y
      - .offset:         86
        .size:           2
        .value_kind:     hidden_remainder_z
      - .offset:         104
        .size:           8
        .value_kind:     hidden_global_offset_x
      - .offset:         112
        .size:           8
        .value_kind:     hidden_global_offset_y
      - .offset:         120
        .size:           8
        .value_kind:     hidden_global_offset_z
      - .offset:         128
        .size:           2
        .value_kind:     hidden_grid_dims
    .group_segment_fixed_size: 0
    .kernarg_segment_align: 8
    .kernarg_segment_size: 320
    .language:       OpenCL C
    .language_version:
      - 2
      - 0
    .max_flat_workgroup_size: 1024
    .name:           _Z12genReadyMaskPKiS0_S0_S0_S0_S0_Piii
    .private_segment_fixed_size: 0
    .sgpr_count:     28
    .sgpr_spill_count: 0
    .symbol:         _Z12genReadyMaskPKiS0_S0_S0_S0_S0_Piii.kd
    .uniform_work_group_size: 1
    .uses_dynamic_stack: false
    .vgpr_count:     8
    .vgpr_spill_count: 0
    .wavefront_size: 64
  - .agpr_count:     0
    .args:
      - .address_space:  global
        .offset:         0
        .size:           8
        .value_kind:     global_buffer
      - .address_space:  global
        .offset:         8
        .size:           8
        .value_kind:     global_buffer
      - .offset:         16
        .size:           4
        .value_kind:     by_value
      - .offset:         20
        .size:           4
        .value_kind:     by_value
      - .offset:         24
        .size:           4
        .value_kind:     hidden_block_count_x
      - .offset:         28
        .size:           4
        .value_kind:     hidden_block_count_y
      - .offset:         32
        .size:           4
        .value_kind:     hidden_block_count_z
      - .offset:         36
        .size:           2
        .value_kind:     hidden_group_size_x
      - .offset:         38
        .size:           2
        .value_kind:     hidden_group_size_y
      - .offset:         40
        .size:           2
        .value_kind:     hidden_group_size_z
      - .offset:         42
        .size:           2
        .value_kind:     hidden_remainder_x
      - .offset:         44
        .size:           2
        .value_kind:     hidden_remainder_y
      - .offset:         46
        .size:           2
        .value_kind:     hidden_remainder_z
      - .offset:         64
        .size:           8
        .value_kind:     hidden_global_offset_x
      - .offset:         72
        .size:           8
        .value_kind:     hidden_global_offset_y
      - .offset:         80
        .size:           8
        .value_kind:     hidden_global_offset_z
      - .offset:         88
        .size:           2
        .value_kind:     hidden_grid_dims
    .group_segment_fixed_size: 0
    .kernarg_segment_align: 8
    .kernarg_segment_size: 280
    .language:       OpenCL C
    .language_version:
      - 2
      - 0
    .max_flat_workgroup_size: 1024
    .name:           _Z19gatherByScannedMaskPiS_ii
    .private_segment_fixed_size: 0
    .sgpr_count:     14
    .sgpr_spill_count: 0
    .symbol:         _Z19gatherByScannedMaskPiS_ii.kd
    .uniform_work_group_size: 1
    .uses_dynamic_stack: false
    .vgpr_count:     6
    .vgpr_spill_count: 0
    .wavefront_size: 64
  - .agpr_count:     0
    .args:
      - .address_space:  global
        .offset:         0
        .size:           8
        .value_kind:     global_buffer
      - .address_space:  global
        .offset:         8
        .size:           8
        .value_kind:     global_buffer
      - .offset:         16
        .size:           4
        .value_kind:     by_value
      - .offset:         24
        .size:           4
        .value_kind:     hidden_block_count_x
      - .offset:         28
        .size:           4
        .value_kind:     hidden_block_count_y
      - .offset:         32
        .size:           4
        .value_kind:     hidden_block_count_z
      - .offset:         36
        .size:           2
        .value_kind:     hidden_group_size_x
      - .offset:         38
        .size:           2
        .value_kind:     hidden_group_size_y
      - .offset:         40
        .size:           2
        .value_kind:     hidden_group_size_z
      - .offset:         42
        .size:           2
        .value_kind:     hidden_remainder_x
      - .offset:         44
        .size:           2
        .value_kind:     hidden_remainder_y
      - .offset:         46
        .size:           2
        .value_kind:     hidden_remainder_z
      - .offset:         64
        .size:           8
        .value_kind:     hidden_global_offset_x
      - .offset:         72
        .size:           8
        .value_kind:     hidden_global_offset_y
      - .offset:         80
        .size:           8
        .value_kind:     hidden_global_offset_z
      - .offset:         88
        .size:           2
        .value_kind:     hidden_grid_dims
    .group_segment_fixed_size: 0
    .kernarg_segment_align: 8
    .kernarg_segment_size: 280
    .language:       OpenCL C
    .language_version:
      - 2
      - 0
    .max_flat_workgroup_size: 1024
    .name:           _Z17markIsCoverOutputPKiPii
    .private_segment_fixed_size: 0
    .sgpr_count:     11
    .sgpr_spill_count: 0
    .symbol:         _Z17markIsCoverOutputPKiPii.kd
    .uniform_work_group_size: 1
    .uses_dynamic_stack: false
    .vgpr_count:     4
    .vgpr_spill_count: 0
    .wavefront_size: 64
  - .agpr_count:     0
    .args:
      - .address_space:  global
        .offset:         0
        .size:           8
        .value_kind:     global_buffer
      - .address_space:  global
        .offset:         8
        .size:           8
        .value_kind:     global_buffer
      - .address_space:  global
        .offset:         16
        .size:           8
        .value_kind:     global_buffer
      - .offset:         24
        .size:           4
        .value_kind:     by_value
      - .offset:         32
        .size:           4
        .value_kind:     hidden_block_count_x
      - .offset:         36
        .size:           4
        .value_kind:     hidden_block_count_y
      - .offset:         40
        .size:           4
        .value_kind:     hidden_block_count_z
      - .offset:         44
        .size:           2
        .value_kind:     hidden_group_size_x
      - .offset:         46
        .size:           2
        .value_kind:     hidden_group_size_y
      - .offset:         48
        .size:           2
        .value_kind:     hidden_group_size_z
      - .offset:         50
        .size:           2
        .value_kind:     hidden_remainder_x
      - .offset:         52
        .size:           2
        .value_kind:     hidden_remainder_y
      - .offset:         54
        .size:           2
        .value_kind:     hidden_remainder_z
      - .offset:         72
        .size:           8
        .value_kind:     hidden_global_offset_x
      - .offset:         80
        .size:           8
        .value_kind:     hidden_global_offset_y
      - .offset:         88
        .size:           8
        .value_kind:     hidden_global_offset_z
      - .offset:         96
        .size:           2
        .value_kind:     hidden_grid_dims
    .group_segment_fixed_size: 0
    .kernarg_segment_align: 8
    .kernarg_segment_size: 288
    .language:       OpenCL C
    .language_version:
      - 2
      - 0
    .max_flat_workgroup_size: 1024
    .name:           _Z23getCoverToNodeIdMappingPKiS0_Pii
    .private_segment_fixed_size: 0
    .sgpr_count:     11
    .sgpr_spill_count: 0
    .symbol:         _Z23getCoverToNodeIdMappingPKiS0_Pii.kd
    .uniform_work_group_size: 1
    .uses_dynamic_stack: false
    .vgpr_count:     6
    .vgpr_spill_count: 0
    .wavefront_size: 64
  - .agpr_count:     0
    .args:
      - .address_space:  global
        .offset:         0
        .size:           8
        .value_kind:     global_buffer
      - .address_space:  global
        .offset:         8
        .size:           8
        .value_kind:     global_buffer
      - .address_space:  global
        .offset:         16
        .size:           8
        .value_kind:     global_buffer
      - .address_space:  global
        .offset:         24
        .size:           8
        .value_kind:     global_buffer
      - .address_space:  global
        .offset:         32
        .size:           8
        .value_kind:     global_buffer
      - .address_space:  global
        .offset:         40
        .size:           8
        .value_kind:     global_buffer
      - .address_space:  global
        .offset:         48
        .size:           8
        .value_kind:     global_buffer
      - .address_space:  global
        .offset:         56
        .size:           8
        .value_kind:     global_buffer
      - .offset:         64
        .size:           4
        .value_kind:     by_value
      - .offset:         68
        .size:           4
        .value_kind:     by_value
      - .offset:         72
        .size:           4
        .value_kind:     hidden_block_count_x
      - .offset:         76
        .size:           4
        .value_kind:     hidden_block_count_y
      - .offset:         80
        .size:           4
        .value_kind:     hidden_block_count_z
      - .offset:         84
        .size:           2
        .value_kind:     hidden_group_size_x
      - .offset:         86
        .size:           2
        .value_kind:     hidden_group_size_y
      - .offset:         88
        .size:           2
        .value_kind:     hidden_group_size_z
      - .offset:         90
        .size:           2
        .value_kind:     hidden_remainder_x
      - .offset:         92
        .size:           2
        .value_kind:     hidden_remainder_y
      - .offset:         94
        .size:           2
        .value_kind:     hidden_remainder_z
      - .offset:         112
        .size:           8
        .value_kind:     hidden_global_offset_x
      - .offset:         120
        .size:           8
        .value_kind:     hidden_global_offset_y
      - .offset:         128
        .size:           8
        .value_kind:     hidden_global_offset_z
      - .offset:         136
        .size:           2
        .value_kind:     hidden_grid_dims
    .group_segment_fixed_size: 0
    .kernarg_segment_align: 8
    .kernarg_segment_size: 328
    .language:       OpenCL C
    .language_version:
      - 2
      - 0
    .max_flat_workgroup_size: 1024
    .name:           _Z16gatherWithFilterPiPKiS1_S1_S1_S_S_S_ii
    .private_segment_fixed_size: 0
    .sgpr_count:     22
    .sgpr_spill_count: 0
    .symbol:         _Z16gatherWithFilterPiPKiS1_S1_S1_S_S_S_ii.kd
    .uniform_work_group_size: 1
    .uses_dynamic_stack: false
    .vgpr_count:     15
    .vgpr_spill_count: 0
    .wavefront_size: 64
  - .agpr_count:     0
    .args:
      - .address_space:  global
        .offset:         0
        .size:           8
        .value_kind:     global_buffer
      - .address_space:  global
        .offset:         8
        .size:           8
        .value_kind:     global_buffer
      - .address_space:  global
        .offset:         16
        .size:           8
        .value_kind:     global_buffer
      - .address_space:  global
        .offset:         24
        .size:           8
        .value_kind:     global_buffer
      - .address_space:  global
        .offset:         32
        .size:           8
        .value_kind:     global_buffer
      - .address_space:  global
        .offset:         40
        .size:           8
        .value_kind:     global_buffer
      - .address_space:  global
        .offset:         48
        .size:           8
        .value_kind:     global_buffer
      - .address_space:  global
        .offset:         56
        .size:           8
        .value_kind:     global_buffer
      - .address_space:  global
        .offset:         64
        .size:           8
        .value_kind:     global_buffer
      - .address_space:  global
        .offset:         72
        .size:           8
        .value_kind:     global_buffer
      - .offset:         80
        .size:           4
        .value_kind:     by_value
      - .offset:         84
        .size:           4
        .value_kind:     by_value
      - .offset:         88
        .size:           4
        .value_kind:     by_value
      - .offset:         96
        .size:           4
        .value_kind:     hidden_block_count_x
      - .offset:         100
        .size:           4
        .value_kind:     hidden_block_count_y
      - .offset:         104
        .size:           4
        .value_kind:     hidden_block_count_z
      - .offset:         108
        .size:           2
        .value_kind:     hidden_group_size_x
      - .offset:         110
        .size:           2
        .value_kind:     hidden_group_size_y
      - .offset:         112
        .size:           2
        .value_kind:     hidden_group_size_z
      - .offset:         114
        .size:           2
        .value_kind:     hidden_remainder_x
      - .offset:         116
        .size:           2
        .value_kind:     hidden_remainder_y
      - .offset:         118
        .size:           2
        .value_kind:     hidden_remainder_z
      - .offset:         136
        .size:           8
        .value_kind:     hidden_global_offset_x
      - .offset:         144
        .size:           8
        .value_kind:     hidden_global_offset_y
      - .offset:         152
        .size:           8
        .value_kind:     hidden_global_offset_z
      - .offset:         160
        .size:           2
        .value_kind:     hidden_grid_dims
      - .offset:         176
        .size:           8
        .value_kind:     hidden_hostcall_buffer
    .group_segment_fixed_size: 0
    .kernarg_segment_align: 8
    .kernarg_segment_size: 352
    .language:       OpenCL C
    .language_version:
      - 2
      - 0
    .max_flat_workgroup_size: 1024
    .name:           _Z19coverFindingToTablePiS_S_PKiS1_S1_S_S_S_S_iii
    .private_segment_fixed_size: 592
    .sgpr_count:     97
    .sgpr_spill_count: 0
    .symbol:         _Z19coverFindingToTablePiS_S_PKiS1_S1_S_S_S_S_iii.kd
    .uniform_work_group_size: 1
    .uses_dynamic_stack: false
    .vgpr_count:     54
    .vgpr_spill_count: 0
    .wavefront_size: 64
  - .agpr_count:     0
    .args:
      - .address_space:  global
        .offset:         0
        .size:           8
        .value_kind:     global_buffer
      - .address_space:  global
        .offset:         8
        .size:           8
        .value_kind:     global_buffer
      - .offset:         16
        .size:           4
        .value_kind:     by_value
      - .offset:         24
        .size:           4
        .value_kind:     hidden_block_count_x
      - .offset:         28
        .size:           4
        .value_kind:     hidden_block_count_y
      - .offset:         32
        .size:           4
        .value_kind:     hidden_block_count_z
      - .offset:         36
        .size:           2
        .value_kind:     hidden_group_size_x
      - .offset:         38
        .size:           2
        .value_kind:     hidden_group_size_y
      - .offset:         40
        .size:           2
        .value_kind:     hidden_group_size_z
      - .offset:         42
        .size:           2
        .value_kind:     hidden_remainder_x
      - .offset:         44
        .size:           2
        .value_kind:     hidden_remainder_y
      - .offset:         46
        .size:           2
        .value_kind:     hidden_remainder_z
      - .offset:         64
        .size:           8
        .value_kind:     hidden_global_offset_x
      - .offset:         72
        .size:           8
        .value_kind:     hidden_global_offset_y
      - .offset:         80
        .size:           8
        .value_kind:     hidden_global_offset_z
      - .offset:         88
        .size:           2
        .value_kind:     hidden_grid_dims
      - .offset:         104
        .size:           8
        .value_kind:     hidden_hostcall_buffer
    .group_segment_fixed_size: 0
    .kernarg_segment_align: 8
    .kernarg_segment_size: 280
    .language:       OpenCL C
    .language_version:
      - 2
      - 0
    .max_flat_workgroup_size: 1024
    .name:           _Z19findLevelNodeRangesPKiPii
    .private_segment_fixed_size: 0
    .sgpr_count:     29
    .sgpr_spill_count: 0
    .symbol:         _Z19findLevelNodeRangesPKiPii.kd
    .uniform_work_group_size: 1
    .uses_dynamic_stack: false
    .vgpr_count:     39
    .vgpr_spill_count: 0
    .wavefront_size: 64
  - .agpr_count:     0
    .args:
      - .address_space:  global
        .offset:         0
        .size:           8
        .value_kind:     global_buffer
      - .address_space:  global
        .offset:         8
        .size:           8
        .value_kind:     global_buffer
      - .address_space:  global
        .offset:         16
        .size:           8
        .value_kind:     global_buffer
      - .offset:         24
        .size:           4
        .value_kind:     by_value
      - .address_space:  global
        .offset:         32
        .size:           8
        .value_kind:     global_buffer
      - .address_space:  global
        .offset:         40
        .size:           8
        .value_kind:     global_buffer
      - .address_space:  global
        .offset:         48
        .size:           8
        .value_kind:     global_buffer
      - .offset:         56
        .size:           4
        .value_kind:     by_value
      - .offset:         60
        .size:           4
        .value_kind:     by_value
      - .offset:         64
        .size:           4
        .value_kind:     hidden_block_count_x
      - .offset:         68
        .size:           4
        .value_kind:     hidden_block_count_y
      - .offset:         72
        .size:           4
        .value_kind:     hidden_block_count_z
      - .offset:         76
        .size:           2
        .value_kind:     hidden_group_size_x
      - .offset:         78
        .size:           2
        .value_kind:     hidden_group_size_y
      - .offset:         80
        .size:           2
        .value_kind:     hidden_group_size_z
      - .offset:         82
        .size:           2
        .value_kind:     hidden_remainder_x
      - .offset:         84
        .size:           2
        .value_kind:     hidden_remainder_y
      - .offset:         86
        .size:           2
        .value_kind:     hidden_remainder_z
      - .offset:         104
        .size:           8
        .value_kind:     hidden_global_offset_x
      - .offset:         112
        .size:           8
        .value_kind:     hidden_global_offset_y
      - .offset:         120
        .size:           8
        .value_kind:     hidden_global_offset_z
      - .offset:         128
        .size:           2
        .value_kind:     hidden_grid_dims
      - .offset:         144
        .size:           8
        .value_kind:     hidden_hostcall_buffer
    .group_segment_fixed_size: 0
    .kernarg_segment_align: 8
    .kernarg_segment_size: 320
    .language:       OpenCL C
    .language_version:
      - 2
      - 0
    .max_flat_workgroup_size: 1024
    .name:           _Z14parseOutputResPKyPKjS2_iPiS3_S3_ii
    .private_segment_fixed_size: 64
    .sgpr_count:     42
    .sgpr_spill_count: 0
    .symbol:         _Z14parseOutputResPKyPKjS2_iPiS3_S3_ii.kd
    .uniform_work_group_size: 1
    .uses_dynamic_stack: false
    .vgpr_count:     54
    .vgpr_spill_count: 0
    .wavefront_size: 64
  - .agpr_count:     0
    .args:
      - .address_space:  global
        .offset:         0
        .size:           8
        .value_kind:     global_buffer
      - .address_space:  global
        .offset:         8
        .size:           8
        .value_kind:     global_buffer
      - .address_space:  global
        .offset:         16
        .size:           8
        .value_kind:     global_buffer
      - .address_space:  global
        .offset:         24
        .size:           8
        .value_kind:     global_buffer
      - .address_space:  global
        .offset:         32
        .size:           8
        .value_kind:     global_buffer
      - .offset:         40
        .size:           4
        .value_kind:     by_value
      - .address_space:  global
        .offset:         48
        .size:           8
        .value_kind:     global_buffer
      - .address_space:  global
        .offset:         56
        .size:           8
        .value_kind:     global_buffer
      - .offset:         64
        .size:           4
        .value_kind:     by_value
      - .offset:         68
        .size:           4
        .value_kind:     by_value
      - .offset:         72
        .size:           4
        .value_kind:     hidden_block_count_x
      - .offset:         76
        .size:           4
        .value_kind:     hidden_block_count_y
      - .offset:         80
        .size:           4
        .value_kind:     hidden_block_count_z
      - .offset:         84
        .size:           2
        .value_kind:     hidden_group_size_x
      - .offset:         86
        .size:           2
        .value_kind:     hidden_group_size_y
      - .offset:         88
        .size:           2
        .value_kind:     hidden_group_size_z
      - .offset:         90
        .size:           2
        .value_kind:     hidden_remainder_x
      - .offset:         92
        .size:           2
        .value_kind:     hidden_remainder_y
      - .offset:         94
        .size:           2
        .value_kind:     hidden_remainder_z
      - .offset:         112
        .size:           8
        .value_kind:     hidden_global_offset_x
      - .offset:         120
        .size:           8
        .value_kind:     hidden_global_offset_y
      - .offset:         128
        .size:           8
        .value_kind:     hidden_global_offset_z
      - .offset:         136
        .size:           2
        .value_kind:     hidden_grid_dims
      - .offset:         152
        .size:           8
        .value_kind:     hidden_hostcall_buffer
    .group_segment_fixed_size: 0
    .kernarg_segment_align: 8
    .kernarg_segment_size: 328
    .language:       OpenCL C
    .language_version:
      - 2
      - 0
    .max_flat_workgroup_size: 1024
    .name:           _Z9processPOPKiS0_S0_PKjS2_iPiS3_ii
    .private_segment_fixed_size: 64
    .sgpr_count:     46
    .sgpr_spill_count: 0
    .symbol:         _Z9processPOPKiS0_S0_PKjS2_iPiS3_ii.kd
    .uniform_work_group_size: 1
    .uses_dynamic_stack: false
    .vgpr_count:     54
    .vgpr_spill_count: 0
    .wavefront_size: 64
  - .agpr_count:     0
    .args:
      - .address_space:  global
        .offset:         0
        .size:           8
        .value_kind:     global_buffer
      - .offset:         8
        .size:           4
        .value_kind:     by_value
      - .offset:         12
        .size:           1
        .value_kind:     by_value
      - .offset:         16
        .size:           4
        .value_kind:     by_value
      - .address_space:  global
        .offset:         24
        .size:           8
        .value_kind:     global_buffer
      - .offset:         32
        .size:           4
        .value_kind:     hidden_block_count_x
      - .offset:         36
        .size:           4
        .value_kind:     hidden_block_count_y
      - .offset:         40
        .size:           4
        .value_kind:     hidden_block_count_z
      - .offset:         44
        .size:           2
        .value_kind:     hidden_group_size_x
      - .offset:         46
        .size:           2
        .value_kind:     hidden_group_size_y
      - .offset:         48
        .size:           2
        .value_kind:     hidden_group_size_z
      - .offset:         50
        .size:           2
        .value_kind:     hidden_remainder_x
      - .offset:         52
        .size:           2
        .value_kind:     hidden_remainder_y
      - .offset:         54
        .size:           2
        .value_kind:     hidden_remainder_z
      - .offset:         72
        .size:           8
        .value_kind:     hidden_global_offset_x
      - .offset:         80
        .size:           8
        .value_kind:     hidden_global_offset_y
      - .offset:         88
        .size:           8
        .value_kind:     hidden_global_offset_z
      - .offset:         96
        .size:           2
        .value_kind:     hidden_grid_dims
    .group_segment_fixed_size: 0
    .kernarg_segment_align: 8
    .kernarg_segment_size: 288
    .language:       OpenCL C
    .language_version:
      - 2
      - 0
    .max_flat_workgroup_size: 256
    .name:           _ZN7rocprim17ROCPRIM_400000_NS6detail31init_lookback_scan_state_kernelINS1_19lookback_scan_stateIiLb0ELb1EEENS1_16block_id_wrapperIjLb0EEEEEvT_jT0_jPNS7_10value_typeE
    .private_segment_fixed_size: 0
    .sgpr_count:     13
    .sgpr_spill_count: 0
    .symbol:         _ZN7rocprim17ROCPRIM_400000_NS6detail31init_lookback_scan_state_kernelINS1_19lookback_scan_stateIiLb0ELb1EEENS1_16block_id_wrapperIjLb0EEEEEvT_jT0_jPNS7_10value_typeE.kd
    .uniform_work_group_size: 1
    .uses_dynamic_stack: false
    .vgpr_count:     6
    .vgpr_spill_count: 0
    .wavefront_size: 64
  - .agpr_count:     0
    .args:
      - .offset:         0
        .size:           96
        .value_kind:     by_value
    .group_segment_fixed_size: 0
    .kernarg_segment_align: 8
    .kernarg_segment_size: 96
    .language:       OpenCL C
    .language_version:
      - 2
      - 0
    .max_flat_workgroup_size: 256
    .name:           _ZN7rocprim17ROCPRIM_400000_NS6detail17trampoline_kernelINS0_14default_configENS1_20scan_config_selectorIiEEZZNS1_9scan_implILNS1_25lookback_scan_determinismE0ELb0ELb0ES3_PiS8_iN6thrust23THRUST_200600_302600_NS4plusIvEEiEEDaPvRmT3_T4_T5_mT6_P12ihipStream_tbENKUlT_T0_E_clISt17integral_constantIbLb0EESQ_EEDaSL_SM_EUlSL_E_NS1_11comp_targetILNS1_3genE0ELNS1_11target_archE4294967295ELNS1_3gpuE0ELNS1_3repE0EEENS1_30default_config_static_selectorELNS0_4arch9wavefront6targetE1EEEvT1_
    .private_segment_fixed_size: 0
    .sgpr_count:     4
    .sgpr_spill_count: 0
    .symbol:         _ZN7rocprim17ROCPRIM_400000_NS6detail17trampoline_kernelINS0_14default_configENS1_20scan_config_selectorIiEEZZNS1_9scan_implILNS1_25lookback_scan_determinismE0ELb0ELb0ES3_PiS8_iN6thrust23THRUST_200600_302600_NS4plusIvEEiEEDaPvRmT3_T4_T5_mT6_P12ihipStream_tbENKUlT_T0_E_clISt17integral_constantIbLb0EESQ_EEDaSL_SM_EUlSL_E_NS1_11comp_targetILNS1_3genE0ELNS1_11target_archE4294967295ELNS1_3gpuE0ELNS1_3repE0EEENS1_30default_config_static_selectorELNS0_4arch9wavefront6targetE1EEEvT1_.kd
    .uniform_work_group_size: 1
    .uses_dynamic_stack: false
    .vgpr_count:     0
    .vgpr_spill_count: 0
    .wavefront_size: 64
  - .agpr_count:     0
    .args:
      - .offset:         0
        .size:           96
        .value_kind:     by_value
    .group_segment_fixed_size: 0
    .kernarg_segment_align: 8
    .kernarg_segment_size: 96
    .language:       OpenCL C
    .language_version:
      - 2
      - 0
    .max_flat_workgroup_size: 256
    .name:           _ZN7rocprim17ROCPRIM_400000_NS6detail17trampoline_kernelINS0_14default_configENS1_20scan_config_selectorIiEEZZNS1_9scan_implILNS1_25lookback_scan_determinismE0ELb0ELb0ES3_PiS8_iN6thrust23THRUST_200600_302600_NS4plusIvEEiEEDaPvRmT3_T4_T5_mT6_P12ihipStream_tbENKUlT_T0_E_clISt17integral_constantIbLb0EESQ_EEDaSL_SM_EUlSL_E_NS1_11comp_targetILNS1_3genE5ELNS1_11target_archE942ELNS1_3gpuE9ELNS1_3repE0EEENS1_30default_config_static_selectorELNS0_4arch9wavefront6targetE1EEEvT1_
    .private_segment_fixed_size: 0
    .sgpr_count:     4
    .sgpr_spill_count: 0
    .symbol:         _ZN7rocprim17ROCPRIM_400000_NS6detail17trampoline_kernelINS0_14default_configENS1_20scan_config_selectorIiEEZZNS1_9scan_implILNS1_25lookback_scan_determinismE0ELb0ELb0ES3_PiS8_iN6thrust23THRUST_200600_302600_NS4plusIvEEiEEDaPvRmT3_T4_T5_mT6_P12ihipStream_tbENKUlT_T0_E_clISt17integral_constantIbLb0EESQ_EEDaSL_SM_EUlSL_E_NS1_11comp_targetILNS1_3genE5ELNS1_11target_archE942ELNS1_3gpuE9ELNS1_3repE0EEENS1_30default_config_static_selectorELNS0_4arch9wavefront6targetE1EEEvT1_.kd
    .uniform_work_group_size: 1
    .uses_dynamic_stack: false
    .vgpr_count:     0
    .vgpr_spill_count: 0
    .wavefront_size: 64
  - .agpr_count:     0
    .args:
      - .offset:         0
        .size:           96
        .value_kind:     by_value
    .group_segment_fixed_size: 5120
    .kernarg_segment_align: 8
    .kernarg_segment_size: 96
    .language:       OpenCL C
    .language_version:
      - 2
      - 0
    .max_flat_workgroup_size: 128
    .name:           _ZN7rocprim17ROCPRIM_400000_NS6detail17trampoline_kernelINS0_14default_configENS1_20scan_config_selectorIiEEZZNS1_9scan_implILNS1_25lookback_scan_determinismE0ELb0ELb0ES3_PiS8_iN6thrust23THRUST_200600_302600_NS4plusIvEEiEEDaPvRmT3_T4_T5_mT6_P12ihipStream_tbENKUlT_T0_E_clISt17integral_constantIbLb0EESQ_EEDaSL_SM_EUlSL_E_NS1_11comp_targetILNS1_3genE4ELNS1_11target_archE910ELNS1_3gpuE8ELNS1_3repE0EEENS1_30default_config_static_selectorELNS0_4arch9wavefront6targetE1EEEvT1_
    .private_segment_fixed_size: 0
    .sgpr_count:     36
    .sgpr_spill_count: 0
    .symbol:         _ZN7rocprim17ROCPRIM_400000_NS6detail17trampoline_kernelINS0_14default_configENS1_20scan_config_selectorIiEEZZNS1_9scan_implILNS1_25lookback_scan_determinismE0ELb0ELb0ES3_PiS8_iN6thrust23THRUST_200600_302600_NS4plusIvEEiEEDaPvRmT3_T4_T5_mT6_P12ihipStream_tbENKUlT_T0_E_clISt17integral_constantIbLb0EESQ_EEDaSL_SM_EUlSL_E_NS1_11comp_targetILNS1_3genE4ELNS1_11target_archE910ELNS1_3gpuE8ELNS1_3repE0EEENS1_30default_config_static_selectorELNS0_4arch9wavefront6targetE1EEEvT1_.kd
    .uniform_work_group_size: 1
    .uses_dynamic_stack: false
    .vgpr_count:     40
    .vgpr_spill_count: 0
    .wavefront_size: 64
  - .agpr_count:     0
    .args:
      - .offset:         0
        .size:           96
        .value_kind:     by_value
    .group_segment_fixed_size: 0
    .kernarg_segment_align: 8
    .kernarg_segment_size: 96
    .language:       OpenCL C
    .language_version:
      - 2
      - 0
    .max_flat_workgroup_size: 256
    .name:           _ZN7rocprim17ROCPRIM_400000_NS6detail17trampoline_kernelINS0_14default_configENS1_20scan_config_selectorIiEEZZNS1_9scan_implILNS1_25lookback_scan_determinismE0ELb0ELb0ES3_PiS8_iN6thrust23THRUST_200600_302600_NS4plusIvEEiEEDaPvRmT3_T4_T5_mT6_P12ihipStream_tbENKUlT_T0_E_clISt17integral_constantIbLb0EESQ_EEDaSL_SM_EUlSL_E_NS1_11comp_targetILNS1_3genE3ELNS1_11target_archE908ELNS1_3gpuE7ELNS1_3repE0EEENS1_30default_config_static_selectorELNS0_4arch9wavefront6targetE1EEEvT1_
    .private_segment_fixed_size: 0
    .sgpr_count:     4
    .sgpr_spill_count: 0
    .symbol:         _ZN7rocprim17ROCPRIM_400000_NS6detail17trampoline_kernelINS0_14default_configENS1_20scan_config_selectorIiEEZZNS1_9scan_implILNS1_25lookback_scan_determinismE0ELb0ELb0ES3_PiS8_iN6thrust23THRUST_200600_302600_NS4plusIvEEiEEDaPvRmT3_T4_T5_mT6_P12ihipStream_tbENKUlT_T0_E_clISt17integral_constantIbLb0EESQ_EEDaSL_SM_EUlSL_E_NS1_11comp_targetILNS1_3genE3ELNS1_11target_archE908ELNS1_3gpuE7ELNS1_3repE0EEENS1_30default_config_static_selectorELNS0_4arch9wavefront6targetE1EEEvT1_.kd
    .uniform_work_group_size: 1
    .uses_dynamic_stack: false
    .vgpr_count:     0
    .vgpr_spill_count: 0
    .wavefront_size: 64
  - .agpr_count:     0
    .args:
      - .offset:         0
        .size:           96
        .value_kind:     by_value
    .group_segment_fixed_size: 0
    .kernarg_segment_align: 8
    .kernarg_segment_size: 96
    .language:       OpenCL C
    .language_version:
      - 2
      - 0
    .max_flat_workgroup_size: 256
    .name:           _ZN7rocprim17ROCPRIM_400000_NS6detail17trampoline_kernelINS0_14default_configENS1_20scan_config_selectorIiEEZZNS1_9scan_implILNS1_25lookback_scan_determinismE0ELb0ELb0ES3_PiS8_iN6thrust23THRUST_200600_302600_NS4plusIvEEiEEDaPvRmT3_T4_T5_mT6_P12ihipStream_tbENKUlT_T0_E_clISt17integral_constantIbLb0EESQ_EEDaSL_SM_EUlSL_E_NS1_11comp_targetILNS1_3genE2ELNS1_11target_archE906ELNS1_3gpuE6ELNS1_3repE0EEENS1_30default_config_static_selectorELNS0_4arch9wavefront6targetE1EEEvT1_
    .private_segment_fixed_size: 0
    .sgpr_count:     4
    .sgpr_spill_count: 0
    .symbol:         _ZN7rocprim17ROCPRIM_400000_NS6detail17trampoline_kernelINS0_14default_configENS1_20scan_config_selectorIiEEZZNS1_9scan_implILNS1_25lookback_scan_determinismE0ELb0ELb0ES3_PiS8_iN6thrust23THRUST_200600_302600_NS4plusIvEEiEEDaPvRmT3_T4_T5_mT6_P12ihipStream_tbENKUlT_T0_E_clISt17integral_constantIbLb0EESQ_EEDaSL_SM_EUlSL_E_NS1_11comp_targetILNS1_3genE2ELNS1_11target_archE906ELNS1_3gpuE6ELNS1_3repE0EEENS1_30default_config_static_selectorELNS0_4arch9wavefront6targetE1EEEvT1_.kd
    .uniform_work_group_size: 1
    .uses_dynamic_stack: false
    .vgpr_count:     0
    .vgpr_spill_count: 0
    .wavefront_size: 64
  - .agpr_count:     0
    .args:
      - .offset:         0
        .size:           96
        .value_kind:     by_value
    .group_segment_fixed_size: 0
    .kernarg_segment_align: 8
    .kernarg_segment_size: 96
    .language:       OpenCL C
    .language_version:
      - 2
      - 0
    .max_flat_workgroup_size: 256
    .name:           _ZN7rocprim17ROCPRIM_400000_NS6detail17trampoline_kernelINS0_14default_configENS1_20scan_config_selectorIiEEZZNS1_9scan_implILNS1_25lookback_scan_determinismE0ELb0ELb0ES3_PiS8_iN6thrust23THRUST_200600_302600_NS4plusIvEEiEEDaPvRmT3_T4_T5_mT6_P12ihipStream_tbENKUlT_T0_E_clISt17integral_constantIbLb0EESQ_EEDaSL_SM_EUlSL_E_NS1_11comp_targetILNS1_3genE10ELNS1_11target_archE1201ELNS1_3gpuE5ELNS1_3repE0EEENS1_30default_config_static_selectorELNS0_4arch9wavefront6targetE1EEEvT1_
    .private_segment_fixed_size: 0
    .sgpr_count:     4
    .sgpr_spill_count: 0
    .symbol:         _ZN7rocprim17ROCPRIM_400000_NS6detail17trampoline_kernelINS0_14default_configENS1_20scan_config_selectorIiEEZZNS1_9scan_implILNS1_25lookback_scan_determinismE0ELb0ELb0ES3_PiS8_iN6thrust23THRUST_200600_302600_NS4plusIvEEiEEDaPvRmT3_T4_T5_mT6_P12ihipStream_tbENKUlT_T0_E_clISt17integral_constantIbLb0EESQ_EEDaSL_SM_EUlSL_E_NS1_11comp_targetILNS1_3genE10ELNS1_11target_archE1201ELNS1_3gpuE5ELNS1_3repE0EEENS1_30default_config_static_selectorELNS0_4arch9wavefront6targetE1EEEvT1_.kd
    .uniform_work_group_size: 1
    .uses_dynamic_stack: false
    .vgpr_count:     0
    .vgpr_spill_count: 0
    .wavefront_size: 64
  - .agpr_count:     0
    .args:
      - .offset:         0
        .size:           96
        .value_kind:     by_value
    .group_segment_fixed_size: 0
    .kernarg_segment_align: 8
    .kernarg_segment_size: 96
    .language:       OpenCL C
    .language_version:
      - 2
      - 0
    .max_flat_workgroup_size: 256
    .name:           _ZN7rocprim17ROCPRIM_400000_NS6detail17trampoline_kernelINS0_14default_configENS1_20scan_config_selectorIiEEZZNS1_9scan_implILNS1_25lookback_scan_determinismE0ELb0ELb0ES3_PiS8_iN6thrust23THRUST_200600_302600_NS4plusIvEEiEEDaPvRmT3_T4_T5_mT6_P12ihipStream_tbENKUlT_T0_E_clISt17integral_constantIbLb0EESQ_EEDaSL_SM_EUlSL_E_NS1_11comp_targetILNS1_3genE10ELNS1_11target_archE1200ELNS1_3gpuE4ELNS1_3repE0EEENS1_30default_config_static_selectorELNS0_4arch9wavefront6targetE1EEEvT1_
    .private_segment_fixed_size: 0
    .sgpr_count:     4
    .sgpr_spill_count: 0
    .symbol:         _ZN7rocprim17ROCPRIM_400000_NS6detail17trampoline_kernelINS0_14default_configENS1_20scan_config_selectorIiEEZZNS1_9scan_implILNS1_25lookback_scan_determinismE0ELb0ELb0ES3_PiS8_iN6thrust23THRUST_200600_302600_NS4plusIvEEiEEDaPvRmT3_T4_T5_mT6_P12ihipStream_tbENKUlT_T0_E_clISt17integral_constantIbLb0EESQ_EEDaSL_SM_EUlSL_E_NS1_11comp_targetILNS1_3genE10ELNS1_11target_archE1200ELNS1_3gpuE4ELNS1_3repE0EEENS1_30default_config_static_selectorELNS0_4arch9wavefront6targetE1EEEvT1_.kd
    .uniform_work_group_size: 1
    .uses_dynamic_stack: false
    .vgpr_count:     0
    .vgpr_spill_count: 0
    .wavefront_size: 64
  - .agpr_count:     0
    .args:
      - .offset:         0
        .size:           96
        .value_kind:     by_value
    .group_segment_fixed_size: 0
    .kernarg_segment_align: 8
    .kernarg_segment_size: 96
    .language:       OpenCL C
    .language_version:
      - 2
      - 0
    .max_flat_workgroup_size: 256
    .name:           _ZN7rocprim17ROCPRIM_400000_NS6detail17trampoline_kernelINS0_14default_configENS1_20scan_config_selectorIiEEZZNS1_9scan_implILNS1_25lookback_scan_determinismE0ELb0ELb0ES3_PiS8_iN6thrust23THRUST_200600_302600_NS4plusIvEEiEEDaPvRmT3_T4_T5_mT6_P12ihipStream_tbENKUlT_T0_E_clISt17integral_constantIbLb0EESQ_EEDaSL_SM_EUlSL_E_NS1_11comp_targetILNS1_3genE9ELNS1_11target_archE1100ELNS1_3gpuE3ELNS1_3repE0EEENS1_30default_config_static_selectorELNS0_4arch9wavefront6targetE1EEEvT1_
    .private_segment_fixed_size: 0
    .sgpr_count:     4
    .sgpr_spill_count: 0
    .symbol:         _ZN7rocprim17ROCPRIM_400000_NS6detail17trampoline_kernelINS0_14default_configENS1_20scan_config_selectorIiEEZZNS1_9scan_implILNS1_25lookback_scan_determinismE0ELb0ELb0ES3_PiS8_iN6thrust23THRUST_200600_302600_NS4plusIvEEiEEDaPvRmT3_T4_T5_mT6_P12ihipStream_tbENKUlT_T0_E_clISt17integral_constantIbLb0EESQ_EEDaSL_SM_EUlSL_E_NS1_11comp_targetILNS1_3genE9ELNS1_11target_archE1100ELNS1_3gpuE3ELNS1_3repE0EEENS1_30default_config_static_selectorELNS0_4arch9wavefront6targetE1EEEvT1_.kd
    .uniform_work_group_size: 1
    .uses_dynamic_stack: false
    .vgpr_count:     0
    .vgpr_spill_count: 0
    .wavefront_size: 64
  - .agpr_count:     0
    .args:
      - .offset:         0
        .size:           96
        .value_kind:     by_value
    .group_segment_fixed_size: 0
    .kernarg_segment_align: 8
    .kernarg_segment_size: 96
    .language:       OpenCL C
    .language_version:
      - 2
      - 0
    .max_flat_workgroup_size: 64
    .name:           _ZN7rocprim17ROCPRIM_400000_NS6detail17trampoline_kernelINS0_14default_configENS1_20scan_config_selectorIiEEZZNS1_9scan_implILNS1_25lookback_scan_determinismE0ELb0ELb0ES3_PiS8_iN6thrust23THRUST_200600_302600_NS4plusIvEEiEEDaPvRmT3_T4_T5_mT6_P12ihipStream_tbENKUlT_T0_E_clISt17integral_constantIbLb0EESQ_EEDaSL_SM_EUlSL_E_NS1_11comp_targetILNS1_3genE8ELNS1_11target_archE1030ELNS1_3gpuE2ELNS1_3repE0EEENS1_30default_config_static_selectorELNS0_4arch9wavefront6targetE1EEEvT1_
    .private_segment_fixed_size: 0
    .sgpr_count:     4
    .sgpr_spill_count: 0
    .symbol:         _ZN7rocprim17ROCPRIM_400000_NS6detail17trampoline_kernelINS0_14default_configENS1_20scan_config_selectorIiEEZZNS1_9scan_implILNS1_25lookback_scan_determinismE0ELb0ELb0ES3_PiS8_iN6thrust23THRUST_200600_302600_NS4plusIvEEiEEDaPvRmT3_T4_T5_mT6_P12ihipStream_tbENKUlT_T0_E_clISt17integral_constantIbLb0EESQ_EEDaSL_SM_EUlSL_E_NS1_11comp_targetILNS1_3genE8ELNS1_11target_archE1030ELNS1_3gpuE2ELNS1_3repE0EEENS1_30default_config_static_selectorELNS0_4arch9wavefront6targetE1EEEvT1_.kd
    .uniform_work_group_size: 1
    .uses_dynamic_stack: false
    .vgpr_count:     0
    .vgpr_spill_count: 0
    .wavefront_size: 64
  - .agpr_count:     0
    .args:
      - .offset:         0
        .size:           40
        .value_kind:     by_value
    .group_segment_fixed_size: 0
    .kernarg_segment_align: 8
    .kernarg_segment_size: 40
    .language:       OpenCL C
    .language_version:
      - 2
      - 0
    .max_flat_workgroup_size: 128
    .name:           _ZN7rocprim17ROCPRIM_400000_NS6detail17trampoline_kernelINS0_14default_configENS1_25transform_config_selectorIiLb1EEEZNS1_14transform_implILb1ES3_S5_PiS7_NS0_8identityIiEEEE10hipError_tT2_T3_mT4_P12ihipStream_tbEUlT_E_NS1_11comp_targetILNS1_3genE0ELNS1_11target_archE4294967295ELNS1_3gpuE0ELNS1_3repE0EEENS1_30default_config_static_selectorELNS0_4arch9wavefront6targetE1EEEvT1_
    .private_segment_fixed_size: 0
    .sgpr_count:     4
    .sgpr_spill_count: 0
    .symbol:         _ZN7rocprim17ROCPRIM_400000_NS6detail17trampoline_kernelINS0_14default_configENS1_25transform_config_selectorIiLb1EEEZNS1_14transform_implILb1ES3_S5_PiS7_NS0_8identityIiEEEE10hipError_tT2_T3_mT4_P12ihipStream_tbEUlT_E_NS1_11comp_targetILNS1_3genE0ELNS1_11target_archE4294967295ELNS1_3gpuE0ELNS1_3repE0EEENS1_30default_config_static_selectorELNS0_4arch9wavefront6targetE1EEEvT1_.kd
    .uniform_work_group_size: 1
    .uses_dynamic_stack: false
    .vgpr_count:     0
    .vgpr_spill_count: 0
    .wavefront_size: 64
  - .agpr_count:     0
    .args:
      - .offset:         0
        .size:           40
        .value_kind:     by_value
    .group_segment_fixed_size: 0
    .kernarg_segment_align: 8
    .kernarg_segment_size: 40
    .language:       OpenCL C
    .language_version:
      - 2
      - 0
    .max_flat_workgroup_size: 1024
    .name:           _ZN7rocprim17ROCPRIM_400000_NS6detail17trampoline_kernelINS0_14default_configENS1_25transform_config_selectorIiLb1EEEZNS1_14transform_implILb1ES3_S5_PiS7_NS0_8identityIiEEEE10hipError_tT2_T3_mT4_P12ihipStream_tbEUlT_E_NS1_11comp_targetILNS1_3genE10ELNS1_11target_archE1201ELNS1_3gpuE5ELNS1_3repE0EEENS1_30default_config_static_selectorELNS0_4arch9wavefront6targetE1EEEvT1_
    .private_segment_fixed_size: 0
    .sgpr_count:     4
    .sgpr_spill_count: 0
    .symbol:         _ZN7rocprim17ROCPRIM_400000_NS6detail17trampoline_kernelINS0_14default_configENS1_25transform_config_selectorIiLb1EEEZNS1_14transform_implILb1ES3_S5_PiS7_NS0_8identityIiEEEE10hipError_tT2_T3_mT4_P12ihipStream_tbEUlT_E_NS1_11comp_targetILNS1_3genE10ELNS1_11target_archE1201ELNS1_3gpuE5ELNS1_3repE0EEENS1_30default_config_static_selectorELNS0_4arch9wavefront6targetE1EEEvT1_.kd
    .uniform_work_group_size: 1
    .uses_dynamic_stack: false
    .vgpr_count:     0
    .vgpr_spill_count: 0
    .wavefront_size: 64
  - .agpr_count:     0
    .args:
      - .offset:         0
        .size:           40
        .value_kind:     by_value
    .group_segment_fixed_size: 0
    .kernarg_segment_align: 8
    .kernarg_segment_size: 40
    .language:       OpenCL C
    .language_version:
      - 2
      - 0
    .max_flat_workgroup_size: 256
    .name:           _ZN7rocprim17ROCPRIM_400000_NS6detail17trampoline_kernelINS0_14default_configENS1_25transform_config_selectorIiLb1EEEZNS1_14transform_implILb1ES3_S5_PiS7_NS0_8identityIiEEEE10hipError_tT2_T3_mT4_P12ihipStream_tbEUlT_E_NS1_11comp_targetILNS1_3genE5ELNS1_11target_archE942ELNS1_3gpuE9ELNS1_3repE0EEENS1_30default_config_static_selectorELNS0_4arch9wavefront6targetE1EEEvT1_
    .private_segment_fixed_size: 0
    .sgpr_count:     4
    .sgpr_spill_count: 0
    .symbol:         _ZN7rocprim17ROCPRIM_400000_NS6detail17trampoline_kernelINS0_14default_configENS1_25transform_config_selectorIiLb1EEEZNS1_14transform_implILb1ES3_S5_PiS7_NS0_8identityIiEEEE10hipError_tT2_T3_mT4_P12ihipStream_tbEUlT_E_NS1_11comp_targetILNS1_3genE5ELNS1_11target_archE942ELNS1_3gpuE9ELNS1_3repE0EEENS1_30default_config_static_selectorELNS0_4arch9wavefront6targetE1EEEvT1_.kd
    .uniform_work_group_size: 1
    .uses_dynamic_stack: false
    .vgpr_count:     0
    .vgpr_spill_count: 0
    .wavefront_size: 64
  - .agpr_count:     0
    .args:
      - .offset:         0
        .size:           40
        .value_kind:     by_value
      - .offset:         40
        .size:           4
        .value_kind:     hidden_block_count_x
      - .offset:         44
        .size:           4
        .value_kind:     hidden_block_count_y
      - .offset:         48
        .size:           4
        .value_kind:     hidden_block_count_z
      - .offset:         52
        .size:           2
        .value_kind:     hidden_group_size_x
      - .offset:         54
        .size:           2
        .value_kind:     hidden_group_size_y
      - .offset:         56
        .size:           2
        .value_kind:     hidden_group_size_z
      - .offset:         58
        .size:           2
        .value_kind:     hidden_remainder_x
      - .offset:         60
        .size:           2
        .value_kind:     hidden_remainder_y
      - .offset:         62
        .size:           2
        .value_kind:     hidden_remainder_z
      - .offset:         80
        .size:           8
        .value_kind:     hidden_global_offset_x
      - .offset:         88
        .size:           8
        .value_kind:     hidden_global_offset_y
      - .offset:         96
        .size:           8
        .value_kind:     hidden_global_offset_z
      - .offset:         104
        .size:           2
        .value_kind:     hidden_grid_dims
    .group_segment_fixed_size: 0
    .kernarg_segment_align: 8
    .kernarg_segment_size: 296
    .language:       OpenCL C
    .language_version:
      - 2
      - 0
    .max_flat_workgroup_size: 1024
    .name:           _ZN7rocprim17ROCPRIM_400000_NS6detail17trampoline_kernelINS0_14default_configENS1_25transform_config_selectorIiLb1EEEZNS1_14transform_implILb1ES3_S5_PiS7_NS0_8identityIiEEEE10hipError_tT2_T3_mT4_P12ihipStream_tbEUlT_E_NS1_11comp_targetILNS1_3genE4ELNS1_11target_archE910ELNS1_3gpuE8ELNS1_3repE0EEENS1_30default_config_static_selectorELNS0_4arch9wavefront6targetE1EEEvT1_
    .private_segment_fixed_size: 0
    .sgpr_count:     20
    .sgpr_spill_count: 0
    .symbol:         _ZN7rocprim17ROCPRIM_400000_NS6detail17trampoline_kernelINS0_14default_configENS1_25transform_config_selectorIiLb1EEEZNS1_14transform_implILb1ES3_S5_PiS7_NS0_8identityIiEEEE10hipError_tT2_T3_mT4_P12ihipStream_tbEUlT_E_NS1_11comp_targetILNS1_3genE4ELNS1_11target_archE910ELNS1_3gpuE8ELNS1_3repE0EEENS1_30default_config_static_selectorELNS0_4arch9wavefront6targetE1EEEvT1_.kd
    .uniform_work_group_size: 1
    .uses_dynamic_stack: false
    .vgpr_count:     8
    .vgpr_spill_count: 0
    .wavefront_size: 64
  - .agpr_count:     0
    .args:
      - .offset:         0
        .size:           40
        .value_kind:     by_value
    .group_segment_fixed_size: 0
    .kernarg_segment_align: 8
    .kernarg_segment_size: 40
    .language:       OpenCL C
    .language_version:
      - 2
      - 0
    .max_flat_workgroup_size: 128
    .name:           _ZN7rocprim17ROCPRIM_400000_NS6detail17trampoline_kernelINS0_14default_configENS1_25transform_config_selectorIiLb1EEEZNS1_14transform_implILb1ES3_S5_PiS7_NS0_8identityIiEEEE10hipError_tT2_T3_mT4_P12ihipStream_tbEUlT_E_NS1_11comp_targetILNS1_3genE3ELNS1_11target_archE908ELNS1_3gpuE7ELNS1_3repE0EEENS1_30default_config_static_selectorELNS0_4arch9wavefront6targetE1EEEvT1_
    .private_segment_fixed_size: 0
    .sgpr_count:     4
    .sgpr_spill_count: 0
    .symbol:         _ZN7rocprim17ROCPRIM_400000_NS6detail17trampoline_kernelINS0_14default_configENS1_25transform_config_selectorIiLb1EEEZNS1_14transform_implILb1ES3_S5_PiS7_NS0_8identityIiEEEE10hipError_tT2_T3_mT4_P12ihipStream_tbEUlT_E_NS1_11comp_targetILNS1_3genE3ELNS1_11target_archE908ELNS1_3gpuE7ELNS1_3repE0EEENS1_30default_config_static_selectorELNS0_4arch9wavefront6targetE1EEEvT1_.kd
    .uniform_work_group_size: 1
    .uses_dynamic_stack: false
    .vgpr_count:     0
    .vgpr_spill_count: 0
    .wavefront_size: 64
  - .agpr_count:     0
    .args:
      - .offset:         0
        .size:           40
        .value_kind:     by_value
    .group_segment_fixed_size: 0
    .kernarg_segment_align: 8
    .kernarg_segment_size: 40
    .language:       OpenCL C
    .language_version:
      - 2
      - 0
    .max_flat_workgroup_size: 1024
    .name:           _ZN7rocprim17ROCPRIM_400000_NS6detail17trampoline_kernelINS0_14default_configENS1_25transform_config_selectorIiLb1EEEZNS1_14transform_implILb1ES3_S5_PiS7_NS0_8identityIiEEEE10hipError_tT2_T3_mT4_P12ihipStream_tbEUlT_E_NS1_11comp_targetILNS1_3genE2ELNS1_11target_archE906ELNS1_3gpuE6ELNS1_3repE0EEENS1_30default_config_static_selectorELNS0_4arch9wavefront6targetE1EEEvT1_
    .private_segment_fixed_size: 0
    .sgpr_count:     4
    .sgpr_spill_count: 0
    .symbol:         _ZN7rocprim17ROCPRIM_400000_NS6detail17trampoline_kernelINS0_14default_configENS1_25transform_config_selectorIiLb1EEEZNS1_14transform_implILb1ES3_S5_PiS7_NS0_8identityIiEEEE10hipError_tT2_T3_mT4_P12ihipStream_tbEUlT_E_NS1_11comp_targetILNS1_3genE2ELNS1_11target_archE906ELNS1_3gpuE6ELNS1_3repE0EEENS1_30default_config_static_selectorELNS0_4arch9wavefront6targetE1EEEvT1_.kd
    .uniform_work_group_size: 1
    .uses_dynamic_stack: false
    .vgpr_count:     0
    .vgpr_spill_count: 0
    .wavefront_size: 64
  - .agpr_count:     0
    .args:
      - .offset:         0
        .size:           40
        .value_kind:     by_value
    .group_segment_fixed_size: 0
    .kernarg_segment_align: 8
    .kernarg_segment_size: 40
    .language:       OpenCL C
    .language_version:
      - 2
      - 0
    .max_flat_workgroup_size: 1024
    .name:           _ZN7rocprim17ROCPRIM_400000_NS6detail17trampoline_kernelINS0_14default_configENS1_25transform_config_selectorIiLb1EEEZNS1_14transform_implILb1ES3_S5_PiS7_NS0_8identityIiEEEE10hipError_tT2_T3_mT4_P12ihipStream_tbEUlT_E_NS1_11comp_targetILNS1_3genE9ELNS1_11target_archE1100ELNS1_3gpuE3ELNS1_3repE0EEENS1_30default_config_static_selectorELNS0_4arch9wavefront6targetE1EEEvT1_
    .private_segment_fixed_size: 0
    .sgpr_count:     4
    .sgpr_spill_count: 0
    .symbol:         _ZN7rocprim17ROCPRIM_400000_NS6detail17trampoline_kernelINS0_14default_configENS1_25transform_config_selectorIiLb1EEEZNS1_14transform_implILb1ES3_S5_PiS7_NS0_8identityIiEEEE10hipError_tT2_T3_mT4_P12ihipStream_tbEUlT_E_NS1_11comp_targetILNS1_3genE9ELNS1_11target_archE1100ELNS1_3gpuE3ELNS1_3repE0EEENS1_30default_config_static_selectorELNS0_4arch9wavefront6targetE1EEEvT1_.kd
    .uniform_work_group_size: 1
    .uses_dynamic_stack: false
    .vgpr_count:     0
    .vgpr_spill_count: 0
    .wavefront_size: 64
  - .agpr_count:     0
    .args:
      - .offset:         0
        .size:           40
        .value_kind:     by_value
    .group_segment_fixed_size: 0
    .kernarg_segment_align: 8
    .kernarg_segment_size: 40
    .language:       OpenCL C
    .language_version:
      - 2
      - 0
    .max_flat_workgroup_size: 1024
    .name:           _ZN7rocprim17ROCPRIM_400000_NS6detail17trampoline_kernelINS0_14default_configENS1_25transform_config_selectorIiLb1EEEZNS1_14transform_implILb1ES3_S5_PiS7_NS0_8identityIiEEEE10hipError_tT2_T3_mT4_P12ihipStream_tbEUlT_E_NS1_11comp_targetILNS1_3genE8ELNS1_11target_archE1030ELNS1_3gpuE2ELNS1_3repE0EEENS1_30default_config_static_selectorELNS0_4arch9wavefront6targetE1EEEvT1_
    .private_segment_fixed_size: 0
    .sgpr_count:     4
    .sgpr_spill_count: 0
    .symbol:         _ZN7rocprim17ROCPRIM_400000_NS6detail17trampoline_kernelINS0_14default_configENS1_25transform_config_selectorIiLb1EEEZNS1_14transform_implILb1ES3_S5_PiS7_NS0_8identityIiEEEE10hipError_tT2_T3_mT4_P12ihipStream_tbEUlT_E_NS1_11comp_targetILNS1_3genE8ELNS1_11target_archE1030ELNS1_3gpuE2ELNS1_3repE0EEENS1_30default_config_static_selectorELNS0_4arch9wavefront6targetE1EEEvT1_.kd
    .uniform_work_group_size: 1
    .uses_dynamic_stack: false
    .vgpr_count:     0
    .vgpr_spill_count: 0
    .wavefront_size: 64
  - .agpr_count:     0
    .args:
      - .offset:         0
        .size:           32
        .value_kind:     by_value
    .group_segment_fixed_size: 0
    .kernarg_segment_align: 8
    .kernarg_segment_size: 32
    .language:       OpenCL C
    .language_version:
      - 2
      - 0
    .max_flat_workgroup_size: 256
    .name:           _ZN7rocprim17ROCPRIM_400000_NS6detail17trampoline_kernelINS0_14default_configENS1_20scan_config_selectorIiEEZZNS1_9scan_implILNS1_25lookback_scan_determinismE0ELb0ELb0ES3_PiS8_iN6thrust23THRUST_200600_302600_NS4plusIvEEiEEDaPvRmT3_T4_T5_mT6_P12ihipStream_tbENKUlT_T0_E_clISt17integral_constantIbLb0EESQ_EEDaSL_SM_EUlSL_E0_NS1_11comp_targetILNS1_3genE0ELNS1_11target_archE4294967295ELNS1_3gpuE0ELNS1_3repE0EEENS1_30default_config_static_selectorELNS0_4arch9wavefront6targetE1EEEvT1_
    .private_segment_fixed_size: 0
    .sgpr_count:     4
    .sgpr_spill_count: 0
    .symbol:         _ZN7rocprim17ROCPRIM_400000_NS6detail17trampoline_kernelINS0_14default_configENS1_20scan_config_selectorIiEEZZNS1_9scan_implILNS1_25lookback_scan_determinismE0ELb0ELb0ES3_PiS8_iN6thrust23THRUST_200600_302600_NS4plusIvEEiEEDaPvRmT3_T4_T5_mT6_P12ihipStream_tbENKUlT_T0_E_clISt17integral_constantIbLb0EESQ_EEDaSL_SM_EUlSL_E0_NS1_11comp_targetILNS1_3genE0ELNS1_11target_archE4294967295ELNS1_3gpuE0ELNS1_3repE0EEENS1_30default_config_static_selectorELNS0_4arch9wavefront6targetE1EEEvT1_.kd
    .uniform_work_group_size: 1
    .uses_dynamic_stack: false
    .vgpr_count:     0
    .vgpr_spill_count: 0
    .wavefront_size: 64
  - .agpr_count:     0
    .args:
      - .offset:         0
        .size:           32
        .value_kind:     by_value
    .group_segment_fixed_size: 0
    .kernarg_segment_align: 8
    .kernarg_segment_size: 32
    .language:       OpenCL C
    .language_version:
      - 2
      - 0
    .max_flat_workgroup_size: 256
    .name:           _ZN7rocprim17ROCPRIM_400000_NS6detail17trampoline_kernelINS0_14default_configENS1_20scan_config_selectorIiEEZZNS1_9scan_implILNS1_25lookback_scan_determinismE0ELb0ELb0ES3_PiS8_iN6thrust23THRUST_200600_302600_NS4plusIvEEiEEDaPvRmT3_T4_T5_mT6_P12ihipStream_tbENKUlT_T0_E_clISt17integral_constantIbLb0EESQ_EEDaSL_SM_EUlSL_E0_NS1_11comp_targetILNS1_3genE5ELNS1_11target_archE942ELNS1_3gpuE9ELNS1_3repE0EEENS1_30default_config_static_selectorELNS0_4arch9wavefront6targetE1EEEvT1_
    .private_segment_fixed_size: 0
    .sgpr_count:     4
    .sgpr_spill_count: 0
    .symbol:         _ZN7rocprim17ROCPRIM_400000_NS6detail17trampoline_kernelINS0_14default_configENS1_20scan_config_selectorIiEEZZNS1_9scan_implILNS1_25lookback_scan_determinismE0ELb0ELb0ES3_PiS8_iN6thrust23THRUST_200600_302600_NS4plusIvEEiEEDaPvRmT3_T4_T5_mT6_P12ihipStream_tbENKUlT_T0_E_clISt17integral_constantIbLb0EESQ_EEDaSL_SM_EUlSL_E0_NS1_11comp_targetILNS1_3genE5ELNS1_11target_archE942ELNS1_3gpuE9ELNS1_3repE0EEENS1_30default_config_static_selectorELNS0_4arch9wavefront6targetE1EEEvT1_.kd
    .uniform_work_group_size: 1
    .uses_dynamic_stack: false
    .vgpr_count:     0
    .vgpr_spill_count: 0
    .wavefront_size: 64
  - .agpr_count:     0
    .args:
      - .offset:         0
        .size:           32
        .value_kind:     by_value
    .group_segment_fixed_size: 5120
    .kernarg_segment_align: 8
    .kernarg_segment_size: 32
    .language:       OpenCL C
    .language_version:
      - 2
      - 0
    .max_flat_workgroup_size: 128
    .name:           _ZN7rocprim17ROCPRIM_400000_NS6detail17trampoline_kernelINS0_14default_configENS1_20scan_config_selectorIiEEZZNS1_9scan_implILNS1_25lookback_scan_determinismE0ELb0ELb0ES3_PiS8_iN6thrust23THRUST_200600_302600_NS4plusIvEEiEEDaPvRmT3_T4_T5_mT6_P12ihipStream_tbENKUlT_T0_E_clISt17integral_constantIbLb0EESQ_EEDaSL_SM_EUlSL_E0_NS1_11comp_targetILNS1_3genE4ELNS1_11target_archE910ELNS1_3gpuE8ELNS1_3repE0EEENS1_30default_config_static_selectorELNS0_4arch9wavefront6targetE1EEEvT1_
    .private_segment_fixed_size: 0
    .sgpr_count:     28
    .sgpr_spill_count: 0
    .symbol:         _ZN7rocprim17ROCPRIM_400000_NS6detail17trampoline_kernelINS0_14default_configENS1_20scan_config_selectorIiEEZZNS1_9scan_implILNS1_25lookback_scan_determinismE0ELb0ELb0ES3_PiS8_iN6thrust23THRUST_200600_302600_NS4plusIvEEiEEDaPvRmT3_T4_T5_mT6_P12ihipStream_tbENKUlT_T0_E_clISt17integral_constantIbLb0EESQ_EEDaSL_SM_EUlSL_E0_NS1_11comp_targetILNS1_3genE4ELNS1_11target_archE910ELNS1_3gpuE8ELNS1_3repE0EEENS1_30default_config_static_selectorELNS0_4arch9wavefront6targetE1EEEvT1_.kd
    .uniform_work_group_size: 1
    .uses_dynamic_stack: false
    .vgpr_count:     27
    .vgpr_spill_count: 0
    .wavefront_size: 64
  - .agpr_count:     0
    .args:
      - .offset:         0
        .size:           32
        .value_kind:     by_value
    .group_segment_fixed_size: 0
    .kernarg_segment_align: 8
    .kernarg_segment_size: 32
    .language:       OpenCL C
    .language_version:
      - 2
      - 0
    .max_flat_workgroup_size: 256
    .name:           _ZN7rocprim17ROCPRIM_400000_NS6detail17trampoline_kernelINS0_14default_configENS1_20scan_config_selectorIiEEZZNS1_9scan_implILNS1_25lookback_scan_determinismE0ELb0ELb0ES3_PiS8_iN6thrust23THRUST_200600_302600_NS4plusIvEEiEEDaPvRmT3_T4_T5_mT6_P12ihipStream_tbENKUlT_T0_E_clISt17integral_constantIbLb0EESQ_EEDaSL_SM_EUlSL_E0_NS1_11comp_targetILNS1_3genE3ELNS1_11target_archE908ELNS1_3gpuE7ELNS1_3repE0EEENS1_30default_config_static_selectorELNS0_4arch9wavefront6targetE1EEEvT1_
    .private_segment_fixed_size: 0
    .sgpr_count:     4
    .sgpr_spill_count: 0
    .symbol:         _ZN7rocprim17ROCPRIM_400000_NS6detail17trampoline_kernelINS0_14default_configENS1_20scan_config_selectorIiEEZZNS1_9scan_implILNS1_25lookback_scan_determinismE0ELb0ELb0ES3_PiS8_iN6thrust23THRUST_200600_302600_NS4plusIvEEiEEDaPvRmT3_T4_T5_mT6_P12ihipStream_tbENKUlT_T0_E_clISt17integral_constantIbLb0EESQ_EEDaSL_SM_EUlSL_E0_NS1_11comp_targetILNS1_3genE3ELNS1_11target_archE908ELNS1_3gpuE7ELNS1_3repE0EEENS1_30default_config_static_selectorELNS0_4arch9wavefront6targetE1EEEvT1_.kd
    .uniform_work_group_size: 1
    .uses_dynamic_stack: false
    .vgpr_count:     0
    .vgpr_spill_count: 0
    .wavefront_size: 64
  - .agpr_count:     0
    .args:
      - .offset:         0
        .size:           32
        .value_kind:     by_value
    .group_segment_fixed_size: 0
    .kernarg_segment_align: 8
    .kernarg_segment_size: 32
    .language:       OpenCL C
    .language_version:
      - 2
      - 0
    .max_flat_workgroup_size: 256
    .name:           _ZN7rocprim17ROCPRIM_400000_NS6detail17trampoline_kernelINS0_14default_configENS1_20scan_config_selectorIiEEZZNS1_9scan_implILNS1_25lookback_scan_determinismE0ELb0ELb0ES3_PiS8_iN6thrust23THRUST_200600_302600_NS4plusIvEEiEEDaPvRmT3_T4_T5_mT6_P12ihipStream_tbENKUlT_T0_E_clISt17integral_constantIbLb0EESQ_EEDaSL_SM_EUlSL_E0_NS1_11comp_targetILNS1_3genE2ELNS1_11target_archE906ELNS1_3gpuE6ELNS1_3repE0EEENS1_30default_config_static_selectorELNS0_4arch9wavefront6targetE1EEEvT1_
    .private_segment_fixed_size: 0
    .sgpr_count:     4
    .sgpr_spill_count: 0
    .symbol:         _ZN7rocprim17ROCPRIM_400000_NS6detail17trampoline_kernelINS0_14default_configENS1_20scan_config_selectorIiEEZZNS1_9scan_implILNS1_25lookback_scan_determinismE0ELb0ELb0ES3_PiS8_iN6thrust23THRUST_200600_302600_NS4plusIvEEiEEDaPvRmT3_T4_T5_mT6_P12ihipStream_tbENKUlT_T0_E_clISt17integral_constantIbLb0EESQ_EEDaSL_SM_EUlSL_E0_NS1_11comp_targetILNS1_3genE2ELNS1_11target_archE906ELNS1_3gpuE6ELNS1_3repE0EEENS1_30default_config_static_selectorELNS0_4arch9wavefront6targetE1EEEvT1_.kd
    .uniform_work_group_size: 1
    .uses_dynamic_stack: false
    .vgpr_count:     0
    .vgpr_spill_count: 0
    .wavefront_size: 64
  - .agpr_count:     0
    .args:
      - .offset:         0
        .size:           32
        .value_kind:     by_value
    .group_segment_fixed_size: 0
    .kernarg_segment_align: 8
    .kernarg_segment_size: 32
    .language:       OpenCL C
    .language_version:
      - 2
      - 0
    .max_flat_workgroup_size: 256
    .name:           _ZN7rocprim17ROCPRIM_400000_NS6detail17trampoline_kernelINS0_14default_configENS1_20scan_config_selectorIiEEZZNS1_9scan_implILNS1_25lookback_scan_determinismE0ELb0ELb0ES3_PiS8_iN6thrust23THRUST_200600_302600_NS4plusIvEEiEEDaPvRmT3_T4_T5_mT6_P12ihipStream_tbENKUlT_T0_E_clISt17integral_constantIbLb0EESQ_EEDaSL_SM_EUlSL_E0_NS1_11comp_targetILNS1_3genE10ELNS1_11target_archE1201ELNS1_3gpuE5ELNS1_3repE0EEENS1_30default_config_static_selectorELNS0_4arch9wavefront6targetE1EEEvT1_
    .private_segment_fixed_size: 0
    .sgpr_count:     4
    .sgpr_spill_count: 0
    .symbol:         _ZN7rocprim17ROCPRIM_400000_NS6detail17trampoline_kernelINS0_14default_configENS1_20scan_config_selectorIiEEZZNS1_9scan_implILNS1_25lookback_scan_determinismE0ELb0ELb0ES3_PiS8_iN6thrust23THRUST_200600_302600_NS4plusIvEEiEEDaPvRmT3_T4_T5_mT6_P12ihipStream_tbENKUlT_T0_E_clISt17integral_constantIbLb0EESQ_EEDaSL_SM_EUlSL_E0_NS1_11comp_targetILNS1_3genE10ELNS1_11target_archE1201ELNS1_3gpuE5ELNS1_3repE0EEENS1_30default_config_static_selectorELNS0_4arch9wavefront6targetE1EEEvT1_.kd
    .uniform_work_group_size: 1
    .uses_dynamic_stack: false
    .vgpr_count:     0
    .vgpr_spill_count: 0
    .wavefront_size: 64
  - .agpr_count:     0
    .args:
      - .offset:         0
        .size:           32
        .value_kind:     by_value
    .group_segment_fixed_size: 0
    .kernarg_segment_align: 8
    .kernarg_segment_size: 32
    .language:       OpenCL C
    .language_version:
      - 2
      - 0
    .max_flat_workgroup_size: 256
    .name:           _ZN7rocprim17ROCPRIM_400000_NS6detail17trampoline_kernelINS0_14default_configENS1_20scan_config_selectorIiEEZZNS1_9scan_implILNS1_25lookback_scan_determinismE0ELb0ELb0ES3_PiS8_iN6thrust23THRUST_200600_302600_NS4plusIvEEiEEDaPvRmT3_T4_T5_mT6_P12ihipStream_tbENKUlT_T0_E_clISt17integral_constantIbLb0EESQ_EEDaSL_SM_EUlSL_E0_NS1_11comp_targetILNS1_3genE10ELNS1_11target_archE1200ELNS1_3gpuE4ELNS1_3repE0EEENS1_30default_config_static_selectorELNS0_4arch9wavefront6targetE1EEEvT1_
    .private_segment_fixed_size: 0
    .sgpr_count:     4
    .sgpr_spill_count: 0
    .symbol:         _ZN7rocprim17ROCPRIM_400000_NS6detail17trampoline_kernelINS0_14default_configENS1_20scan_config_selectorIiEEZZNS1_9scan_implILNS1_25lookback_scan_determinismE0ELb0ELb0ES3_PiS8_iN6thrust23THRUST_200600_302600_NS4plusIvEEiEEDaPvRmT3_T4_T5_mT6_P12ihipStream_tbENKUlT_T0_E_clISt17integral_constantIbLb0EESQ_EEDaSL_SM_EUlSL_E0_NS1_11comp_targetILNS1_3genE10ELNS1_11target_archE1200ELNS1_3gpuE4ELNS1_3repE0EEENS1_30default_config_static_selectorELNS0_4arch9wavefront6targetE1EEEvT1_.kd
    .uniform_work_group_size: 1
    .uses_dynamic_stack: false
    .vgpr_count:     0
    .vgpr_spill_count: 0
    .wavefront_size: 64
  - .agpr_count:     0
    .args:
      - .offset:         0
        .size:           32
        .value_kind:     by_value
    .group_segment_fixed_size: 0
    .kernarg_segment_align: 8
    .kernarg_segment_size: 32
    .language:       OpenCL C
    .language_version:
      - 2
      - 0
    .max_flat_workgroup_size: 256
    .name:           _ZN7rocprim17ROCPRIM_400000_NS6detail17trampoline_kernelINS0_14default_configENS1_20scan_config_selectorIiEEZZNS1_9scan_implILNS1_25lookback_scan_determinismE0ELb0ELb0ES3_PiS8_iN6thrust23THRUST_200600_302600_NS4plusIvEEiEEDaPvRmT3_T4_T5_mT6_P12ihipStream_tbENKUlT_T0_E_clISt17integral_constantIbLb0EESQ_EEDaSL_SM_EUlSL_E0_NS1_11comp_targetILNS1_3genE9ELNS1_11target_archE1100ELNS1_3gpuE3ELNS1_3repE0EEENS1_30default_config_static_selectorELNS0_4arch9wavefront6targetE1EEEvT1_
    .private_segment_fixed_size: 0
    .sgpr_count:     4
    .sgpr_spill_count: 0
    .symbol:         _ZN7rocprim17ROCPRIM_400000_NS6detail17trampoline_kernelINS0_14default_configENS1_20scan_config_selectorIiEEZZNS1_9scan_implILNS1_25lookback_scan_determinismE0ELb0ELb0ES3_PiS8_iN6thrust23THRUST_200600_302600_NS4plusIvEEiEEDaPvRmT3_T4_T5_mT6_P12ihipStream_tbENKUlT_T0_E_clISt17integral_constantIbLb0EESQ_EEDaSL_SM_EUlSL_E0_NS1_11comp_targetILNS1_3genE9ELNS1_11target_archE1100ELNS1_3gpuE3ELNS1_3repE0EEENS1_30default_config_static_selectorELNS0_4arch9wavefront6targetE1EEEvT1_.kd
    .uniform_work_group_size: 1
    .uses_dynamic_stack: false
    .vgpr_count:     0
    .vgpr_spill_count: 0
    .wavefront_size: 64
  - .agpr_count:     0
    .args:
      - .offset:         0
        .size:           32
        .value_kind:     by_value
    .group_segment_fixed_size: 0
    .kernarg_segment_align: 8
    .kernarg_segment_size: 32
    .language:       OpenCL C
    .language_version:
      - 2
      - 0
    .max_flat_workgroup_size: 64
    .name:           _ZN7rocprim17ROCPRIM_400000_NS6detail17trampoline_kernelINS0_14default_configENS1_20scan_config_selectorIiEEZZNS1_9scan_implILNS1_25lookback_scan_determinismE0ELb0ELb0ES3_PiS8_iN6thrust23THRUST_200600_302600_NS4plusIvEEiEEDaPvRmT3_T4_T5_mT6_P12ihipStream_tbENKUlT_T0_E_clISt17integral_constantIbLb0EESQ_EEDaSL_SM_EUlSL_E0_NS1_11comp_targetILNS1_3genE8ELNS1_11target_archE1030ELNS1_3gpuE2ELNS1_3repE0EEENS1_30default_config_static_selectorELNS0_4arch9wavefront6targetE1EEEvT1_
    .private_segment_fixed_size: 0
    .sgpr_count:     4
    .sgpr_spill_count: 0
    .symbol:         _ZN7rocprim17ROCPRIM_400000_NS6detail17trampoline_kernelINS0_14default_configENS1_20scan_config_selectorIiEEZZNS1_9scan_implILNS1_25lookback_scan_determinismE0ELb0ELb0ES3_PiS8_iN6thrust23THRUST_200600_302600_NS4plusIvEEiEEDaPvRmT3_T4_T5_mT6_P12ihipStream_tbENKUlT_T0_E_clISt17integral_constantIbLb0EESQ_EEDaSL_SM_EUlSL_E0_NS1_11comp_targetILNS1_3genE8ELNS1_11target_archE1030ELNS1_3gpuE2ELNS1_3repE0EEENS1_30default_config_static_selectorELNS0_4arch9wavefront6targetE1EEEvT1_.kd
    .uniform_work_group_size: 1
    .uses_dynamic_stack: false
    .vgpr_count:     0
    .vgpr_spill_count: 0
    .wavefront_size: 64
  - .agpr_count:     0
    .args:
      - .address_space:  global
        .offset:         0
        .size:           8
        .value_kind:     global_buffer
      - .offset:         8
        .size:           4
        .value_kind:     by_value
      - .address_space:  global
        .offset:         16
        .size:           8
        .value_kind:     global_buffer
      - .offset:         24
        .size:           4
        .value_kind:     by_value
      - .address_space:  global
        .offset:         32
        .size:           8
        .value_kind:     global_buffer
      - .offset:         40
        .size:           4
        .value_kind:     hidden_block_count_x
      - .offset:         44
        .size:           4
        .value_kind:     hidden_block_count_y
      - .offset:         48
        .size:           4
        .value_kind:     hidden_block_count_z
      - .offset:         52
        .size:           2
        .value_kind:     hidden_group_size_x
      - .offset:         54
        .size:           2
        .value_kind:     hidden_group_size_y
      - .offset:         56
        .size:           2
        .value_kind:     hidden_group_size_z
      - .offset:         58
        .size:           2
        .value_kind:     hidden_remainder_x
      - .offset:         60
        .size:           2
        .value_kind:     hidden_remainder_y
      - .offset:         62
        .size:           2
        .value_kind:     hidden_remainder_z
      - .offset:         80
        .size:           8
        .value_kind:     hidden_global_offset_x
      - .offset:         88
        .size:           8
        .value_kind:     hidden_global_offset_y
      - .offset:         96
        .size:           8
        .value_kind:     hidden_global_offset_z
      - .offset:         104
        .size:           2
        .value_kind:     hidden_grid_dims
    .group_segment_fixed_size: 0
    .kernarg_segment_align: 8
    .kernarg_segment_size: 296
    .language:       OpenCL C
    .language_version:
      - 2
      - 0
    .max_flat_workgroup_size: 256
    .name:           _ZN7rocprim17ROCPRIM_400000_NS6detail31init_lookback_scan_state_kernelINS1_19lookback_scan_stateIiLb1ELb1EEENS1_16block_id_wrapperIjLb1EEEEEvT_jT0_jPNS7_10value_typeE
    .private_segment_fixed_size: 0
    .sgpr_count:     18
    .sgpr_spill_count: 0
    .symbol:         _ZN7rocprim17ROCPRIM_400000_NS6detail31init_lookback_scan_state_kernelINS1_19lookback_scan_stateIiLb1ELb1EEENS1_16block_id_wrapperIjLb1EEEEEvT_jT0_jPNS7_10value_typeE.kd
    .uniform_work_group_size: 1
    .uses_dynamic_stack: false
    .vgpr_count:     6
    .vgpr_spill_count: 0
    .wavefront_size: 64
  - .agpr_count:     0
    .args:
      - .offset:         0
        .size:           96
        .value_kind:     by_value
    .group_segment_fixed_size: 0
    .kernarg_segment_align: 8
    .kernarg_segment_size: 96
    .language:       OpenCL C
    .language_version:
      - 2
      - 0
    .max_flat_workgroup_size: 256
    .name:           _ZN7rocprim17ROCPRIM_400000_NS6detail17trampoline_kernelINS0_14default_configENS1_20scan_config_selectorIiEEZZNS1_9scan_implILNS1_25lookback_scan_determinismE0ELb0ELb0ES3_PiS8_iN6thrust23THRUST_200600_302600_NS4plusIvEEiEEDaPvRmT3_T4_T5_mT6_P12ihipStream_tbENKUlT_T0_E_clISt17integral_constantIbLb1EESQ_EEDaSL_SM_EUlSL_E_NS1_11comp_targetILNS1_3genE0ELNS1_11target_archE4294967295ELNS1_3gpuE0ELNS1_3repE0EEENS1_30default_config_static_selectorELNS0_4arch9wavefront6targetE1EEEvT1_
    .private_segment_fixed_size: 0
    .sgpr_count:     4
    .sgpr_spill_count: 0
    .symbol:         _ZN7rocprim17ROCPRIM_400000_NS6detail17trampoline_kernelINS0_14default_configENS1_20scan_config_selectorIiEEZZNS1_9scan_implILNS1_25lookback_scan_determinismE0ELb0ELb0ES3_PiS8_iN6thrust23THRUST_200600_302600_NS4plusIvEEiEEDaPvRmT3_T4_T5_mT6_P12ihipStream_tbENKUlT_T0_E_clISt17integral_constantIbLb1EESQ_EEDaSL_SM_EUlSL_E_NS1_11comp_targetILNS1_3genE0ELNS1_11target_archE4294967295ELNS1_3gpuE0ELNS1_3repE0EEENS1_30default_config_static_selectorELNS0_4arch9wavefront6targetE1EEEvT1_.kd
    .uniform_work_group_size: 1
    .uses_dynamic_stack: false
    .vgpr_count:     0
    .vgpr_spill_count: 0
    .wavefront_size: 64
  - .agpr_count:     0
    .args:
      - .offset:         0
        .size:           96
        .value_kind:     by_value
    .group_segment_fixed_size: 0
    .kernarg_segment_align: 8
    .kernarg_segment_size: 96
    .language:       OpenCL C
    .language_version:
      - 2
      - 0
    .max_flat_workgroup_size: 256
    .name:           _ZN7rocprim17ROCPRIM_400000_NS6detail17trampoline_kernelINS0_14default_configENS1_20scan_config_selectorIiEEZZNS1_9scan_implILNS1_25lookback_scan_determinismE0ELb0ELb0ES3_PiS8_iN6thrust23THRUST_200600_302600_NS4plusIvEEiEEDaPvRmT3_T4_T5_mT6_P12ihipStream_tbENKUlT_T0_E_clISt17integral_constantIbLb1EESQ_EEDaSL_SM_EUlSL_E_NS1_11comp_targetILNS1_3genE5ELNS1_11target_archE942ELNS1_3gpuE9ELNS1_3repE0EEENS1_30default_config_static_selectorELNS0_4arch9wavefront6targetE1EEEvT1_
    .private_segment_fixed_size: 0
    .sgpr_count:     4
    .sgpr_spill_count: 0
    .symbol:         _ZN7rocprim17ROCPRIM_400000_NS6detail17trampoline_kernelINS0_14default_configENS1_20scan_config_selectorIiEEZZNS1_9scan_implILNS1_25lookback_scan_determinismE0ELb0ELb0ES3_PiS8_iN6thrust23THRUST_200600_302600_NS4plusIvEEiEEDaPvRmT3_T4_T5_mT6_P12ihipStream_tbENKUlT_T0_E_clISt17integral_constantIbLb1EESQ_EEDaSL_SM_EUlSL_E_NS1_11comp_targetILNS1_3genE5ELNS1_11target_archE942ELNS1_3gpuE9ELNS1_3repE0EEENS1_30default_config_static_selectorELNS0_4arch9wavefront6targetE1EEEvT1_.kd
    .uniform_work_group_size: 1
    .uses_dynamic_stack: false
    .vgpr_count:     0
    .vgpr_spill_count: 0
    .wavefront_size: 64
  - .agpr_count:     0
    .args:
      - .offset:         0
        .size:           96
        .value_kind:     by_value
    .group_segment_fixed_size: 5120
    .kernarg_segment_align: 8
    .kernarg_segment_size: 96
    .language:       OpenCL C
    .language_version:
      - 2
      - 0
    .max_flat_workgroup_size: 128
    .name:           _ZN7rocprim17ROCPRIM_400000_NS6detail17trampoline_kernelINS0_14default_configENS1_20scan_config_selectorIiEEZZNS1_9scan_implILNS1_25lookback_scan_determinismE0ELb0ELb0ES3_PiS8_iN6thrust23THRUST_200600_302600_NS4plusIvEEiEEDaPvRmT3_T4_T5_mT6_P12ihipStream_tbENKUlT_T0_E_clISt17integral_constantIbLb1EESQ_EEDaSL_SM_EUlSL_E_NS1_11comp_targetILNS1_3genE4ELNS1_11target_archE910ELNS1_3gpuE8ELNS1_3repE0EEENS1_30default_config_static_selectorELNS0_4arch9wavefront6targetE1EEEvT1_
    .private_segment_fixed_size: 0
    .sgpr_count:     42
    .sgpr_spill_count: 0
    .symbol:         _ZN7rocprim17ROCPRIM_400000_NS6detail17trampoline_kernelINS0_14default_configENS1_20scan_config_selectorIiEEZZNS1_9scan_implILNS1_25lookback_scan_determinismE0ELb0ELb0ES3_PiS8_iN6thrust23THRUST_200600_302600_NS4plusIvEEiEEDaPvRmT3_T4_T5_mT6_P12ihipStream_tbENKUlT_T0_E_clISt17integral_constantIbLb1EESQ_EEDaSL_SM_EUlSL_E_NS1_11comp_targetILNS1_3genE4ELNS1_11target_archE910ELNS1_3gpuE8ELNS1_3repE0EEENS1_30default_config_static_selectorELNS0_4arch9wavefront6targetE1EEEvT1_.kd
    .uniform_work_group_size: 1
    .uses_dynamic_stack: false
    .vgpr_count:     40
    .vgpr_spill_count: 0
    .wavefront_size: 64
  - .agpr_count:     0
    .args:
      - .offset:         0
        .size:           96
        .value_kind:     by_value
    .group_segment_fixed_size: 0
    .kernarg_segment_align: 8
    .kernarg_segment_size: 96
    .language:       OpenCL C
    .language_version:
      - 2
      - 0
    .max_flat_workgroup_size: 256
    .name:           _ZN7rocprim17ROCPRIM_400000_NS6detail17trampoline_kernelINS0_14default_configENS1_20scan_config_selectorIiEEZZNS1_9scan_implILNS1_25lookback_scan_determinismE0ELb0ELb0ES3_PiS8_iN6thrust23THRUST_200600_302600_NS4plusIvEEiEEDaPvRmT3_T4_T5_mT6_P12ihipStream_tbENKUlT_T0_E_clISt17integral_constantIbLb1EESQ_EEDaSL_SM_EUlSL_E_NS1_11comp_targetILNS1_3genE3ELNS1_11target_archE908ELNS1_3gpuE7ELNS1_3repE0EEENS1_30default_config_static_selectorELNS0_4arch9wavefront6targetE1EEEvT1_
    .private_segment_fixed_size: 0
    .sgpr_count:     4
    .sgpr_spill_count: 0
    .symbol:         _ZN7rocprim17ROCPRIM_400000_NS6detail17trampoline_kernelINS0_14default_configENS1_20scan_config_selectorIiEEZZNS1_9scan_implILNS1_25lookback_scan_determinismE0ELb0ELb0ES3_PiS8_iN6thrust23THRUST_200600_302600_NS4plusIvEEiEEDaPvRmT3_T4_T5_mT6_P12ihipStream_tbENKUlT_T0_E_clISt17integral_constantIbLb1EESQ_EEDaSL_SM_EUlSL_E_NS1_11comp_targetILNS1_3genE3ELNS1_11target_archE908ELNS1_3gpuE7ELNS1_3repE0EEENS1_30default_config_static_selectorELNS0_4arch9wavefront6targetE1EEEvT1_.kd
    .uniform_work_group_size: 1
    .uses_dynamic_stack: false
    .vgpr_count:     0
    .vgpr_spill_count: 0
    .wavefront_size: 64
  - .agpr_count:     0
    .args:
      - .offset:         0
        .size:           96
        .value_kind:     by_value
    .group_segment_fixed_size: 0
    .kernarg_segment_align: 8
    .kernarg_segment_size: 96
    .language:       OpenCL C
    .language_version:
      - 2
      - 0
    .max_flat_workgroup_size: 256
    .name:           _ZN7rocprim17ROCPRIM_400000_NS6detail17trampoline_kernelINS0_14default_configENS1_20scan_config_selectorIiEEZZNS1_9scan_implILNS1_25lookback_scan_determinismE0ELb0ELb0ES3_PiS8_iN6thrust23THRUST_200600_302600_NS4plusIvEEiEEDaPvRmT3_T4_T5_mT6_P12ihipStream_tbENKUlT_T0_E_clISt17integral_constantIbLb1EESQ_EEDaSL_SM_EUlSL_E_NS1_11comp_targetILNS1_3genE2ELNS1_11target_archE906ELNS1_3gpuE6ELNS1_3repE0EEENS1_30default_config_static_selectorELNS0_4arch9wavefront6targetE1EEEvT1_
    .private_segment_fixed_size: 0
    .sgpr_count:     4
    .sgpr_spill_count: 0
    .symbol:         _ZN7rocprim17ROCPRIM_400000_NS6detail17trampoline_kernelINS0_14default_configENS1_20scan_config_selectorIiEEZZNS1_9scan_implILNS1_25lookback_scan_determinismE0ELb0ELb0ES3_PiS8_iN6thrust23THRUST_200600_302600_NS4plusIvEEiEEDaPvRmT3_T4_T5_mT6_P12ihipStream_tbENKUlT_T0_E_clISt17integral_constantIbLb1EESQ_EEDaSL_SM_EUlSL_E_NS1_11comp_targetILNS1_3genE2ELNS1_11target_archE906ELNS1_3gpuE6ELNS1_3repE0EEENS1_30default_config_static_selectorELNS0_4arch9wavefront6targetE1EEEvT1_.kd
    .uniform_work_group_size: 1
    .uses_dynamic_stack: false
    .vgpr_count:     0
    .vgpr_spill_count: 0
    .wavefront_size: 64
  - .agpr_count:     0
    .args:
      - .offset:         0
        .size:           96
        .value_kind:     by_value
    .group_segment_fixed_size: 0
    .kernarg_segment_align: 8
    .kernarg_segment_size: 96
    .language:       OpenCL C
    .language_version:
      - 2
      - 0
    .max_flat_workgroup_size: 256
    .name:           _ZN7rocprim17ROCPRIM_400000_NS6detail17trampoline_kernelINS0_14default_configENS1_20scan_config_selectorIiEEZZNS1_9scan_implILNS1_25lookback_scan_determinismE0ELb0ELb0ES3_PiS8_iN6thrust23THRUST_200600_302600_NS4plusIvEEiEEDaPvRmT3_T4_T5_mT6_P12ihipStream_tbENKUlT_T0_E_clISt17integral_constantIbLb1EESQ_EEDaSL_SM_EUlSL_E_NS1_11comp_targetILNS1_3genE10ELNS1_11target_archE1201ELNS1_3gpuE5ELNS1_3repE0EEENS1_30default_config_static_selectorELNS0_4arch9wavefront6targetE1EEEvT1_
    .private_segment_fixed_size: 0
    .sgpr_count:     4
    .sgpr_spill_count: 0
    .symbol:         _ZN7rocprim17ROCPRIM_400000_NS6detail17trampoline_kernelINS0_14default_configENS1_20scan_config_selectorIiEEZZNS1_9scan_implILNS1_25lookback_scan_determinismE0ELb0ELb0ES3_PiS8_iN6thrust23THRUST_200600_302600_NS4plusIvEEiEEDaPvRmT3_T4_T5_mT6_P12ihipStream_tbENKUlT_T0_E_clISt17integral_constantIbLb1EESQ_EEDaSL_SM_EUlSL_E_NS1_11comp_targetILNS1_3genE10ELNS1_11target_archE1201ELNS1_3gpuE5ELNS1_3repE0EEENS1_30default_config_static_selectorELNS0_4arch9wavefront6targetE1EEEvT1_.kd
    .uniform_work_group_size: 1
    .uses_dynamic_stack: false
    .vgpr_count:     0
    .vgpr_spill_count: 0
    .wavefront_size: 64
  - .agpr_count:     0
    .args:
      - .offset:         0
        .size:           96
        .value_kind:     by_value
    .group_segment_fixed_size: 0
    .kernarg_segment_align: 8
    .kernarg_segment_size: 96
    .language:       OpenCL C
    .language_version:
      - 2
      - 0
    .max_flat_workgroup_size: 256
    .name:           _ZN7rocprim17ROCPRIM_400000_NS6detail17trampoline_kernelINS0_14default_configENS1_20scan_config_selectorIiEEZZNS1_9scan_implILNS1_25lookback_scan_determinismE0ELb0ELb0ES3_PiS8_iN6thrust23THRUST_200600_302600_NS4plusIvEEiEEDaPvRmT3_T4_T5_mT6_P12ihipStream_tbENKUlT_T0_E_clISt17integral_constantIbLb1EESQ_EEDaSL_SM_EUlSL_E_NS1_11comp_targetILNS1_3genE10ELNS1_11target_archE1200ELNS1_3gpuE4ELNS1_3repE0EEENS1_30default_config_static_selectorELNS0_4arch9wavefront6targetE1EEEvT1_
    .private_segment_fixed_size: 0
    .sgpr_count:     4
    .sgpr_spill_count: 0
    .symbol:         _ZN7rocprim17ROCPRIM_400000_NS6detail17trampoline_kernelINS0_14default_configENS1_20scan_config_selectorIiEEZZNS1_9scan_implILNS1_25lookback_scan_determinismE0ELb0ELb0ES3_PiS8_iN6thrust23THRUST_200600_302600_NS4plusIvEEiEEDaPvRmT3_T4_T5_mT6_P12ihipStream_tbENKUlT_T0_E_clISt17integral_constantIbLb1EESQ_EEDaSL_SM_EUlSL_E_NS1_11comp_targetILNS1_3genE10ELNS1_11target_archE1200ELNS1_3gpuE4ELNS1_3repE0EEENS1_30default_config_static_selectorELNS0_4arch9wavefront6targetE1EEEvT1_.kd
    .uniform_work_group_size: 1
    .uses_dynamic_stack: false
    .vgpr_count:     0
    .vgpr_spill_count: 0
    .wavefront_size: 64
  - .agpr_count:     0
    .args:
      - .offset:         0
        .size:           96
        .value_kind:     by_value
    .group_segment_fixed_size: 0
    .kernarg_segment_align: 8
    .kernarg_segment_size: 96
    .language:       OpenCL C
    .language_version:
      - 2
      - 0
    .max_flat_workgroup_size: 256
    .name:           _ZN7rocprim17ROCPRIM_400000_NS6detail17trampoline_kernelINS0_14default_configENS1_20scan_config_selectorIiEEZZNS1_9scan_implILNS1_25lookback_scan_determinismE0ELb0ELb0ES3_PiS8_iN6thrust23THRUST_200600_302600_NS4plusIvEEiEEDaPvRmT3_T4_T5_mT6_P12ihipStream_tbENKUlT_T0_E_clISt17integral_constantIbLb1EESQ_EEDaSL_SM_EUlSL_E_NS1_11comp_targetILNS1_3genE9ELNS1_11target_archE1100ELNS1_3gpuE3ELNS1_3repE0EEENS1_30default_config_static_selectorELNS0_4arch9wavefront6targetE1EEEvT1_
    .private_segment_fixed_size: 0
    .sgpr_count:     4
    .sgpr_spill_count: 0
    .symbol:         _ZN7rocprim17ROCPRIM_400000_NS6detail17trampoline_kernelINS0_14default_configENS1_20scan_config_selectorIiEEZZNS1_9scan_implILNS1_25lookback_scan_determinismE0ELb0ELb0ES3_PiS8_iN6thrust23THRUST_200600_302600_NS4plusIvEEiEEDaPvRmT3_T4_T5_mT6_P12ihipStream_tbENKUlT_T0_E_clISt17integral_constantIbLb1EESQ_EEDaSL_SM_EUlSL_E_NS1_11comp_targetILNS1_3genE9ELNS1_11target_archE1100ELNS1_3gpuE3ELNS1_3repE0EEENS1_30default_config_static_selectorELNS0_4arch9wavefront6targetE1EEEvT1_.kd
    .uniform_work_group_size: 1
    .uses_dynamic_stack: false
    .vgpr_count:     0
    .vgpr_spill_count: 0
    .wavefront_size: 64
  - .agpr_count:     0
    .args:
      - .offset:         0
        .size:           96
        .value_kind:     by_value
    .group_segment_fixed_size: 0
    .kernarg_segment_align: 8
    .kernarg_segment_size: 96
    .language:       OpenCL C
    .language_version:
      - 2
      - 0
    .max_flat_workgroup_size: 64
    .name:           _ZN7rocprim17ROCPRIM_400000_NS6detail17trampoline_kernelINS0_14default_configENS1_20scan_config_selectorIiEEZZNS1_9scan_implILNS1_25lookback_scan_determinismE0ELb0ELb0ES3_PiS8_iN6thrust23THRUST_200600_302600_NS4plusIvEEiEEDaPvRmT3_T4_T5_mT6_P12ihipStream_tbENKUlT_T0_E_clISt17integral_constantIbLb1EESQ_EEDaSL_SM_EUlSL_E_NS1_11comp_targetILNS1_3genE8ELNS1_11target_archE1030ELNS1_3gpuE2ELNS1_3repE0EEENS1_30default_config_static_selectorELNS0_4arch9wavefront6targetE1EEEvT1_
    .private_segment_fixed_size: 0
    .sgpr_count:     4
    .sgpr_spill_count: 0
    .symbol:         _ZN7rocprim17ROCPRIM_400000_NS6detail17trampoline_kernelINS0_14default_configENS1_20scan_config_selectorIiEEZZNS1_9scan_implILNS1_25lookback_scan_determinismE0ELb0ELb0ES3_PiS8_iN6thrust23THRUST_200600_302600_NS4plusIvEEiEEDaPvRmT3_T4_T5_mT6_P12ihipStream_tbENKUlT_T0_E_clISt17integral_constantIbLb1EESQ_EEDaSL_SM_EUlSL_E_NS1_11comp_targetILNS1_3genE8ELNS1_11target_archE1030ELNS1_3gpuE2ELNS1_3repE0EEENS1_30default_config_static_selectorELNS0_4arch9wavefront6targetE1EEEvT1_.kd
    .uniform_work_group_size: 1
    .uses_dynamic_stack: false
    .vgpr_count:     0
    .vgpr_spill_count: 0
    .wavefront_size: 64
  - .agpr_count:     0
    .args:
      - .offset:         0
        .size:           32
        .value_kind:     by_value
    .group_segment_fixed_size: 0
    .kernarg_segment_align: 8
    .kernarg_segment_size: 32
    .language:       OpenCL C
    .language_version:
      - 2
      - 0
    .max_flat_workgroup_size: 256
    .name:           _ZN7rocprim17ROCPRIM_400000_NS6detail17trampoline_kernelINS0_14default_configENS1_20scan_config_selectorIiEEZZNS1_9scan_implILNS1_25lookback_scan_determinismE0ELb0ELb0ES3_PiS8_iN6thrust23THRUST_200600_302600_NS4plusIvEEiEEDaPvRmT3_T4_T5_mT6_P12ihipStream_tbENKUlT_T0_E_clISt17integral_constantIbLb1EESQ_EEDaSL_SM_EUlSL_E0_NS1_11comp_targetILNS1_3genE0ELNS1_11target_archE4294967295ELNS1_3gpuE0ELNS1_3repE0EEENS1_30default_config_static_selectorELNS0_4arch9wavefront6targetE1EEEvT1_
    .private_segment_fixed_size: 0
    .sgpr_count:     4
    .sgpr_spill_count: 0
    .symbol:         _ZN7rocprim17ROCPRIM_400000_NS6detail17trampoline_kernelINS0_14default_configENS1_20scan_config_selectorIiEEZZNS1_9scan_implILNS1_25lookback_scan_determinismE0ELb0ELb0ES3_PiS8_iN6thrust23THRUST_200600_302600_NS4plusIvEEiEEDaPvRmT3_T4_T5_mT6_P12ihipStream_tbENKUlT_T0_E_clISt17integral_constantIbLb1EESQ_EEDaSL_SM_EUlSL_E0_NS1_11comp_targetILNS1_3genE0ELNS1_11target_archE4294967295ELNS1_3gpuE0ELNS1_3repE0EEENS1_30default_config_static_selectorELNS0_4arch9wavefront6targetE1EEEvT1_.kd
    .uniform_work_group_size: 1
    .uses_dynamic_stack: false
    .vgpr_count:     0
    .vgpr_spill_count: 0
    .wavefront_size: 64
  - .agpr_count:     0
    .args:
      - .offset:         0
        .size:           32
        .value_kind:     by_value
    .group_segment_fixed_size: 0
    .kernarg_segment_align: 8
    .kernarg_segment_size: 32
    .language:       OpenCL C
    .language_version:
      - 2
      - 0
    .max_flat_workgroup_size: 256
    .name:           _ZN7rocprim17ROCPRIM_400000_NS6detail17trampoline_kernelINS0_14default_configENS1_20scan_config_selectorIiEEZZNS1_9scan_implILNS1_25lookback_scan_determinismE0ELb0ELb0ES3_PiS8_iN6thrust23THRUST_200600_302600_NS4plusIvEEiEEDaPvRmT3_T4_T5_mT6_P12ihipStream_tbENKUlT_T0_E_clISt17integral_constantIbLb1EESQ_EEDaSL_SM_EUlSL_E0_NS1_11comp_targetILNS1_3genE5ELNS1_11target_archE942ELNS1_3gpuE9ELNS1_3repE0EEENS1_30default_config_static_selectorELNS0_4arch9wavefront6targetE1EEEvT1_
    .private_segment_fixed_size: 0
    .sgpr_count:     4
    .sgpr_spill_count: 0
    .symbol:         _ZN7rocprim17ROCPRIM_400000_NS6detail17trampoline_kernelINS0_14default_configENS1_20scan_config_selectorIiEEZZNS1_9scan_implILNS1_25lookback_scan_determinismE0ELb0ELb0ES3_PiS8_iN6thrust23THRUST_200600_302600_NS4plusIvEEiEEDaPvRmT3_T4_T5_mT6_P12ihipStream_tbENKUlT_T0_E_clISt17integral_constantIbLb1EESQ_EEDaSL_SM_EUlSL_E0_NS1_11comp_targetILNS1_3genE5ELNS1_11target_archE942ELNS1_3gpuE9ELNS1_3repE0EEENS1_30default_config_static_selectorELNS0_4arch9wavefront6targetE1EEEvT1_.kd
    .uniform_work_group_size: 1
    .uses_dynamic_stack: false
    .vgpr_count:     0
    .vgpr_spill_count: 0
    .wavefront_size: 64
  - .agpr_count:     0
    .args:
      - .offset:         0
        .size:           32
        .value_kind:     by_value
    .group_segment_fixed_size: 5120
    .kernarg_segment_align: 8
    .kernarg_segment_size: 32
    .language:       OpenCL C
    .language_version:
      - 2
      - 0
    .max_flat_workgroup_size: 128
    .name:           _ZN7rocprim17ROCPRIM_400000_NS6detail17trampoline_kernelINS0_14default_configENS1_20scan_config_selectorIiEEZZNS1_9scan_implILNS1_25lookback_scan_determinismE0ELb0ELb0ES3_PiS8_iN6thrust23THRUST_200600_302600_NS4plusIvEEiEEDaPvRmT3_T4_T5_mT6_P12ihipStream_tbENKUlT_T0_E_clISt17integral_constantIbLb1EESQ_EEDaSL_SM_EUlSL_E0_NS1_11comp_targetILNS1_3genE4ELNS1_11target_archE910ELNS1_3gpuE8ELNS1_3repE0EEENS1_30default_config_static_selectorELNS0_4arch9wavefront6targetE1EEEvT1_
    .private_segment_fixed_size: 0
    .sgpr_count:     28
    .sgpr_spill_count: 0
    .symbol:         _ZN7rocprim17ROCPRIM_400000_NS6detail17trampoline_kernelINS0_14default_configENS1_20scan_config_selectorIiEEZZNS1_9scan_implILNS1_25lookback_scan_determinismE0ELb0ELb0ES3_PiS8_iN6thrust23THRUST_200600_302600_NS4plusIvEEiEEDaPvRmT3_T4_T5_mT6_P12ihipStream_tbENKUlT_T0_E_clISt17integral_constantIbLb1EESQ_EEDaSL_SM_EUlSL_E0_NS1_11comp_targetILNS1_3genE4ELNS1_11target_archE910ELNS1_3gpuE8ELNS1_3repE0EEENS1_30default_config_static_selectorELNS0_4arch9wavefront6targetE1EEEvT1_.kd
    .uniform_work_group_size: 1
    .uses_dynamic_stack: false
    .vgpr_count:     27
    .vgpr_spill_count: 0
    .wavefront_size: 64
  - .agpr_count:     0
    .args:
      - .offset:         0
        .size:           32
        .value_kind:     by_value
    .group_segment_fixed_size: 0
    .kernarg_segment_align: 8
    .kernarg_segment_size: 32
    .language:       OpenCL C
    .language_version:
      - 2
      - 0
    .max_flat_workgroup_size: 256
    .name:           _ZN7rocprim17ROCPRIM_400000_NS6detail17trampoline_kernelINS0_14default_configENS1_20scan_config_selectorIiEEZZNS1_9scan_implILNS1_25lookback_scan_determinismE0ELb0ELb0ES3_PiS8_iN6thrust23THRUST_200600_302600_NS4plusIvEEiEEDaPvRmT3_T4_T5_mT6_P12ihipStream_tbENKUlT_T0_E_clISt17integral_constantIbLb1EESQ_EEDaSL_SM_EUlSL_E0_NS1_11comp_targetILNS1_3genE3ELNS1_11target_archE908ELNS1_3gpuE7ELNS1_3repE0EEENS1_30default_config_static_selectorELNS0_4arch9wavefront6targetE1EEEvT1_
    .private_segment_fixed_size: 0
    .sgpr_count:     4
    .sgpr_spill_count: 0
    .symbol:         _ZN7rocprim17ROCPRIM_400000_NS6detail17trampoline_kernelINS0_14default_configENS1_20scan_config_selectorIiEEZZNS1_9scan_implILNS1_25lookback_scan_determinismE0ELb0ELb0ES3_PiS8_iN6thrust23THRUST_200600_302600_NS4plusIvEEiEEDaPvRmT3_T4_T5_mT6_P12ihipStream_tbENKUlT_T0_E_clISt17integral_constantIbLb1EESQ_EEDaSL_SM_EUlSL_E0_NS1_11comp_targetILNS1_3genE3ELNS1_11target_archE908ELNS1_3gpuE7ELNS1_3repE0EEENS1_30default_config_static_selectorELNS0_4arch9wavefront6targetE1EEEvT1_.kd
    .uniform_work_group_size: 1
    .uses_dynamic_stack: false
    .vgpr_count:     0
    .vgpr_spill_count: 0
    .wavefront_size: 64
  - .agpr_count:     0
    .args:
      - .offset:         0
        .size:           32
        .value_kind:     by_value
    .group_segment_fixed_size: 0
    .kernarg_segment_align: 8
    .kernarg_segment_size: 32
    .language:       OpenCL C
    .language_version:
      - 2
      - 0
    .max_flat_workgroup_size: 256
    .name:           _ZN7rocprim17ROCPRIM_400000_NS6detail17trampoline_kernelINS0_14default_configENS1_20scan_config_selectorIiEEZZNS1_9scan_implILNS1_25lookback_scan_determinismE0ELb0ELb0ES3_PiS8_iN6thrust23THRUST_200600_302600_NS4plusIvEEiEEDaPvRmT3_T4_T5_mT6_P12ihipStream_tbENKUlT_T0_E_clISt17integral_constantIbLb1EESQ_EEDaSL_SM_EUlSL_E0_NS1_11comp_targetILNS1_3genE2ELNS1_11target_archE906ELNS1_3gpuE6ELNS1_3repE0EEENS1_30default_config_static_selectorELNS0_4arch9wavefront6targetE1EEEvT1_
    .private_segment_fixed_size: 0
    .sgpr_count:     4
    .sgpr_spill_count: 0
    .symbol:         _ZN7rocprim17ROCPRIM_400000_NS6detail17trampoline_kernelINS0_14default_configENS1_20scan_config_selectorIiEEZZNS1_9scan_implILNS1_25lookback_scan_determinismE0ELb0ELb0ES3_PiS8_iN6thrust23THRUST_200600_302600_NS4plusIvEEiEEDaPvRmT3_T4_T5_mT6_P12ihipStream_tbENKUlT_T0_E_clISt17integral_constantIbLb1EESQ_EEDaSL_SM_EUlSL_E0_NS1_11comp_targetILNS1_3genE2ELNS1_11target_archE906ELNS1_3gpuE6ELNS1_3repE0EEENS1_30default_config_static_selectorELNS0_4arch9wavefront6targetE1EEEvT1_.kd
    .uniform_work_group_size: 1
    .uses_dynamic_stack: false
    .vgpr_count:     0
    .vgpr_spill_count: 0
    .wavefront_size: 64
  - .agpr_count:     0
    .args:
      - .offset:         0
        .size:           32
        .value_kind:     by_value
    .group_segment_fixed_size: 0
    .kernarg_segment_align: 8
    .kernarg_segment_size: 32
    .language:       OpenCL C
    .language_version:
      - 2
      - 0
    .max_flat_workgroup_size: 256
    .name:           _ZN7rocprim17ROCPRIM_400000_NS6detail17trampoline_kernelINS0_14default_configENS1_20scan_config_selectorIiEEZZNS1_9scan_implILNS1_25lookback_scan_determinismE0ELb0ELb0ES3_PiS8_iN6thrust23THRUST_200600_302600_NS4plusIvEEiEEDaPvRmT3_T4_T5_mT6_P12ihipStream_tbENKUlT_T0_E_clISt17integral_constantIbLb1EESQ_EEDaSL_SM_EUlSL_E0_NS1_11comp_targetILNS1_3genE10ELNS1_11target_archE1201ELNS1_3gpuE5ELNS1_3repE0EEENS1_30default_config_static_selectorELNS0_4arch9wavefront6targetE1EEEvT1_
    .private_segment_fixed_size: 0
    .sgpr_count:     4
    .sgpr_spill_count: 0
    .symbol:         _ZN7rocprim17ROCPRIM_400000_NS6detail17trampoline_kernelINS0_14default_configENS1_20scan_config_selectorIiEEZZNS1_9scan_implILNS1_25lookback_scan_determinismE0ELb0ELb0ES3_PiS8_iN6thrust23THRUST_200600_302600_NS4plusIvEEiEEDaPvRmT3_T4_T5_mT6_P12ihipStream_tbENKUlT_T0_E_clISt17integral_constantIbLb1EESQ_EEDaSL_SM_EUlSL_E0_NS1_11comp_targetILNS1_3genE10ELNS1_11target_archE1201ELNS1_3gpuE5ELNS1_3repE0EEENS1_30default_config_static_selectorELNS0_4arch9wavefront6targetE1EEEvT1_.kd
    .uniform_work_group_size: 1
    .uses_dynamic_stack: false
    .vgpr_count:     0
    .vgpr_spill_count: 0
    .wavefront_size: 64
  - .agpr_count:     0
    .args:
      - .offset:         0
        .size:           32
        .value_kind:     by_value
    .group_segment_fixed_size: 0
    .kernarg_segment_align: 8
    .kernarg_segment_size: 32
    .language:       OpenCL C
    .language_version:
      - 2
      - 0
    .max_flat_workgroup_size: 256
    .name:           _ZN7rocprim17ROCPRIM_400000_NS6detail17trampoline_kernelINS0_14default_configENS1_20scan_config_selectorIiEEZZNS1_9scan_implILNS1_25lookback_scan_determinismE0ELb0ELb0ES3_PiS8_iN6thrust23THRUST_200600_302600_NS4plusIvEEiEEDaPvRmT3_T4_T5_mT6_P12ihipStream_tbENKUlT_T0_E_clISt17integral_constantIbLb1EESQ_EEDaSL_SM_EUlSL_E0_NS1_11comp_targetILNS1_3genE10ELNS1_11target_archE1200ELNS1_3gpuE4ELNS1_3repE0EEENS1_30default_config_static_selectorELNS0_4arch9wavefront6targetE1EEEvT1_
    .private_segment_fixed_size: 0
    .sgpr_count:     4
    .sgpr_spill_count: 0
    .symbol:         _ZN7rocprim17ROCPRIM_400000_NS6detail17trampoline_kernelINS0_14default_configENS1_20scan_config_selectorIiEEZZNS1_9scan_implILNS1_25lookback_scan_determinismE0ELb0ELb0ES3_PiS8_iN6thrust23THRUST_200600_302600_NS4plusIvEEiEEDaPvRmT3_T4_T5_mT6_P12ihipStream_tbENKUlT_T0_E_clISt17integral_constantIbLb1EESQ_EEDaSL_SM_EUlSL_E0_NS1_11comp_targetILNS1_3genE10ELNS1_11target_archE1200ELNS1_3gpuE4ELNS1_3repE0EEENS1_30default_config_static_selectorELNS0_4arch9wavefront6targetE1EEEvT1_.kd
    .uniform_work_group_size: 1
    .uses_dynamic_stack: false
    .vgpr_count:     0
    .vgpr_spill_count: 0
    .wavefront_size: 64
  - .agpr_count:     0
    .args:
      - .offset:         0
        .size:           32
        .value_kind:     by_value
    .group_segment_fixed_size: 0
    .kernarg_segment_align: 8
    .kernarg_segment_size: 32
    .language:       OpenCL C
    .language_version:
      - 2
      - 0
    .max_flat_workgroup_size: 256
    .name:           _ZN7rocprim17ROCPRIM_400000_NS6detail17trampoline_kernelINS0_14default_configENS1_20scan_config_selectorIiEEZZNS1_9scan_implILNS1_25lookback_scan_determinismE0ELb0ELb0ES3_PiS8_iN6thrust23THRUST_200600_302600_NS4plusIvEEiEEDaPvRmT3_T4_T5_mT6_P12ihipStream_tbENKUlT_T0_E_clISt17integral_constantIbLb1EESQ_EEDaSL_SM_EUlSL_E0_NS1_11comp_targetILNS1_3genE9ELNS1_11target_archE1100ELNS1_3gpuE3ELNS1_3repE0EEENS1_30default_config_static_selectorELNS0_4arch9wavefront6targetE1EEEvT1_
    .private_segment_fixed_size: 0
    .sgpr_count:     4
    .sgpr_spill_count: 0
    .symbol:         _ZN7rocprim17ROCPRIM_400000_NS6detail17trampoline_kernelINS0_14default_configENS1_20scan_config_selectorIiEEZZNS1_9scan_implILNS1_25lookback_scan_determinismE0ELb0ELb0ES3_PiS8_iN6thrust23THRUST_200600_302600_NS4plusIvEEiEEDaPvRmT3_T4_T5_mT6_P12ihipStream_tbENKUlT_T0_E_clISt17integral_constantIbLb1EESQ_EEDaSL_SM_EUlSL_E0_NS1_11comp_targetILNS1_3genE9ELNS1_11target_archE1100ELNS1_3gpuE3ELNS1_3repE0EEENS1_30default_config_static_selectorELNS0_4arch9wavefront6targetE1EEEvT1_.kd
    .uniform_work_group_size: 1
    .uses_dynamic_stack: false
    .vgpr_count:     0
    .vgpr_spill_count: 0
    .wavefront_size: 64
  - .agpr_count:     0
    .args:
      - .offset:         0
        .size:           32
        .value_kind:     by_value
    .group_segment_fixed_size: 0
    .kernarg_segment_align: 8
    .kernarg_segment_size: 32
    .language:       OpenCL C
    .language_version:
      - 2
      - 0
    .max_flat_workgroup_size: 64
    .name:           _ZN7rocprim17ROCPRIM_400000_NS6detail17trampoline_kernelINS0_14default_configENS1_20scan_config_selectorIiEEZZNS1_9scan_implILNS1_25lookback_scan_determinismE0ELb0ELb0ES3_PiS8_iN6thrust23THRUST_200600_302600_NS4plusIvEEiEEDaPvRmT3_T4_T5_mT6_P12ihipStream_tbENKUlT_T0_E_clISt17integral_constantIbLb1EESQ_EEDaSL_SM_EUlSL_E0_NS1_11comp_targetILNS1_3genE8ELNS1_11target_archE1030ELNS1_3gpuE2ELNS1_3repE0EEENS1_30default_config_static_selectorELNS0_4arch9wavefront6targetE1EEEvT1_
    .private_segment_fixed_size: 0
    .sgpr_count:     4
    .sgpr_spill_count: 0
    .symbol:         _ZN7rocprim17ROCPRIM_400000_NS6detail17trampoline_kernelINS0_14default_configENS1_20scan_config_selectorIiEEZZNS1_9scan_implILNS1_25lookback_scan_determinismE0ELb0ELb0ES3_PiS8_iN6thrust23THRUST_200600_302600_NS4plusIvEEiEEDaPvRmT3_T4_T5_mT6_P12ihipStream_tbENKUlT_T0_E_clISt17integral_constantIbLb1EESQ_EEDaSL_SM_EUlSL_E0_NS1_11comp_targetILNS1_3genE8ELNS1_11target_archE1030ELNS1_3gpuE2ELNS1_3repE0EEENS1_30default_config_static_selectorELNS0_4arch9wavefront6targetE1EEEvT1_.kd
    .uniform_work_group_size: 1
    .uses_dynamic_stack: false
    .vgpr_count:     0
    .vgpr_spill_count: 0
    .wavefront_size: 64
  - .agpr_count:     0
    .args:
      - .address_space:  global
        .offset:         0
        .size:           8
        .value_kind:     global_buffer
      - .offset:         8
        .size:           4
        .value_kind:     by_value
      - .offset:         12
        .size:           1
        .value_kind:     by_value
      - .offset:         16
        .size:           4
        .value_kind:     by_value
      - .address_space:  global
        .offset:         24
        .size:           8
        .value_kind:     global_buffer
      - .offset:         32
        .size:           4
        .value_kind:     hidden_block_count_x
      - .offset:         36
        .size:           4
        .value_kind:     hidden_block_count_y
      - .offset:         40
        .size:           4
        .value_kind:     hidden_block_count_z
      - .offset:         44
        .size:           2
        .value_kind:     hidden_group_size_x
      - .offset:         46
        .size:           2
        .value_kind:     hidden_group_size_y
      - .offset:         48
        .size:           2
        .value_kind:     hidden_group_size_z
      - .offset:         50
        .size:           2
        .value_kind:     hidden_remainder_x
      - .offset:         52
        .size:           2
        .value_kind:     hidden_remainder_y
      - .offset:         54
        .size:           2
        .value_kind:     hidden_remainder_z
      - .offset:         72
        .size:           8
        .value_kind:     hidden_global_offset_x
      - .offset:         80
        .size:           8
        .value_kind:     hidden_global_offset_y
      - .offset:         88
        .size:           8
        .value_kind:     hidden_global_offset_z
      - .offset:         96
        .size:           2
        .value_kind:     hidden_grid_dims
    .group_segment_fixed_size: 0
    .kernarg_segment_align: 8
    .kernarg_segment_size: 288
    .language:       OpenCL C
    .language_version:
      - 2
      - 0
    .max_flat_workgroup_size: 256
    .name:           _ZN7rocprim17ROCPRIM_400000_NS6detail31init_lookback_scan_state_kernelINS1_19lookback_scan_stateIiLb1ELb1EEENS1_16block_id_wrapperIjLb0EEEEEvT_jT0_jPNS7_10value_typeE
    .private_segment_fixed_size: 0
    .sgpr_count:     16
    .sgpr_spill_count: 0
    .symbol:         _ZN7rocprim17ROCPRIM_400000_NS6detail31init_lookback_scan_state_kernelINS1_19lookback_scan_stateIiLb1ELb1EEENS1_16block_id_wrapperIjLb0EEEEEvT_jT0_jPNS7_10value_typeE.kd
    .uniform_work_group_size: 1
    .uses_dynamic_stack: false
    .vgpr_count:     6
    .vgpr_spill_count: 0
    .wavefront_size: 64
  - .agpr_count:     0
    .args:
      - .offset:         0
        .size:           96
        .value_kind:     by_value
    .group_segment_fixed_size: 0
    .kernarg_segment_align: 8
    .kernarg_segment_size: 96
    .language:       OpenCL C
    .language_version:
      - 2
      - 0
    .max_flat_workgroup_size: 256
    .name:           _ZN7rocprim17ROCPRIM_400000_NS6detail17trampoline_kernelINS0_14default_configENS1_20scan_config_selectorIiEEZZNS1_9scan_implILNS1_25lookback_scan_determinismE0ELb0ELb0ES3_PiS8_iN6thrust23THRUST_200600_302600_NS4plusIvEEiEEDaPvRmT3_T4_T5_mT6_P12ihipStream_tbENKUlT_T0_E_clISt17integral_constantIbLb1EESP_IbLb0EEEEDaSL_SM_EUlSL_E_NS1_11comp_targetILNS1_3genE0ELNS1_11target_archE4294967295ELNS1_3gpuE0ELNS1_3repE0EEENS1_30default_config_static_selectorELNS0_4arch9wavefront6targetE1EEEvT1_
    .private_segment_fixed_size: 0
    .sgpr_count:     4
    .sgpr_spill_count: 0
    .symbol:         _ZN7rocprim17ROCPRIM_400000_NS6detail17trampoline_kernelINS0_14default_configENS1_20scan_config_selectorIiEEZZNS1_9scan_implILNS1_25lookback_scan_determinismE0ELb0ELb0ES3_PiS8_iN6thrust23THRUST_200600_302600_NS4plusIvEEiEEDaPvRmT3_T4_T5_mT6_P12ihipStream_tbENKUlT_T0_E_clISt17integral_constantIbLb1EESP_IbLb0EEEEDaSL_SM_EUlSL_E_NS1_11comp_targetILNS1_3genE0ELNS1_11target_archE4294967295ELNS1_3gpuE0ELNS1_3repE0EEENS1_30default_config_static_selectorELNS0_4arch9wavefront6targetE1EEEvT1_.kd
    .uniform_work_group_size: 1
    .uses_dynamic_stack: false
    .vgpr_count:     0
    .vgpr_spill_count: 0
    .wavefront_size: 64
  - .agpr_count:     0
    .args:
      - .offset:         0
        .size:           96
        .value_kind:     by_value
    .group_segment_fixed_size: 0
    .kernarg_segment_align: 8
    .kernarg_segment_size: 96
    .language:       OpenCL C
    .language_version:
      - 2
      - 0
    .max_flat_workgroup_size: 256
    .name:           _ZN7rocprim17ROCPRIM_400000_NS6detail17trampoline_kernelINS0_14default_configENS1_20scan_config_selectorIiEEZZNS1_9scan_implILNS1_25lookback_scan_determinismE0ELb0ELb0ES3_PiS8_iN6thrust23THRUST_200600_302600_NS4plusIvEEiEEDaPvRmT3_T4_T5_mT6_P12ihipStream_tbENKUlT_T0_E_clISt17integral_constantIbLb1EESP_IbLb0EEEEDaSL_SM_EUlSL_E_NS1_11comp_targetILNS1_3genE5ELNS1_11target_archE942ELNS1_3gpuE9ELNS1_3repE0EEENS1_30default_config_static_selectorELNS0_4arch9wavefront6targetE1EEEvT1_
    .private_segment_fixed_size: 0
    .sgpr_count:     4
    .sgpr_spill_count: 0
    .symbol:         _ZN7rocprim17ROCPRIM_400000_NS6detail17trampoline_kernelINS0_14default_configENS1_20scan_config_selectorIiEEZZNS1_9scan_implILNS1_25lookback_scan_determinismE0ELb0ELb0ES3_PiS8_iN6thrust23THRUST_200600_302600_NS4plusIvEEiEEDaPvRmT3_T4_T5_mT6_P12ihipStream_tbENKUlT_T0_E_clISt17integral_constantIbLb1EESP_IbLb0EEEEDaSL_SM_EUlSL_E_NS1_11comp_targetILNS1_3genE5ELNS1_11target_archE942ELNS1_3gpuE9ELNS1_3repE0EEENS1_30default_config_static_selectorELNS0_4arch9wavefront6targetE1EEEvT1_.kd
    .uniform_work_group_size: 1
    .uses_dynamic_stack: false
    .vgpr_count:     0
    .vgpr_spill_count: 0
    .wavefront_size: 64
  - .agpr_count:     0
    .args:
      - .offset:         0
        .size:           96
        .value_kind:     by_value
    .group_segment_fixed_size: 5120
    .kernarg_segment_align: 8
    .kernarg_segment_size: 96
    .language:       OpenCL C
    .language_version:
      - 2
      - 0
    .max_flat_workgroup_size: 128
    .name:           _ZN7rocprim17ROCPRIM_400000_NS6detail17trampoline_kernelINS0_14default_configENS1_20scan_config_selectorIiEEZZNS1_9scan_implILNS1_25lookback_scan_determinismE0ELb0ELb0ES3_PiS8_iN6thrust23THRUST_200600_302600_NS4plusIvEEiEEDaPvRmT3_T4_T5_mT6_P12ihipStream_tbENKUlT_T0_E_clISt17integral_constantIbLb1EESP_IbLb0EEEEDaSL_SM_EUlSL_E_NS1_11comp_targetILNS1_3genE4ELNS1_11target_archE910ELNS1_3gpuE8ELNS1_3repE0EEENS1_30default_config_static_selectorELNS0_4arch9wavefront6targetE1EEEvT1_
    .private_segment_fixed_size: 0
    .sgpr_count:     36
    .sgpr_spill_count: 0
    .symbol:         _ZN7rocprim17ROCPRIM_400000_NS6detail17trampoline_kernelINS0_14default_configENS1_20scan_config_selectorIiEEZZNS1_9scan_implILNS1_25lookback_scan_determinismE0ELb0ELb0ES3_PiS8_iN6thrust23THRUST_200600_302600_NS4plusIvEEiEEDaPvRmT3_T4_T5_mT6_P12ihipStream_tbENKUlT_T0_E_clISt17integral_constantIbLb1EESP_IbLb0EEEEDaSL_SM_EUlSL_E_NS1_11comp_targetILNS1_3genE4ELNS1_11target_archE910ELNS1_3gpuE8ELNS1_3repE0EEENS1_30default_config_static_selectorELNS0_4arch9wavefront6targetE1EEEvT1_.kd
    .uniform_work_group_size: 1
    .uses_dynamic_stack: false
    .vgpr_count:     40
    .vgpr_spill_count: 0
    .wavefront_size: 64
  - .agpr_count:     0
    .args:
      - .offset:         0
        .size:           96
        .value_kind:     by_value
    .group_segment_fixed_size: 0
    .kernarg_segment_align: 8
    .kernarg_segment_size: 96
    .language:       OpenCL C
    .language_version:
      - 2
      - 0
    .max_flat_workgroup_size: 256
    .name:           _ZN7rocprim17ROCPRIM_400000_NS6detail17trampoline_kernelINS0_14default_configENS1_20scan_config_selectorIiEEZZNS1_9scan_implILNS1_25lookback_scan_determinismE0ELb0ELb0ES3_PiS8_iN6thrust23THRUST_200600_302600_NS4plusIvEEiEEDaPvRmT3_T4_T5_mT6_P12ihipStream_tbENKUlT_T0_E_clISt17integral_constantIbLb1EESP_IbLb0EEEEDaSL_SM_EUlSL_E_NS1_11comp_targetILNS1_3genE3ELNS1_11target_archE908ELNS1_3gpuE7ELNS1_3repE0EEENS1_30default_config_static_selectorELNS0_4arch9wavefront6targetE1EEEvT1_
    .private_segment_fixed_size: 0
    .sgpr_count:     4
    .sgpr_spill_count: 0
    .symbol:         _ZN7rocprim17ROCPRIM_400000_NS6detail17trampoline_kernelINS0_14default_configENS1_20scan_config_selectorIiEEZZNS1_9scan_implILNS1_25lookback_scan_determinismE0ELb0ELb0ES3_PiS8_iN6thrust23THRUST_200600_302600_NS4plusIvEEiEEDaPvRmT3_T4_T5_mT6_P12ihipStream_tbENKUlT_T0_E_clISt17integral_constantIbLb1EESP_IbLb0EEEEDaSL_SM_EUlSL_E_NS1_11comp_targetILNS1_3genE3ELNS1_11target_archE908ELNS1_3gpuE7ELNS1_3repE0EEENS1_30default_config_static_selectorELNS0_4arch9wavefront6targetE1EEEvT1_.kd
    .uniform_work_group_size: 1
    .uses_dynamic_stack: false
    .vgpr_count:     0
    .vgpr_spill_count: 0
    .wavefront_size: 64
  - .agpr_count:     0
    .args:
      - .offset:         0
        .size:           96
        .value_kind:     by_value
    .group_segment_fixed_size: 0
    .kernarg_segment_align: 8
    .kernarg_segment_size: 96
    .language:       OpenCL C
    .language_version:
      - 2
      - 0
    .max_flat_workgroup_size: 256
    .name:           _ZN7rocprim17ROCPRIM_400000_NS6detail17trampoline_kernelINS0_14default_configENS1_20scan_config_selectorIiEEZZNS1_9scan_implILNS1_25lookback_scan_determinismE0ELb0ELb0ES3_PiS8_iN6thrust23THRUST_200600_302600_NS4plusIvEEiEEDaPvRmT3_T4_T5_mT6_P12ihipStream_tbENKUlT_T0_E_clISt17integral_constantIbLb1EESP_IbLb0EEEEDaSL_SM_EUlSL_E_NS1_11comp_targetILNS1_3genE2ELNS1_11target_archE906ELNS1_3gpuE6ELNS1_3repE0EEENS1_30default_config_static_selectorELNS0_4arch9wavefront6targetE1EEEvT1_
    .private_segment_fixed_size: 0
    .sgpr_count:     4
    .sgpr_spill_count: 0
    .symbol:         _ZN7rocprim17ROCPRIM_400000_NS6detail17trampoline_kernelINS0_14default_configENS1_20scan_config_selectorIiEEZZNS1_9scan_implILNS1_25lookback_scan_determinismE0ELb0ELb0ES3_PiS8_iN6thrust23THRUST_200600_302600_NS4plusIvEEiEEDaPvRmT3_T4_T5_mT6_P12ihipStream_tbENKUlT_T0_E_clISt17integral_constantIbLb1EESP_IbLb0EEEEDaSL_SM_EUlSL_E_NS1_11comp_targetILNS1_3genE2ELNS1_11target_archE906ELNS1_3gpuE6ELNS1_3repE0EEENS1_30default_config_static_selectorELNS0_4arch9wavefront6targetE1EEEvT1_.kd
    .uniform_work_group_size: 1
    .uses_dynamic_stack: false
    .vgpr_count:     0
    .vgpr_spill_count: 0
    .wavefront_size: 64
  - .agpr_count:     0
    .args:
      - .offset:         0
        .size:           96
        .value_kind:     by_value
    .group_segment_fixed_size: 0
    .kernarg_segment_align: 8
    .kernarg_segment_size: 96
    .language:       OpenCL C
    .language_version:
      - 2
      - 0
    .max_flat_workgroup_size: 256
    .name:           _ZN7rocprim17ROCPRIM_400000_NS6detail17trampoline_kernelINS0_14default_configENS1_20scan_config_selectorIiEEZZNS1_9scan_implILNS1_25lookback_scan_determinismE0ELb0ELb0ES3_PiS8_iN6thrust23THRUST_200600_302600_NS4plusIvEEiEEDaPvRmT3_T4_T5_mT6_P12ihipStream_tbENKUlT_T0_E_clISt17integral_constantIbLb1EESP_IbLb0EEEEDaSL_SM_EUlSL_E_NS1_11comp_targetILNS1_3genE10ELNS1_11target_archE1201ELNS1_3gpuE5ELNS1_3repE0EEENS1_30default_config_static_selectorELNS0_4arch9wavefront6targetE1EEEvT1_
    .private_segment_fixed_size: 0
    .sgpr_count:     4
    .sgpr_spill_count: 0
    .symbol:         _ZN7rocprim17ROCPRIM_400000_NS6detail17trampoline_kernelINS0_14default_configENS1_20scan_config_selectorIiEEZZNS1_9scan_implILNS1_25lookback_scan_determinismE0ELb0ELb0ES3_PiS8_iN6thrust23THRUST_200600_302600_NS4plusIvEEiEEDaPvRmT3_T4_T5_mT6_P12ihipStream_tbENKUlT_T0_E_clISt17integral_constantIbLb1EESP_IbLb0EEEEDaSL_SM_EUlSL_E_NS1_11comp_targetILNS1_3genE10ELNS1_11target_archE1201ELNS1_3gpuE5ELNS1_3repE0EEENS1_30default_config_static_selectorELNS0_4arch9wavefront6targetE1EEEvT1_.kd
    .uniform_work_group_size: 1
    .uses_dynamic_stack: false
    .vgpr_count:     0
    .vgpr_spill_count: 0
    .wavefront_size: 64
  - .agpr_count:     0
    .args:
      - .offset:         0
        .size:           96
        .value_kind:     by_value
    .group_segment_fixed_size: 0
    .kernarg_segment_align: 8
    .kernarg_segment_size: 96
    .language:       OpenCL C
    .language_version:
      - 2
      - 0
    .max_flat_workgroup_size: 256
    .name:           _ZN7rocprim17ROCPRIM_400000_NS6detail17trampoline_kernelINS0_14default_configENS1_20scan_config_selectorIiEEZZNS1_9scan_implILNS1_25lookback_scan_determinismE0ELb0ELb0ES3_PiS8_iN6thrust23THRUST_200600_302600_NS4plusIvEEiEEDaPvRmT3_T4_T5_mT6_P12ihipStream_tbENKUlT_T0_E_clISt17integral_constantIbLb1EESP_IbLb0EEEEDaSL_SM_EUlSL_E_NS1_11comp_targetILNS1_3genE10ELNS1_11target_archE1200ELNS1_3gpuE4ELNS1_3repE0EEENS1_30default_config_static_selectorELNS0_4arch9wavefront6targetE1EEEvT1_
    .private_segment_fixed_size: 0
    .sgpr_count:     4
    .sgpr_spill_count: 0
    .symbol:         _ZN7rocprim17ROCPRIM_400000_NS6detail17trampoline_kernelINS0_14default_configENS1_20scan_config_selectorIiEEZZNS1_9scan_implILNS1_25lookback_scan_determinismE0ELb0ELb0ES3_PiS8_iN6thrust23THRUST_200600_302600_NS4plusIvEEiEEDaPvRmT3_T4_T5_mT6_P12ihipStream_tbENKUlT_T0_E_clISt17integral_constantIbLb1EESP_IbLb0EEEEDaSL_SM_EUlSL_E_NS1_11comp_targetILNS1_3genE10ELNS1_11target_archE1200ELNS1_3gpuE4ELNS1_3repE0EEENS1_30default_config_static_selectorELNS0_4arch9wavefront6targetE1EEEvT1_.kd
    .uniform_work_group_size: 1
    .uses_dynamic_stack: false
    .vgpr_count:     0
    .vgpr_spill_count: 0
    .wavefront_size: 64
  - .agpr_count:     0
    .args:
      - .offset:         0
        .size:           96
        .value_kind:     by_value
    .group_segment_fixed_size: 0
    .kernarg_segment_align: 8
    .kernarg_segment_size: 96
    .language:       OpenCL C
    .language_version:
      - 2
      - 0
    .max_flat_workgroup_size: 256
    .name:           _ZN7rocprim17ROCPRIM_400000_NS6detail17trampoline_kernelINS0_14default_configENS1_20scan_config_selectorIiEEZZNS1_9scan_implILNS1_25lookback_scan_determinismE0ELb0ELb0ES3_PiS8_iN6thrust23THRUST_200600_302600_NS4plusIvEEiEEDaPvRmT3_T4_T5_mT6_P12ihipStream_tbENKUlT_T0_E_clISt17integral_constantIbLb1EESP_IbLb0EEEEDaSL_SM_EUlSL_E_NS1_11comp_targetILNS1_3genE9ELNS1_11target_archE1100ELNS1_3gpuE3ELNS1_3repE0EEENS1_30default_config_static_selectorELNS0_4arch9wavefront6targetE1EEEvT1_
    .private_segment_fixed_size: 0
    .sgpr_count:     4
    .sgpr_spill_count: 0
    .symbol:         _ZN7rocprim17ROCPRIM_400000_NS6detail17trampoline_kernelINS0_14default_configENS1_20scan_config_selectorIiEEZZNS1_9scan_implILNS1_25lookback_scan_determinismE0ELb0ELb0ES3_PiS8_iN6thrust23THRUST_200600_302600_NS4plusIvEEiEEDaPvRmT3_T4_T5_mT6_P12ihipStream_tbENKUlT_T0_E_clISt17integral_constantIbLb1EESP_IbLb0EEEEDaSL_SM_EUlSL_E_NS1_11comp_targetILNS1_3genE9ELNS1_11target_archE1100ELNS1_3gpuE3ELNS1_3repE0EEENS1_30default_config_static_selectorELNS0_4arch9wavefront6targetE1EEEvT1_.kd
    .uniform_work_group_size: 1
    .uses_dynamic_stack: false
    .vgpr_count:     0
    .vgpr_spill_count: 0
    .wavefront_size: 64
  - .agpr_count:     0
    .args:
      - .offset:         0
        .size:           96
        .value_kind:     by_value
    .group_segment_fixed_size: 0
    .kernarg_segment_align: 8
    .kernarg_segment_size: 96
    .language:       OpenCL C
    .language_version:
      - 2
      - 0
    .max_flat_workgroup_size: 64
    .name:           _ZN7rocprim17ROCPRIM_400000_NS6detail17trampoline_kernelINS0_14default_configENS1_20scan_config_selectorIiEEZZNS1_9scan_implILNS1_25lookback_scan_determinismE0ELb0ELb0ES3_PiS8_iN6thrust23THRUST_200600_302600_NS4plusIvEEiEEDaPvRmT3_T4_T5_mT6_P12ihipStream_tbENKUlT_T0_E_clISt17integral_constantIbLb1EESP_IbLb0EEEEDaSL_SM_EUlSL_E_NS1_11comp_targetILNS1_3genE8ELNS1_11target_archE1030ELNS1_3gpuE2ELNS1_3repE0EEENS1_30default_config_static_selectorELNS0_4arch9wavefront6targetE1EEEvT1_
    .private_segment_fixed_size: 0
    .sgpr_count:     4
    .sgpr_spill_count: 0
    .symbol:         _ZN7rocprim17ROCPRIM_400000_NS6detail17trampoline_kernelINS0_14default_configENS1_20scan_config_selectorIiEEZZNS1_9scan_implILNS1_25lookback_scan_determinismE0ELb0ELb0ES3_PiS8_iN6thrust23THRUST_200600_302600_NS4plusIvEEiEEDaPvRmT3_T4_T5_mT6_P12ihipStream_tbENKUlT_T0_E_clISt17integral_constantIbLb1EESP_IbLb0EEEEDaSL_SM_EUlSL_E_NS1_11comp_targetILNS1_3genE8ELNS1_11target_archE1030ELNS1_3gpuE2ELNS1_3repE0EEENS1_30default_config_static_selectorELNS0_4arch9wavefront6targetE1EEEvT1_.kd
    .uniform_work_group_size: 1
    .uses_dynamic_stack: false
    .vgpr_count:     0
    .vgpr_spill_count: 0
    .wavefront_size: 64
  - .agpr_count:     0
    .args:
      - .offset:         0
        .size:           32
        .value_kind:     by_value
    .group_segment_fixed_size: 0
    .kernarg_segment_align: 8
    .kernarg_segment_size: 32
    .language:       OpenCL C
    .language_version:
      - 2
      - 0
    .max_flat_workgroup_size: 256
    .name:           _ZN7rocprim17ROCPRIM_400000_NS6detail17trampoline_kernelINS0_14default_configENS1_20scan_config_selectorIiEEZZNS1_9scan_implILNS1_25lookback_scan_determinismE0ELb0ELb0ES3_PiS8_iN6thrust23THRUST_200600_302600_NS4plusIvEEiEEDaPvRmT3_T4_T5_mT6_P12ihipStream_tbENKUlT_T0_E_clISt17integral_constantIbLb1EESP_IbLb0EEEEDaSL_SM_EUlSL_E0_NS1_11comp_targetILNS1_3genE0ELNS1_11target_archE4294967295ELNS1_3gpuE0ELNS1_3repE0EEENS1_30default_config_static_selectorELNS0_4arch9wavefront6targetE1EEEvT1_
    .private_segment_fixed_size: 0
    .sgpr_count:     4
    .sgpr_spill_count: 0
    .symbol:         _ZN7rocprim17ROCPRIM_400000_NS6detail17trampoline_kernelINS0_14default_configENS1_20scan_config_selectorIiEEZZNS1_9scan_implILNS1_25lookback_scan_determinismE0ELb0ELb0ES3_PiS8_iN6thrust23THRUST_200600_302600_NS4plusIvEEiEEDaPvRmT3_T4_T5_mT6_P12ihipStream_tbENKUlT_T0_E_clISt17integral_constantIbLb1EESP_IbLb0EEEEDaSL_SM_EUlSL_E0_NS1_11comp_targetILNS1_3genE0ELNS1_11target_archE4294967295ELNS1_3gpuE0ELNS1_3repE0EEENS1_30default_config_static_selectorELNS0_4arch9wavefront6targetE1EEEvT1_.kd
    .uniform_work_group_size: 1
    .uses_dynamic_stack: false
    .vgpr_count:     0
    .vgpr_spill_count: 0
    .wavefront_size: 64
  - .agpr_count:     0
    .args:
      - .offset:         0
        .size:           32
        .value_kind:     by_value
    .group_segment_fixed_size: 0
    .kernarg_segment_align: 8
    .kernarg_segment_size: 32
    .language:       OpenCL C
    .language_version:
      - 2
      - 0
    .max_flat_workgroup_size: 256
    .name:           _ZN7rocprim17ROCPRIM_400000_NS6detail17trampoline_kernelINS0_14default_configENS1_20scan_config_selectorIiEEZZNS1_9scan_implILNS1_25lookback_scan_determinismE0ELb0ELb0ES3_PiS8_iN6thrust23THRUST_200600_302600_NS4plusIvEEiEEDaPvRmT3_T4_T5_mT6_P12ihipStream_tbENKUlT_T0_E_clISt17integral_constantIbLb1EESP_IbLb0EEEEDaSL_SM_EUlSL_E0_NS1_11comp_targetILNS1_3genE5ELNS1_11target_archE942ELNS1_3gpuE9ELNS1_3repE0EEENS1_30default_config_static_selectorELNS0_4arch9wavefront6targetE1EEEvT1_
    .private_segment_fixed_size: 0
    .sgpr_count:     4
    .sgpr_spill_count: 0
    .symbol:         _ZN7rocprim17ROCPRIM_400000_NS6detail17trampoline_kernelINS0_14default_configENS1_20scan_config_selectorIiEEZZNS1_9scan_implILNS1_25lookback_scan_determinismE0ELb0ELb0ES3_PiS8_iN6thrust23THRUST_200600_302600_NS4plusIvEEiEEDaPvRmT3_T4_T5_mT6_P12ihipStream_tbENKUlT_T0_E_clISt17integral_constantIbLb1EESP_IbLb0EEEEDaSL_SM_EUlSL_E0_NS1_11comp_targetILNS1_3genE5ELNS1_11target_archE942ELNS1_3gpuE9ELNS1_3repE0EEENS1_30default_config_static_selectorELNS0_4arch9wavefront6targetE1EEEvT1_.kd
    .uniform_work_group_size: 1
    .uses_dynamic_stack: false
    .vgpr_count:     0
    .vgpr_spill_count: 0
    .wavefront_size: 64
  - .agpr_count:     0
    .args:
      - .offset:         0
        .size:           32
        .value_kind:     by_value
    .group_segment_fixed_size: 5120
    .kernarg_segment_align: 8
    .kernarg_segment_size: 32
    .language:       OpenCL C
    .language_version:
      - 2
      - 0
    .max_flat_workgroup_size: 128
    .name:           _ZN7rocprim17ROCPRIM_400000_NS6detail17trampoline_kernelINS0_14default_configENS1_20scan_config_selectorIiEEZZNS1_9scan_implILNS1_25lookback_scan_determinismE0ELb0ELb0ES3_PiS8_iN6thrust23THRUST_200600_302600_NS4plusIvEEiEEDaPvRmT3_T4_T5_mT6_P12ihipStream_tbENKUlT_T0_E_clISt17integral_constantIbLb1EESP_IbLb0EEEEDaSL_SM_EUlSL_E0_NS1_11comp_targetILNS1_3genE4ELNS1_11target_archE910ELNS1_3gpuE8ELNS1_3repE0EEENS1_30default_config_static_selectorELNS0_4arch9wavefront6targetE1EEEvT1_
    .private_segment_fixed_size: 0
    .sgpr_count:     28
    .sgpr_spill_count: 0
    .symbol:         _ZN7rocprim17ROCPRIM_400000_NS6detail17trampoline_kernelINS0_14default_configENS1_20scan_config_selectorIiEEZZNS1_9scan_implILNS1_25lookback_scan_determinismE0ELb0ELb0ES3_PiS8_iN6thrust23THRUST_200600_302600_NS4plusIvEEiEEDaPvRmT3_T4_T5_mT6_P12ihipStream_tbENKUlT_T0_E_clISt17integral_constantIbLb1EESP_IbLb0EEEEDaSL_SM_EUlSL_E0_NS1_11comp_targetILNS1_3genE4ELNS1_11target_archE910ELNS1_3gpuE8ELNS1_3repE0EEENS1_30default_config_static_selectorELNS0_4arch9wavefront6targetE1EEEvT1_.kd
    .uniform_work_group_size: 1
    .uses_dynamic_stack: false
    .vgpr_count:     27
    .vgpr_spill_count: 0
    .wavefront_size: 64
  - .agpr_count:     0
    .args:
      - .offset:         0
        .size:           32
        .value_kind:     by_value
    .group_segment_fixed_size: 0
    .kernarg_segment_align: 8
    .kernarg_segment_size: 32
    .language:       OpenCL C
    .language_version:
      - 2
      - 0
    .max_flat_workgroup_size: 256
    .name:           _ZN7rocprim17ROCPRIM_400000_NS6detail17trampoline_kernelINS0_14default_configENS1_20scan_config_selectorIiEEZZNS1_9scan_implILNS1_25lookback_scan_determinismE0ELb0ELb0ES3_PiS8_iN6thrust23THRUST_200600_302600_NS4plusIvEEiEEDaPvRmT3_T4_T5_mT6_P12ihipStream_tbENKUlT_T0_E_clISt17integral_constantIbLb1EESP_IbLb0EEEEDaSL_SM_EUlSL_E0_NS1_11comp_targetILNS1_3genE3ELNS1_11target_archE908ELNS1_3gpuE7ELNS1_3repE0EEENS1_30default_config_static_selectorELNS0_4arch9wavefront6targetE1EEEvT1_
    .private_segment_fixed_size: 0
    .sgpr_count:     4
    .sgpr_spill_count: 0
    .symbol:         _ZN7rocprim17ROCPRIM_400000_NS6detail17trampoline_kernelINS0_14default_configENS1_20scan_config_selectorIiEEZZNS1_9scan_implILNS1_25lookback_scan_determinismE0ELb0ELb0ES3_PiS8_iN6thrust23THRUST_200600_302600_NS4plusIvEEiEEDaPvRmT3_T4_T5_mT6_P12ihipStream_tbENKUlT_T0_E_clISt17integral_constantIbLb1EESP_IbLb0EEEEDaSL_SM_EUlSL_E0_NS1_11comp_targetILNS1_3genE3ELNS1_11target_archE908ELNS1_3gpuE7ELNS1_3repE0EEENS1_30default_config_static_selectorELNS0_4arch9wavefront6targetE1EEEvT1_.kd
    .uniform_work_group_size: 1
    .uses_dynamic_stack: false
    .vgpr_count:     0
    .vgpr_spill_count: 0
    .wavefront_size: 64
  - .agpr_count:     0
    .args:
      - .offset:         0
        .size:           32
        .value_kind:     by_value
    .group_segment_fixed_size: 0
    .kernarg_segment_align: 8
    .kernarg_segment_size: 32
    .language:       OpenCL C
    .language_version:
      - 2
      - 0
    .max_flat_workgroup_size: 256
    .name:           _ZN7rocprim17ROCPRIM_400000_NS6detail17trampoline_kernelINS0_14default_configENS1_20scan_config_selectorIiEEZZNS1_9scan_implILNS1_25lookback_scan_determinismE0ELb0ELb0ES3_PiS8_iN6thrust23THRUST_200600_302600_NS4plusIvEEiEEDaPvRmT3_T4_T5_mT6_P12ihipStream_tbENKUlT_T0_E_clISt17integral_constantIbLb1EESP_IbLb0EEEEDaSL_SM_EUlSL_E0_NS1_11comp_targetILNS1_3genE2ELNS1_11target_archE906ELNS1_3gpuE6ELNS1_3repE0EEENS1_30default_config_static_selectorELNS0_4arch9wavefront6targetE1EEEvT1_
    .private_segment_fixed_size: 0
    .sgpr_count:     4
    .sgpr_spill_count: 0
    .symbol:         _ZN7rocprim17ROCPRIM_400000_NS6detail17trampoline_kernelINS0_14default_configENS1_20scan_config_selectorIiEEZZNS1_9scan_implILNS1_25lookback_scan_determinismE0ELb0ELb0ES3_PiS8_iN6thrust23THRUST_200600_302600_NS4plusIvEEiEEDaPvRmT3_T4_T5_mT6_P12ihipStream_tbENKUlT_T0_E_clISt17integral_constantIbLb1EESP_IbLb0EEEEDaSL_SM_EUlSL_E0_NS1_11comp_targetILNS1_3genE2ELNS1_11target_archE906ELNS1_3gpuE6ELNS1_3repE0EEENS1_30default_config_static_selectorELNS0_4arch9wavefront6targetE1EEEvT1_.kd
    .uniform_work_group_size: 1
    .uses_dynamic_stack: false
    .vgpr_count:     0
    .vgpr_spill_count: 0
    .wavefront_size: 64
  - .agpr_count:     0
    .args:
      - .offset:         0
        .size:           32
        .value_kind:     by_value
    .group_segment_fixed_size: 0
    .kernarg_segment_align: 8
    .kernarg_segment_size: 32
    .language:       OpenCL C
    .language_version:
      - 2
      - 0
    .max_flat_workgroup_size: 256
    .name:           _ZN7rocprim17ROCPRIM_400000_NS6detail17trampoline_kernelINS0_14default_configENS1_20scan_config_selectorIiEEZZNS1_9scan_implILNS1_25lookback_scan_determinismE0ELb0ELb0ES3_PiS8_iN6thrust23THRUST_200600_302600_NS4plusIvEEiEEDaPvRmT3_T4_T5_mT6_P12ihipStream_tbENKUlT_T0_E_clISt17integral_constantIbLb1EESP_IbLb0EEEEDaSL_SM_EUlSL_E0_NS1_11comp_targetILNS1_3genE10ELNS1_11target_archE1201ELNS1_3gpuE5ELNS1_3repE0EEENS1_30default_config_static_selectorELNS0_4arch9wavefront6targetE1EEEvT1_
    .private_segment_fixed_size: 0
    .sgpr_count:     4
    .sgpr_spill_count: 0
    .symbol:         _ZN7rocprim17ROCPRIM_400000_NS6detail17trampoline_kernelINS0_14default_configENS1_20scan_config_selectorIiEEZZNS1_9scan_implILNS1_25lookback_scan_determinismE0ELb0ELb0ES3_PiS8_iN6thrust23THRUST_200600_302600_NS4plusIvEEiEEDaPvRmT3_T4_T5_mT6_P12ihipStream_tbENKUlT_T0_E_clISt17integral_constantIbLb1EESP_IbLb0EEEEDaSL_SM_EUlSL_E0_NS1_11comp_targetILNS1_3genE10ELNS1_11target_archE1201ELNS1_3gpuE5ELNS1_3repE0EEENS1_30default_config_static_selectorELNS0_4arch9wavefront6targetE1EEEvT1_.kd
    .uniform_work_group_size: 1
    .uses_dynamic_stack: false
    .vgpr_count:     0
    .vgpr_spill_count: 0
    .wavefront_size: 64
  - .agpr_count:     0
    .args:
      - .offset:         0
        .size:           32
        .value_kind:     by_value
    .group_segment_fixed_size: 0
    .kernarg_segment_align: 8
    .kernarg_segment_size: 32
    .language:       OpenCL C
    .language_version:
      - 2
      - 0
    .max_flat_workgroup_size: 256
    .name:           _ZN7rocprim17ROCPRIM_400000_NS6detail17trampoline_kernelINS0_14default_configENS1_20scan_config_selectorIiEEZZNS1_9scan_implILNS1_25lookback_scan_determinismE0ELb0ELb0ES3_PiS8_iN6thrust23THRUST_200600_302600_NS4plusIvEEiEEDaPvRmT3_T4_T5_mT6_P12ihipStream_tbENKUlT_T0_E_clISt17integral_constantIbLb1EESP_IbLb0EEEEDaSL_SM_EUlSL_E0_NS1_11comp_targetILNS1_3genE10ELNS1_11target_archE1200ELNS1_3gpuE4ELNS1_3repE0EEENS1_30default_config_static_selectorELNS0_4arch9wavefront6targetE1EEEvT1_
    .private_segment_fixed_size: 0
    .sgpr_count:     4
    .sgpr_spill_count: 0
    .symbol:         _ZN7rocprim17ROCPRIM_400000_NS6detail17trampoline_kernelINS0_14default_configENS1_20scan_config_selectorIiEEZZNS1_9scan_implILNS1_25lookback_scan_determinismE0ELb0ELb0ES3_PiS8_iN6thrust23THRUST_200600_302600_NS4plusIvEEiEEDaPvRmT3_T4_T5_mT6_P12ihipStream_tbENKUlT_T0_E_clISt17integral_constantIbLb1EESP_IbLb0EEEEDaSL_SM_EUlSL_E0_NS1_11comp_targetILNS1_3genE10ELNS1_11target_archE1200ELNS1_3gpuE4ELNS1_3repE0EEENS1_30default_config_static_selectorELNS0_4arch9wavefront6targetE1EEEvT1_.kd
    .uniform_work_group_size: 1
    .uses_dynamic_stack: false
    .vgpr_count:     0
    .vgpr_spill_count: 0
    .wavefront_size: 64
  - .agpr_count:     0
    .args:
      - .offset:         0
        .size:           32
        .value_kind:     by_value
    .group_segment_fixed_size: 0
    .kernarg_segment_align: 8
    .kernarg_segment_size: 32
    .language:       OpenCL C
    .language_version:
      - 2
      - 0
    .max_flat_workgroup_size: 256
    .name:           _ZN7rocprim17ROCPRIM_400000_NS6detail17trampoline_kernelINS0_14default_configENS1_20scan_config_selectorIiEEZZNS1_9scan_implILNS1_25lookback_scan_determinismE0ELb0ELb0ES3_PiS8_iN6thrust23THRUST_200600_302600_NS4plusIvEEiEEDaPvRmT3_T4_T5_mT6_P12ihipStream_tbENKUlT_T0_E_clISt17integral_constantIbLb1EESP_IbLb0EEEEDaSL_SM_EUlSL_E0_NS1_11comp_targetILNS1_3genE9ELNS1_11target_archE1100ELNS1_3gpuE3ELNS1_3repE0EEENS1_30default_config_static_selectorELNS0_4arch9wavefront6targetE1EEEvT1_
    .private_segment_fixed_size: 0
    .sgpr_count:     4
    .sgpr_spill_count: 0
    .symbol:         _ZN7rocprim17ROCPRIM_400000_NS6detail17trampoline_kernelINS0_14default_configENS1_20scan_config_selectorIiEEZZNS1_9scan_implILNS1_25lookback_scan_determinismE0ELb0ELb0ES3_PiS8_iN6thrust23THRUST_200600_302600_NS4plusIvEEiEEDaPvRmT3_T4_T5_mT6_P12ihipStream_tbENKUlT_T0_E_clISt17integral_constantIbLb1EESP_IbLb0EEEEDaSL_SM_EUlSL_E0_NS1_11comp_targetILNS1_3genE9ELNS1_11target_archE1100ELNS1_3gpuE3ELNS1_3repE0EEENS1_30default_config_static_selectorELNS0_4arch9wavefront6targetE1EEEvT1_.kd
    .uniform_work_group_size: 1
    .uses_dynamic_stack: false
    .vgpr_count:     0
    .vgpr_spill_count: 0
    .wavefront_size: 64
  - .agpr_count:     0
    .args:
      - .offset:         0
        .size:           32
        .value_kind:     by_value
    .group_segment_fixed_size: 0
    .kernarg_segment_align: 8
    .kernarg_segment_size: 32
    .language:       OpenCL C
    .language_version:
      - 2
      - 0
    .max_flat_workgroup_size: 64
    .name:           _ZN7rocprim17ROCPRIM_400000_NS6detail17trampoline_kernelINS0_14default_configENS1_20scan_config_selectorIiEEZZNS1_9scan_implILNS1_25lookback_scan_determinismE0ELb0ELb0ES3_PiS8_iN6thrust23THRUST_200600_302600_NS4plusIvEEiEEDaPvRmT3_T4_T5_mT6_P12ihipStream_tbENKUlT_T0_E_clISt17integral_constantIbLb1EESP_IbLb0EEEEDaSL_SM_EUlSL_E0_NS1_11comp_targetILNS1_3genE8ELNS1_11target_archE1030ELNS1_3gpuE2ELNS1_3repE0EEENS1_30default_config_static_selectorELNS0_4arch9wavefront6targetE1EEEvT1_
    .private_segment_fixed_size: 0
    .sgpr_count:     4
    .sgpr_spill_count: 0
    .symbol:         _ZN7rocprim17ROCPRIM_400000_NS6detail17trampoline_kernelINS0_14default_configENS1_20scan_config_selectorIiEEZZNS1_9scan_implILNS1_25lookback_scan_determinismE0ELb0ELb0ES3_PiS8_iN6thrust23THRUST_200600_302600_NS4plusIvEEiEEDaPvRmT3_T4_T5_mT6_P12ihipStream_tbENKUlT_T0_E_clISt17integral_constantIbLb1EESP_IbLb0EEEEDaSL_SM_EUlSL_E0_NS1_11comp_targetILNS1_3genE8ELNS1_11target_archE1030ELNS1_3gpuE2ELNS1_3repE0EEENS1_30default_config_static_selectorELNS0_4arch9wavefront6targetE1EEEvT1_.kd
    .uniform_work_group_size: 1
    .uses_dynamic_stack: false
    .vgpr_count:     0
    .vgpr_spill_count: 0
    .wavefront_size: 64
  - .agpr_count:     0
    .args:
      - .address_space:  global
        .offset:         0
        .size:           8
        .value_kind:     global_buffer
      - .offset:         8
        .size:           4
        .value_kind:     by_value
      - .address_space:  global
        .offset:         16
        .size:           8
        .value_kind:     global_buffer
      - .offset:         24
        .size:           4
        .value_kind:     by_value
      - .address_space:  global
        .offset:         32
        .size:           8
        .value_kind:     global_buffer
      - .offset:         40
        .size:           4
        .value_kind:     hidden_block_count_x
      - .offset:         44
        .size:           4
        .value_kind:     hidden_block_count_y
      - .offset:         48
        .size:           4
        .value_kind:     hidden_block_count_z
      - .offset:         52
        .size:           2
        .value_kind:     hidden_group_size_x
      - .offset:         54
        .size:           2
        .value_kind:     hidden_group_size_y
      - .offset:         56
        .size:           2
        .value_kind:     hidden_group_size_z
      - .offset:         58
        .size:           2
        .value_kind:     hidden_remainder_x
      - .offset:         60
        .size:           2
        .value_kind:     hidden_remainder_y
      - .offset:         62
        .size:           2
        .value_kind:     hidden_remainder_z
      - .offset:         80
        .size:           8
        .value_kind:     hidden_global_offset_x
      - .offset:         88
        .size:           8
        .value_kind:     hidden_global_offset_y
      - .offset:         96
        .size:           8
        .value_kind:     hidden_global_offset_z
      - .offset:         104
        .size:           2
        .value_kind:     hidden_grid_dims
    .group_segment_fixed_size: 0
    .kernarg_segment_align: 8
    .kernarg_segment_size: 296
    .language:       OpenCL C
    .language_version:
      - 2
      - 0
    .max_flat_workgroup_size: 256
    .name:           _ZN7rocprim17ROCPRIM_400000_NS6detail31init_lookback_scan_state_kernelINS1_19lookback_scan_stateIiLb0ELb1EEENS1_16block_id_wrapperIjLb1EEEEEvT_jT0_jPNS7_10value_typeE
    .private_segment_fixed_size: 0
    .sgpr_count:     15
    .sgpr_spill_count: 0
    .symbol:         _ZN7rocprim17ROCPRIM_400000_NS6detail31init_lookback_scan_state_kernelINS1_19lookback_scan_stateIiLb0ELb1EEENS1_16block_id_wrapperIjLb1EEEEEvT_jT0_jPNS7_10value_typeE.kd
    .uniform_work_group_size: 1
    .uses_dynamic_stack: false
    .vgpr_count:     6
    .vgpr_spill_count: 0
    .wavefront_size: 64
  - .agpr_count:     0
    .args:
      - .offset:         0
        .size:           96
        .value_kind:     by_value
    .group_segment_fixed_size: 0
    .kernarg_segment_align: 8
    .kernarg_segment_size: 96
    .language:       OpenCL C
    .language_version:
      - 2
      - 0
    .max_flat_workgroup_size: 256
    .name:           _ZN7rocprim17ROCPRIM_400000_NS6detail17trampoline_kernelINS0_14default_configENS1_20scan_config_selectorIiEEZZNS1_9scan_implILNS1_25lookback_scan_determinismE0ELb0ELb0ES3_PiS8_iN6thrust23THRUST_200600_302600_NS4plusIvEEiEEDaPvRmT3_T4_T5_mT6_P12ihipStream_tbENKUlT_T0_E_clISt17integral_constantIbLb0EESP_IbLb1EEEEDaSL_SM_EUlSL_E_NS1_11comp_targetILNS1_3genE0ELNS1_11target_archE4294967295ELNS1_3gpuE0ELNS1_3repE0EEENS1_30default_config_static_selectorELNS0_4arch9wavefront6targetE1EEEvT1_
    .private_segment_fixed_size: 0
    .sgpr_count:     4
    .sgpr_spill_count: 0
    .symbol:         _ZN7rocprim17ROCPRIM_400000_NS6detail17trampoline_kernelINS0_14default_configENS1_20scan_config_selectorIiEEZZNS1_9scan_implILNS1_25lookback_scan_determinismE0ELb0ELb0ES3_PiS8_iN6thrust23THRUST_200600_302600_NS4plusIvEEiEEDaPvRmT3_T4_T5_mT6_P12ihipStream_tbENKUlT_T0_E_clISt17integral_constantIbLb0EESP_IbLb1EEEEDaSL_SM_EUlSL_E_NS1_11comp_targetILNS1_3genE0ELNS1_11target_archE4294967295ELNS1_3gpuE0ELNS1_3repE0EEENS1_30default_config_static_selectorELNS0_4arch9wavefront6targetE1EEEvT1_.kd
    .uniform_work_group_size: 1
    .uses_dynamic_stack: false
    .vgpr_count:     0
    .vgpr_spill_count: 0
    .wavefront_size: 64
  - .agpr_count:     0
    .args:
      - .offset:         0
        .size:           96
        .value_kind:     by_value
    .group_segment_fixed_size: 0
    .kernarg_segment_align: 8
    .kernarg_segment_size: 96
    .language:       OpenCL C
    .language_version:
      - 2
      - 0
    .max_flat_workgroup_size: 256
    .name:           _ZN7rocprim17ROCPRIM_400000_NS6detail17trampoline_kernelINS0_14default_configENS1_20scan_config_selectorIiEEZZNS1_9scan_implILNS1_25lookback_scan_determinismE0ELb0ELb0ES3_PiS8_iN6thrust23THRUST_200600_302600_NS4plusIvEEiEEDaPvRmT3_T4_T5_mT6_P12ihipStream_tbENKUlT_T0_E_clISt17integral_constantIbLb0EESP_IbLb1EEEEDaSL_SM_EUlSL_E_NS1_11comp_targetILNS1_3genE5ELNS1_11target_archE942ELNS1_3gpuE9ELNS1_3repE0EEENS1_30default_config_static_selectorELNS0_4arch9wavefront6targetE1EEEvT1_
    .private_segment_fixed_size: 0
    .sgpr_count:     4
    .sgpr_spill_count: 0
    .symbol:         _ZN7rocprim17ROCPRIM_400000_NS6detail17trampoline_kernelINS0_14default_configENS1_20scan_config_selectorIiEEZZNS1_9scan_implILNS1_25lookback_scan_determinismE0ELb0ELb0ES3_PiS8_iN6thrust23THRUST_200600_302600_NS4plusIvEEiEEDaPvRmT3_T4_T5_mT6_P12ihipStream_tbENKUlT_T0_E_clISt17integral_constantIbLb0EESP_IbLb1EEEEDaSL_SM_EUlSL_E_NS1_11comp_targetILNS1_3genE5ELNS1_11target_archE942ELNS1_3gpuE9ELNS1_3repE0EEENS1_30default_config_static_selectorELNS0_4arch9wavefront6targetE1EEEvT1_.kd
    .uniform_work_group_size: 1
    .uses_dynamic_stack: false
    .vgpr_count:     0
    .vgpr_spill_count: 0
    .wavefront_size: 64
  - .agpr_count:     0
    .args:
      - .offset:         0
        .size:           96
        .value_kind:     by_value
    .group_segment_fixed_size: 5120
    .kernarg_segment_align: 8
    .kernarg_segment_size: 96
    .language:       OpenCL C
    .language_version:
      - 2
      - 0
    .max_flat_workgroup_size: 128
    .name:           _ZN7rocprim17ROCPRIM_400000_NS6detail17trampoline_kernelINS0_14default_configENS1_20scan_config_selectorIiEEZZNS1_9scan_implILNS1_25lookback_scan_determinismE0ELb0ELb0ES3_PiS8_iN6thrust23THRUST_200600_302600_NS4plusIvEEiEEDaPvRmT3_T4_T5_mT6_P12ihipStream_tbENKUlT_T0_E_clISt17integral_constantIbLb0EESP_IbLb1EEEEDaSL_SM_EUlSL_E_NS1_11comp_targetILNS1_3genE4ELNS1_11target_archE910ELNS1_3gpuE8ELNS1_3repE0EEENS1_30default_config_static_selectorELNS0_4arch9wavefront6targetE1EEEvT1_
    .private_segment_fixed_size: 0
    .sgpr_count:     40
    .sgpr_spill_count: 0
    .symbol:         _ZN7rocprim17ROCPRIM_400000_NS6detail17trampoline_kernelINS0_14default_configENS1_20scan_config_selectorIiEEZZNS1_9scan_implILNS1_25lookback_scan_determinismE0ELb0ELb0ES3_PiS8_iN6thrust23THRUST_200600_302600_NS4plusIvEEiEEDaPvRmT3_T4_T5_mT6_P12ihipStream_tbENKUlT_T0_E_clISt17integral_constantIbLb0EESP_IbLb1EEEEDaSL_SM_EUlSL_E_NS1_11comp_targetILNS1_3genE4ELNS1_11target_archE910ELNS1_3gpuE8ELNS1_3repE0EEENS1_30default_config_static_selectorELNS0_4arch9wavefront6targetE1EEEvT1_.kd
    .uniform_work_group_size: 1
    .uses_dynamic_stack: false
    .vgpr_count:     40
    .vgpr_spill_count: 0
    .wavefront_size: 64
  - .agpr_count:     0
    .args:
      - .offset:         0
        .size:           96
        .value_kind:     by_value
    .group_segment_fixed_size: 0
    .kernarg_segment_align: 8
    .kernarg_segment_size: 96
    .language:       OpenCL C
    .language_version:
      - 2
      - 0
    .max_flat_workgroup_size: 256
    .name:           _ZN7rocprim17ROCPRIM_400000_NS6detail17trampoline_kernelINS0_14default_configENS1_20scan_config_selectorIiEEZZNS1_9scan_implILNS1_25lookback_scan_determinismE0ELb0ELb0ES3_PiS8_iN6thrust23THRUST_200600_302600_NS4plusIvEEiEEDaPvRmT3_T4_T5_mT6_P12ihipStream_tbENKUlT_T0_E_clISt17integral_constantIbLb0EESP_IbLb1EEEEDaSL_SM_EUlSL_E_NS1_11comp_targetILNS1_3genE3ELNS1_11target_archE908ELNS1_3gpuE7ELNS1_3repE0EEENS1_30default_config_static_selectorELNS0_4arch9wavefront6targetE1EEEvT1_
    .private_segment_fixed_size: 0
    .sgpr_count:     4
    .sgpr_spill_count: 0
    .symbol:         _ZN7rocprim17ROCPRIM_400000_NS6detail17trampoline_kernelINS0_14default_configENS1_20scan_config_selectorIiEEZZNS1_9scan_implILNS1_25lookback_scan_determinismE0ELb0ELb0ES3_PiS8_iN6thrust23THRUST_200600_302600_NS4plusIvEEiEEDaPvRmT3_T4_T5_mT6_P12ihipStream_tbENKUlT_T0_E_clISt17integral_constantIbLb0EESP_IbLb1EEEEDaSL_SM_EUlSL_E_NS1_11comp_targetILNS1_3genE3ELNS1_11target_archE908ELNS1_3gpuE7ELNS1_3repE0EEENS1_30default_config_static_selectorELNS0_4arch9wavefront6targetE1EEEvT1_.kd
    .uniform_work_group_size: 1
    .uses_dynamic_stack: false
    .vgpr_count:     0
    .vgpr_spill_count: 0
    .wavefront_size: 64
  - .agpr_count:     0
    .args:
      - .offset:         0
        .size:           96
        .value_kind:     by_value
    .group_segment_fixed_size: 0
    .kernarg_segment_align: 8
    .kernarg_segment_size: 96
    .language:       OpenCL C
    .language_version:
      - 2
      - 0
    .max_flat_workgroup_size: 256
    .name:           _ZN7rocprim17ROCPRIM_400000_NS6detail17trampoline_kernelINS0_14default_configENS1_20scan_config_selectorIiEEZZNS1_9scan_implILNS1_25lookback_scan_determinismE0ELb0ELb0ES3_PiS8_iN6thrust23THRUST_200600_302600_NS4plusIvEEiEEDaPvRmT3_T4_T5_mT6_P12ihipStream_tbENKUlT_T0_E_clISt17integral_constantIbLb0EESP_IbLb1EEEEDaSL_SM_EUlSL_E_NS1_11comp_targetILNS1_3genE2ELNS1_11target_archE906ELNS1_3gpuE6ELNS1_3repE0EEENS1_30default_config_static_selectorELNS0_4arch9wavefront6targetE1EEEvT1_
    .private_segment_fixed_size: 0
    .sgpr_count:     4
    .sgpr_spill_count: 0
    .symbol:         _ZN7rocprim17ROCPRIM_400000_NS6detail17trampoline_kernelINS0_14default_configENS1_20scan_config_selectorIiEEZZNS1_9scan_implILNS1_25lookback_scan_determinismE0ELb0ELb0ES3_PiS8_iN6thrust23THRUST_200600_302600_NS4plusIvEEiEEDaPvRmT3_T4_T5_mT6_P12ihipStream_tbENKUlT_T0_E_clISt17integral_constantIbLb0EESP_IbLb1EEEEDaSL_SM_EUlSL_E_NS1_11comp_targetILNS1_3genE2ELNS1_11target_archE906ELNS1_3gpuE6ELNS1_3repE0EEENS1_30default_config_static_selectorELNS0_4arch9wavefront6targetE1EEEvT1_.kd
    .uniform_work_group_size: 1
    .uses_dynamic_stack: false
    .vgpr_count:     0
    .vgpr_spill_count: 0
    .wavefront_size: 64
  - .agpr_count:     0
    .args:
      - .offset:         0
        .size:           96
        .value_kind:     by_value
    .group_segment_fixed_size: 0
    .kernarg_segment_align: 8
    .kernarg_segment_size: 96
    .language:       OpenCL C
    .language_version:
      - 2
      - 0
    .max_flat_workgroup_size: 256
    .name:           _ZN7rocprim17ROCPRIM_400000_NS6detail17trampoline_kernelINS0_14default_configENS1_20scan_config_selectorIiEEZZNS1_9scan_implILNS1_25lookback_scan_determinismE0ELb0ELb0ES3_PiS8_iN6thrust23THRUST_200600_302600_NS4plusIvEEiEEDaPvRmT3_T4_T5_mT6_P12ihipStream_tbENKUlT_T0_E_clISt17integral_constantIbLb0EESP_IbLb1EEEEDaSL_SM_EUlSL_E_NS1_11comp_targetILNS1_3genE10ELNS1_11target_archE1201ELNS1_3gpuE5ELNS1_3repE0EEENS1_30default_config_static_selectorELNS0_4arch9wavefront6targetE1EEEvT1_
    .private_segment_fixed_size: 0
    .sgpr_count:     4
    .sgpr_spill_count: 0
    .symbol:         _ZN7rocprim17ROCPRIM_400000_NS6detail17trampoline_kernelINS0_14default_configENS1_20scan_config_selectorIiEEZZNS1_9scan_implILNS1_25lookback_scan_determinismE0ELb0ELb0ES3_PiS8_iN6thrust23THRUST_200600_302600_NS4plusIvEEiEEDaPvRmT3_T4_T5_mT6_P12ihipStream_tbENKUlT_T0_E_clISt17integral_constantIbLb0EESP_IbLb1EEEEDaSL_SM_EUlSL_E_NS1_11comp_targetILNS1_3genE10ELNS1_11target_archE1201ELNS1_3gpuE5ELNS1_3repE0EEENS1_30default_config_static_selectorELNS0_4arch9wavefront6targetE1EEEvT1_.kd
    .uniform_work_group_size: 1
    .uses_dynamic_stack: false
    .vgpr_count:     0
    .vgpr_spill_count: 0
    .wavefront_size: 64
  - .agpr_count:     0
    .args:
      - .offset:         0
        .size:           96
        .value_kind:     by_value
    .group_segment_fixed_size: 0
    .kernarg_segment_align: 8
    .kernarg_segment_size: 96
    .language:       OpenCL C
    .language_version:
      - 2
      - 0
    .max_flat_workgroup_size: 256
    .name:           _ZN7rocprim17ROCPRIM_400000_NS6detail17trampoline_kernelINS0_14default_configENS1_20scan_config_selectorIiEEZZNS1_9scan_implILNS1_25lookback_scan_determinismE0ELb0ELb0ES3_PiS8_iN6thrust23THRUST_200600_302600_NS4plusIvEEiEEDaPvRmT3_T4_T5_mT6_P12ihipStream_tbENKUlT_T0_E_clISt17integral_constantIbLb0EESP_IbLb1EEEEDaSL_SM_EUlSL_E_NS1_11comp_targetILNS1_3genE10ELNS1_11target_archE1200ELNS1_3gpuE4ELNS1_3repE0EEENS1_30default_config_static_selectorELNS0_4arch9wavefront6targetE1EEEvT1_
    .private_segment_fixed_size: 0
    .sgpr_count:     4
    .sgpr_spill_count: 0
    .symbol:         _ZN7rocprim17ROCPRIM_400000_NS6detail17trampoline_kernelINS0_14default_configENS1_20scan_config_selectorIiEEZZNS1_9scan_implILNS1_25lookback_scan_determinismE0ELb0ELb0ES3_PiS8_iN6thrust23THRUST_200600_302600_NS4plusIvEEiEEDaPvRmT3_T4_T5_mT6_P12ihipStream_tbENKUlT_T0_E_clISt17integral_constantIbLb0EESP_IbLb1EEEEDaSL_SM_EUlSL_E_NS1_11comp_targetILNS1_3genE10ELNS1_11target_archE1200ELNS1_3gpuE4ELNS1_3repE0EEENS1_30default_config_static_selectorELNS0_4arch9wavefront6targetE1EEEvT1_.kd
    .uniform_work_group_size: 1
    .uses_dynamic_stack: false
    .vgpr_count:     0
    .vgpr_spill_count: 0
    .wavefront_size: 64
  - .agpr_count:     0
    .args:
      - .offset:         0
        .size:           96
        .value_kind:     by_value
    .group_segment_fixed_size: 0
    .kernarg_segment_align: 8
    .kernarg_segment_size: 96
    .language:       OpenCL C
    .language_version:
      - 2
      - 0
    .max_flat_workgroup_size: 256
    .name:           _ZN7rocprim17ROCPRIM_400000_NS6detail17trampoline_kernelINS0_14default_configENS1_20scan_config_selectorIiEEZZNS1_9scan_implILNS1_25lookback_scan_determinismE0ELb0ELb0ES3_PiS8_iN6thrust23THRUST_200600_302600_NS4plusIvEEiEEDaPvRmT3_T4_T5_mT6_P12ihipStream_tbENKUlT_T0_E_clISt17integral_constantIbLb0EESP_IbLb1EEEEDaSL_SM_EUlSL_E_NS1_11comp_targetILNS1_3genE9ELNS1_11target_archE1100ELNS1_3gpuE3ELNS1_3repE0EEENS1_30default_config_static_selectorELNS0_4arch9wavefront6targetE1EEEvT1_
    .private_segment_fixed_size: 0
    .sgpr_count:     4
    .sgpr_spill_count: 0
    .symbol:         _ZN7rocprim17ROCPRIM_400000_NS6detail17trampoline_kernelINS0_14default_configENS1_20scan_config_selectorIiEEZZNS1_9scan_implILNS1_25lookback_scan_determinismE0ELb0ELb0ES3_PiS8_iN6thrust23THRUST_200600_302600_NS4plusIvEEiEEDaPvRmT3_T4_T5_mT6_P12ihipStream_tbENKUlT_T0_E_clISt17integral_constantIbLb0EESP_IbLb1EEEEDaSL_SM_EUlSL_E_NS1_11comp_targetILNS1_3genE9ELNS1_11target_archE1100ELNS1_3gpuE3ELNS1_3repE0EEENS1_30default_config_static_selectorELNS0_4arch9wavefront6targetE1EEEvT1_.kd
    .uniform_work_group_size: 1
    .uses_dynamic_stack: false
    .vgpr_count:     0
    .vgpr_spill_count: 0
    .wavefront_size: 64
  - .agpr_count:     0
    .args:
      - .offset:         0
        .size:           96
        .value_kind:     by_value
    .group_segment_fixed_size: 0
    .kernarg_segment_align: 8
    .kernarg_segment_size: 96
    .language:       OpenCL C
    .language_version:
      - 2
      - 0
    .max_flat_workgroup_size: 64
    .name:           _ZN7rocprim17ROCPRIM_400000_NS6detail17trampoline_kernelINS0_14default_configENS1_20scan_config_selectorIiEEZZNS1_9scan_implILNS1_25lookback_scan_determinismE0ELb0ELb0ES3_PiS8_iN6thrust23THRUST_200600_302600_NS4plusIvEEiEEDaPvRmT3_T4_T5_mT6_P12ihipStream_tbENKUlT_T0_E_clISt17integral_constantIbLb0EESP_IbLb1EEEEDaSL_SM_EUlSL_E_NS1_11comp_targetILNS1_3genE8ELNS1_11target_archE1030ELNS1_3gpuE2ELNS1_3repE0EEENS1_30default_config_static_selectorELNS0_4arch9wavefront6targetE1EEEvT1_
    .private_segment_fixed_size: 0
    .sgpr_count:     4
    .sgpr_spill_count: 0
    .symbol:         _ZN7rocprim17ROCPRIM_400000_NS6detail17trampoline_kernelINS0_14default_configENS1_20scan_config_selectorIiEEZZNS1_9scan_implILNS1_25lookback_scan_determinismE0ELb0ELb0ES3_PiS8_iN6thrust23THRUST_200600_302600_NS4plusIvEEiEEDaPvRmT3_T4_T5_mT6_P12ihipStream_tbENKUlT_T0_E_clISt17integral_constantIbLb0EESP_IbLb1EEEEDaSL_SM_EUlSL_E_NS1_11comp_targetILNS1_3genE8ELNS1_11target_archE1030ELNS1_3gpuE2ELNS1_3repE0EEENS1_30default_config_static_selectorELNS0_4arch9wavefront6targetE1EEEvT1_.kd
    .uniform_work_group_size: 1
    .uses_dynamic_stack: false
    .vgpr_count:     0
    .vgpr_spill_count: 0
    .wavefront_size: 64
  - .agpr_count:     0
    .args:
      - .offset:         0
        .size:           32
        .value_kind:     by_value
    .group_segment_fixed_size: 0
    .kernarg_segment_align: 8
    .kernarg_segment_size: 32
    .language:       OpenCL C
    .language_version:
      - 2
      - 0
    .max_flat_workgroup_size: 256
    .name:           _ZN7rocprim17ROCPRIM_400000_NS6detail17trampoline_kernelINS0_14default_configENS1_20scan_config_selectorIiEEZZNS1_9scan_implILNS1_25lookback_scan_determinismE0ELb0ELb0ES3_PiS8_iN6thrust23THRUST_200600_302600_NS4plusIvEEiEEDaPvRmT3_T4_T5_mT6_P12ihipStream_tbENKUlT_T0_E_clISt17integral_constantIbLb0EESP_IbLb1EEEEDaSL_SM_EUlSL_E0_NS1_11comp_targetILNS1_3genE0ELNS1_11target_archE4294967295ELNS1_3gpuE0ELNS1_3repE0EEENS1_30default_config_static_selectorELNS0_4arch9wavefront6targetE1EEEvT1_
    .private_segment_fixed_size: 0
    .sgpr_count:     4
    .sgpr_spill_count: 0
    .symbol:         _ZN7rocprim17ROCPRIM_400000_NS6detail17trampoline_kernelINS0_14default_configENS1_20scan_config_selectorIiEEZZNS1_9scan_implILNS1_25lookback_scan_determinismE0ELb0ELb0ES3_PiS8_iN6thrust23THRUST_200600_302600_NS4plusIvEEiEEDaPvRmT3_T4_T5_mT6_P12ihipStream_tbENKUlT_T0_E_clISt17integral_constantIbLb0EESP_IbLb1EEEEDaSL_SM_EUlSL_E0_NS1_11comp_targetILNS1_3genE0ELNS1_11target_archE4294967295ELNS1_3gpuE0ELNS1_3repE0EEENS1_30default_config_static_selectorELNS0_4arch9wavefront6targetE1EEEvT1_.kd
    .uniform_work_group_size: 1
    .uses_dynamic_stack: false
    .vgpr_count:     0
    .vgpr_spill_count: 0
    .wavefront_size: 64
  - .agpr_count:     0
    .args:
      - .offset:         0
        .size:           32
        .value_kind:     by_value
    .group_segment_fixed_size: 0
    .kernarg_segment_align: 8
    .kernarg_segment_size: 32
    .language:       OpenCL C
    .language_version:
      - 2
      - 0
    .max_flat_workgroup_size: 256
    .name:           _ZN7rocprim17ROCPRIM_400000_NS6detail17trampoline_kernelINS0_14default_configENS1_20scan_config_selectorIiEEZZNS1_9scan_implILNS1_25lookback_scan_determinismE0ELb0ELb0ES3_PiS8_iN6thrust23THRUST_200600_302600_NS4plusIvEEiEEDaPvRmT3_T4_T5_mT6_P12ihipStream_tbENKUlT_T0_E_clISt17integral_constantIbLb0EESP_IbLb1EEEEDaSL_SM_EUlSL_E0_NS1_11comp_targetILNS1_3genE5ELNS1_11target_archE942ELNS1_3gpuE9ELNS1_3repE0EEENS1_30default_config_static_selectorELNS0_4arch9wavefront6targetE1EEEvT1_
    .private_segment_fixed_size: 0
    .sgpr_count:     4
    .sgpr_spill_count: 0
    .symbol:         _ZN7rocprim17ROCPRIM_400000_NS6detail17trampoline_kernelINS0_14default_configENS1_20scan_config_selectorIiEEZZNS1_9scan_implILNS1_25lookback_scan_determinismE0ELb0ELb0ES3_PiS8_iN6thrust23THRUST_200600_302600_NS4plusIvEEiEEDaPvRmT3_T4_T5_mT6_P12ihipStream_tbENKUlT_T0_E_clISt17integral_constantIbLb0EESP_IbLb1EEEEDaSL_SM_EUlSL_E0_NS1_11comp_targetILNS1_3genE5ELNS1_11target_archE942ELNS1_3gpuE9ELNS1_3repE0EEENS1_30default_config_static_selectorELNS0_4arch9wavefront6targetE1EEEvT1_.kd
    .uniform_work_group_size: 1
    .uses_dynamic_stack: false
    .vgpr_count:     0
    .vgpr_spill_count: 0
    .wavefront_size: 64
  - .agpr_count:     0
    .args:
      - .offset:         0
        .size:           32
        .value_kind:     by_value
    .group_segment_fixed_size: 5120
    .kernarg_segment_align: 8
    .kernarg_segment_size: 32
    .language:       OpenCL C
    .language_version:
      - 2
      - 0
    .max_flat_workgroup_size: 128
    .name:           _ZN7rocprim17ROCPRIM_400000_NS6detail17trampoline_kernelINS0_14default_configENS1_20scan_config_selectorIiEEZZNS1_9scan_implILNS1_25lookback_scan_determinismE0ELb0ELb0ES3_PiS8_iN6thrust23THRUST_200600_302600_NS4plusIvEEiEEDaPvRmT3_T4_T5_mT6_P12ihipStream_tbENKUlT_T0_E_clISt17integral_constantIbLb0EESP_IbLb1EEEEDaSL_SM_EUlSL_E0_NS1_11comp_targetILNS1_3genE4ELNS1_11target_archE910ELNS1_3gpuE8ELNS1_3repE0EEENS1_30default_config_static_selectorELNS0_4arch9wavefront6targetE1EEEvT1_
    .private_segment_fixed_size: 0
    .sgpr_count:     28
    .sgpr_spill_count: 0
    .symbol:         _ZN7rocprim17ROCPRIM_400000_NS6detail17trampoline_kernelINS0_14default_configENS1_20scan_config_selectorIiEEZZNS1_9scan_implILNS1_25lookback_scan_determinismE0ELb0ELb0ES3_PiS8_iN6thrust23THRUST_200600_302600_NS4plusIvEEiEEDaPvRmT3_T4_T5_mT6_P12ihipStream_tbENKUlT_T0_E_clISt17integral_constantIbLb0EESP_IbLb1EEEEDaSL_SM_EUlSL_E0_NS1_11comp_targetILNS1_3genE4ELNS1_11target_archE910ELNS1_3gpuE8ELNS1_3repE0EEENS1_30default_config_static_selectorELNS0_4arch9wavefront6targetE1EEEvT1_.kd
    .uniform_work_group_size: 1
    .uses_dynamic_stack: false
    .vgpr_count:     27
    .vgpr_spill_count: 0
    .wavefront_size: 64
  - .agpr_count:     0
    .args:
      - .offset:         0
        .size:           32
        .value_kind:     by_value
    .group_segment_fixed_size: 0
    .kernarg_segment_align: 8
    .kernarg_segment_size: 32
    .language:       OpenCL C
    .language_version:
      - 2
      - 0
    .max_flat_workgroup_size: 256
    .name:           _ZN7rocprim17ROCPRIM_400000_NS6detail17trampoline_kernelINS0_14default_configENS1_20scan_config_selectorIiEEZZNS1_9scan_implILNS1_25lookback_scan_determinismE0ELb0ELb0ES3_PiS8_iN6thrust23THRUST_200600_302600_NS4plusIvEEiEEDaPvRmT3_T4_T5_mT6_P12ihipStream_tbENKUlT_T0_E_clISt17integral_constantIbLb0EESP_IbLb1EEEEDaSL_SM_EUlSL_E0_NS1_11comp_targetILNS1_3genE3ELNS1_11target_archE908ELNS1_3gpuE7ELNS1_3repE0EEENS1_30default_config_static_selectorELNS0_4arch9wavefront6targetE1EEEvT1_
    .private_segment_fixed_size: 0
    .sgpr_count:     4
    .sgpr_spill_count: 0
    .symbol:         _ZN7rocprim17ROCPRIM_400000_NS6detail17trampoline_kernelINS0_14default_configENS1_20scan_config_selectorIiEEZZNS1_9scan_implILNS1_25lookback_scan_determinismE0ELb0ELb0ES3_PiS8_iN6thrust23THRUST_200600_302600_NS4plusIvEEiEEDaPvRmT3_T4_T5_mT6_P12ihipStream_tbENKUlT_T0_E_clISt17integral_constantIbLb0EESP_IbLb1EEEEDaSL_SM_EUlSL_E0_NS1_11comp_targetILNS1_3genE3ELNS1_11target_archE908ELNS1_3gpuE7ELNS1_3repE0EEENS1_30default_config_static_selectorELNS0_4arch9wavefront6targetE1EEEvT1_.kd
    .uniform_work_group_size: 1
    .uses_dynamic_stack: false
    .vgpr_count:     0
    .vgpr_spill_count: 0
    .wavefront_size: 64
  - .agpr_count:     0
    .args:
      - .offset:         0
        .size:           32
        .value_kind:     by_value
    .group_segment_fixed_size: 0
    .kernarg_segment_align: 8
    .kernarg_segment_size: 32
    .language:       OpenCL C
    .language_version:
      - 2
      - 0
    .max_flat_workgroup_size: 256
    .name:           _ZN7rocprim17ROCPRIM_400000_NS6detail17trampoline_kernelINS0_14default_configENS1_20scan_config_selectorIiEEZZNS1_9scan_implILNS1_25lookback_scan_determinismE0ELb0ELb0ES3_PiS8_iN6thrust23THRUST_200600_302600_NS4plusIvEEiEEDaPvRmT3_T4_T5_mT6_P12ihipStream_tbENKUlT_T0_E_clISt17integral_constantIbLb0EESP_IbLb1EEEEDaSL_SM_EUlSL_E0_NS1_11comp_targetILNS1_3genE2ELNS1_11target_archE906ELNS1_3gpuE6ELNS1_3repE0EEENS1_30default_config_static_selectorELNS0_4arch9wavefront6targetE1EEEvT1_
    .private_segment_fixed_size: 0
    .sgpr_count:     4
    .sgpr_spill_count: 0
    .symbol:         _ZN7rocprim17ROCPRIM_400000_NS6detail17trampoline_kernelINS0_14default_configENS1_20scan_config_selectorIiEEZZNS1_9scan_implILNS1_25lookback_scan_determinismE0ELb0ELb0ES3_PiS8_iN6thrust23THRUST_200600_302600_NS4plusIvEEiEEDaPvRmT3_T4_T5_mT6_P12ihipStream_tbENKUlT_T0_E_clISt17integral_constantIbLb0EESP_IbLb1EEEEDaSL_SM_EUlSL_E0_NS1_11comp_targetILNS1_3genE2ELNS1_11target_archE906ELNS1_3gpuE6ELNS1_3repE0EEENS1_30default_config_static_selectorELNS0_4arch9wavefront6targetE1EEEvT1_.kd
    .uniform_work_group_size: 1
    .uses_dynamic_stack: false
    .vgpr_count:     0
    .vgpr_spill_count: 0
    .wavefront_size: 64
  - .agpr_count:     0
    .args:
      - .offset:         0
        .size:           32
        .value_kind:     by_value
    .group_segment_fixed_size: 0
    .kernarg_segment_align: 8
    .kernarg_segment_size: 32
    .language:       OpenCL C
    .language_version:
      - 2
      - 0
    .max_flat_workgroup_size: 256
    .name:           _ZN7rocprim17ROCPRIM_400000_NS6detail17trampoline_kernelINS0_14default_configENS1_20scan_config_selectorIiEEZZNS1_9scan_implILNS1_25lookback_scan_determinismE0ELb0ELb0ES3_PiS8_iN6thrust23THRUST_200600_302600_NS4plusIvEEiEEDaPvRmT3_T4_T5_mT6_P12ihipStream_tbENKUlT_T0_E_clISt17integral_constantIbLb0EESP_IbLb1EEEEDaSL_SM_EUlSL_E0_NS1_11comp_targetILNS1_3genE10ELNS1_11target_archE1201ELNS1_3gpuE5ELNS1_3repE0EEENS1_30default_config_static_selectorELNS0_4arch9wavefront6targetE1EEEvT1_
    .private_segment_fixed_size: 0
    .sgpr_count:     4
    .sgpr_spill_count: 0
    .symbol:         _ZN7rocprim17ROCPRIM_400000_NS6detail17trampoline_kernelINS0_14default_configENS1_20scan_config_selectorIiEEZZNS1_9scan_implILNS1_25lookback_scan_determinismE0ELb0ELb0ES3_PiS8_iN6thrust23THRUST_200600_302600_NS4plusIvEEiEEDaPvRmT3_T4_T5_mT6_P12ihipStream_tbENKUlT_T0_E_clISt17integral_constantIbLb0EESP_IbLb1EEEEDaSL_SM_EUlSL_E0_NS1_11comp_targetILNS1_3genE10ELNS1_11target_archE1201ELNS1_3gpuE5ELNS1_3repE0EEENS1_30default_config_static_selectorELNS0_4arch9wavefront6targetE1EEEvT1_.kd
    .uniform_work_group_size: 1
    .uses_dynamic_stack: false
    .vgpr_count:     0
    .vgpr_spill_count: 0
    .wavefront_size: 64
  - .agpr_count:     0
    .args:
      - .offset:         0
        .size:           32
        .value_kind:     by_value
    .group_segment_fixed_size: 0
    .kernarg_segment_align: 8
    .kernarg_segment_size: 32
    .language:       OpenCL C
    .language_version:
      - 2
      - 0
    .max_flat_workgroup_size: 256
    .name:           _ZN7rocprim17ROCPRIM_400000_NS6detail17trampoline_kernelINS0_14default_configENS1_20scan_config_selectorIiEEZZNS1_9scan_implILNS1_25lookback_scan_determinismE0ELb0ELb0ES3_PiS8_iN6thrust23THRUST_200600_302600_NS4plusIvEEiEEDaPvRmT3_T4_T5_mT6_P12ihipStream_tbENKUlT_T0_E_clISt17integral_constantIbLb0EESP_IbLb1EEEEDaSL_SM_EUlSL_E0_NS1_11comp_targetILNS1_3genE10ELNS1_11target_archE1200ELNS1_3gpuE4ELNS1_3repE0EEENS1_30default_config_static_selectorELNS0_4arch9wavefront6targetE1EEEvT1_
    .private_segment_fixed_size: 0
    .sgpr_count:     4
    .sgpr_spill_count: 0
    .symbol:         _ZN7rocprim17ROCPRIM_400000_NS6detail17trampoline_kernelINS0_14default_configENS1_20scan_config_selectorIiEEZZNS1_9scan_implILNS1_25lookback_scan_determinismE0ELb0ELb0ES3_PiS8_iN6thrust23THRUST_200600_302600_NS4plusIvEEiEEDaPvRmT3_T4_T5_mT6_P12ihipStream_tbENKUlT_T0_E_clISt17integral_constantIbLb0EESP_IbLb1EEEEDaSL_SM_EUlSL_E0_NS1_11comp_targetILNS1_3genE10ELNS1_11target_archE1200ELNS1_3gpuE4ELNS1_3repE0EEENS1_30default_config_static_selectorELNS0_4arch9wavefront6targetE1EEEvT1_.kd
    .uniform_work_group_size: 1
    .uses_dynamic_stack: false
    .vgpr_count:     0
    .vgpr_spill_count: 0
    .wavefront_size: 64
  - .agpr_count:     0
    .args:
      - .offset:         0
        .size:           32
        .value_kind:     by_value
    .group_segment_fixed_size: 0
    .kernarg_segment_align: 8
    .kernarg_segment_size: 32
    .language:       OpenCL C
    .language_version:
      - 2
      - 0
    .max_flat_workgroup_size: 256
    .name:           _ZN7rocprim17ROCPRIM_400000_NS6detail17trampoline_kernelINS0_14default_configENS1_20scan_config_selectorIiEEZZNS1_9scan_implILNS1_25lookback_scan_determinismE0ELb0ELb0ES3_PiS8_iN6thrust23THRUST_200600_302600_NS4plusIvEEiEEDaPvRmT3_T4_T5_mT6_P12ihipStream_tbENKUlT_T0_E_clISt17integral_constantIbLb0EESP_IbLb1EEEEDaSL_SM_EUlSL_E0_NS1_11comp_targetILNS1_3genE9ELNS1_11target_archE1100ELNS1_3gpuE3ELNS1_3repE0EEENS1_30default_config_static_selectorELNS0_4arch9wavefront6targetE1EEEvT1_
    .private_segment_fixed_size: 0
    .sgpr_count:     4
    .sgpr_spill_count: 0
    .symbol:         _ZN7rocprim17ROCPRIM_400000_NS6detail17trampoline_kernelINS0_14default_configENS1_20scan_config_selectorIiEEZZNS1_9scan_implILNS1_25lookback_scan_determinismE0ELb0ELb0ES3_PiS8_iN6thrust23THRUST_200600_302600_NS4plusIvEEiEEDaPvRmT3_T4_T5_mT6_P12ihipStream_tbENKUlT_T0_E_clISt17integral_constantIbLb0EESP_IbLb1EEEEDaSL_SM_EUlSL_E0_NS1_11comp_targetILNS1_3genE9ELNS1_11target_archE1100ELNS1_3gpuE3ELNS1_3repE0EEENS1_30default_config_static_selectorELNS0_4arch9wavefront6targetE1EEEvT1_.kd
    .uniform_work_group_size: 1
    .uses_dynamic_stack: false
    .vgpr_count:     0
    .vgpr_spill_count: 0
    .wavefront_size: 64
  - .agpr_count:     0
    .args:
      - .offset:         0
        .size:           32
        .value_kind:     by_value
    .group_segment_fixed_size: 0
    .kernarg_segment_align: 8
    .kernarg_segment_size: 32
    .language:       OpenCL C
    .language_version:
      - 2
      - 0
    .max_flat_workgroup_size: 64
    .name:           _ZN7rocprim17ROCPRIM_400000_NS6detail17trampoline_kernelINS0_14default_configENS1_20scan_config_selectorIiEEZZNS1_9scan_implILNS1_25lookback_scan_determinismE0ELb0ELb0ES3_PiS8_iN6thrust23THRUST_200600_302600_NS4plusIvEEiEEDaPvRmT3_T4_T5_mT6_P12ihipStream_tbENKUlT_T0_E_clISt17integral_constantIbLb0EESP_IbLb1EEEEDaSL_SM_EUlSL_E0_NS1_11comp_targetILNS1_3genE8ELNS1_11target_archE1030ELNS1_3gpuE2ELNS1_3repE0EEENS1_30default_config_static_selectorELNS0_4arch9wavefront6targetE1EEEvT1_
    .private_segment_fixed_size: 0
    .sgpr_count:     4
    .sgpr_spill_count: 0
    .symbol:         _ZN7rocprim17ROCPRIM_400000_NS6detail17trampoline_kernelINS0_14default_configENS1_20scan_config_selectorIiEEZZNS1_9scan_implILNS1_25lookback_scan_determinismE0ELb0ELb0ES3_PiS8_iN6thrust23THRUST_200600_302600_NS4plusIvEEiEEDaPvRmT3_T4_T5_mT6_P12ihipStream_tbENKUlT_T0_E_clISt17integral_constantIbLb0EESP_IbLb1EEEEDaSL_SM_EUlSL_E0_NS1_11comp_targetILNS1_3genE8ELNS1_11target_archE1030ELNS1_3gpuE2ELNS1_3repE0EEENS1_30default_config_static_selectorELNS0_4arch9wavefront6targetE1EEEvT1_.kd
    .uniform_work_group_size: 1
    .uses_dynamic_stack: false
    .vgpr_count:     0
    .vgpr_spill_count: 0
    .wavefront_size: 64
  - .agpr_count:     0
    .args:
      - .address_space:  global
        .offset:         0
        .size:           8
        .value_kind:     global_buffer
      - .offset:         8
        .size:           4
        .value_kind:     by_value
      - .offset:         12
        .size:           1
        .value_kind:     by_value
      - .offset:         16
        .size:           4
        .value_kind:     by_value
      - .address_space:  global
        .offset:         24
        .size:           8
        .value_kind:     global_buffer
      - .offset:         32
        .size:           4
        .value_kind:     hidden_block_count_x
      - .offset:         36
        .size:           4
        .value_kind:     hidden_block_count_y
      - .offset:         40
        .size:           4
        .value_kind:     hidden_block_count_z
      - .offset:         44
        .size:           2
        .value_kind:     hidden_group_size_x
      - .offset:         46
        .size:           2
        .value_kind:     hidden_group_size_y
      - .offset:         48
        .size:           2
        .value_kind:     hidden_group_size_z
      - .offset:         50
        .size:           2
        .value_kind:     hidden_remainder_x
      - .offset:         52
        .size:           2
        .value_kind:     hidden_remainder_y
      - .offset:         54
        .size:           2
        .value_kind:     hidden_remainder_z
      - .offset:         72
        .size:           8
        .value_kind:     hidden_global_offset_x
      - .offset:         80
        .size:           8
        .value_kind:     hidden_global_offset_y
      - .offset:         88
        .size:           8
        .value_kind:     hidden_global_offset_z
      - .offset:         96
        .size:           2
        .value_kind:     hidden_grid_dims
    .group_segment_fixed_size: 0
    .kernarg_segment_align: 8
    .kernarg_segment_size: 288
    .language:       OpenCL C
    .language_version:
      - 2
      - 0
    .max_flat_workgroup_size: 256
    .name:           _ZN7rocprim17ROCPRIM_400000_NS6detail31init_lookback_scan_state_kernelINS1_19lookback_scan_stateImLb0ELb1EEENS1_16block_id_wrapperIjLb0EEEEEvT_jT0_jPNS7_10value_typeE
    .private_segment_fixed_size: 0
    .sgpr_count:     17
    .sgpr_spill_count: 0
    .symbol:         _ZN7rocprim17ROCPRIM_400000_NS6detail31init_lookback_scan_state_kernelINS1_19lookback_scan_stateImLb0ELb1EEENS1_16block_id_wrapperIjLb0EEEEEvT_jT0_jPNS7_10value_typeE.kd
    .uniform_work_group_size: 1
    .uses_dynamic_stack: false
    .vgpr_count:     10
    .vgpr_spill_count: 0
    .wavefront_size: 64
  - .agpr_count:     0
    .args:
      - .offset:         0
        .size:           120
        .value_kind:     by_value
    .group_segment_fixed_size: 0
    .kernarg_segment_align: 8
    .kernarg_segment_size: 120
    .language:       OpenCL C
    .language_version:
      - 2
      - 0
    .max_flat_workgroup_size: 512
    .name:           _ZN7rocprim17ROCPRIM_400000_NS6detail17trampoline_kernelINS0_14default_configENS1_25partition_config_selectorILNS1_17partition_subalgoE5EiNS0_10empty_typeEbEEZZNS1_14partition_implILS5_5ELb0ES3_mPiPS6_N6thrust23THRUST_200600_302600_NS18transform_iteratorINSC_6detail9not_fun_tIN6dUtils8isNotOneIiEEEES9_NSC_11use_defaultESK_EENS0_5tupleIJS9_S6_EEENSM_IJSA_SA_EEES6_PlJS6_EEE10hipError_tPvRmT3_T4_T5_T6_T7_T9_mT8_P12ihipStream_tbDpT10_ENKUlT_T0_E_clISt17integral_constantIbLb0EES19_EEDaS14_S15_EUlS14_E_NS1_11comp_targetILNS1_3genE0ELNS1_11target_archE4294967295ELNS1_3gpuE0ELNS1_3repE0EEENS1_30default_config_static_selectorELNS0_4arch9wavefront6targetE1EEEvT1_
    .private_segment_fixed_size: 0
    .sgpr_count:     4
    .sgpr_spill_count: 0
    .symbol:         _ZN7rocprim17ROCPRIM_400000_NS6detail17trampoline_kernelINS0_14default_configENS1_25partition_config_selectorILNS1_17partition_subalgoE5EiNS0_10empty_typeEbEEZZNS1_14partition_implILS5_5ELb0ES3_mPiPS6_N6thrust23THRUST_200600_302600_NS18transform_iteratorINSC_6detail9not_fun_tIN6dUtils8isNotOneIiEEEES9_NSC_11use_defaultESK_EENS0_5tupleIJS9_S6_EEENSM_IJSA_SA_EEES6_PlJS6_EEE10hipError_tPvRmT3_T4_T5_T6_T7_T9_mT8_P12ihipStream_tbDpT10_ENKUlT_T0_E_clISt17integral_constantIbLb0EES19_EEDaS14_S15_EUlS14_E_NS1_11comp_targetILNS1_3genE0ELNS1_11target_archE4294967295ELNS1_3gpuE0ELNS1_3repE0EEENS1_30default_config_static_selectorELNS0_4arch9wavefront6targetE1EEEvT1_.kd
    .uniform_work_group_size: 1
    .uses_dynamic_stack: false
    .vgpr_count:     0
    .vgpr_spill_count: 0
    .wavefront_size: 64
  - .agpr_count:     0
    .args:
      - .offset:         0
        .size:           120
        .value_kind:     by_value
    .group_segment_fixed_size: 0
    .kernarg_segment_align: 8
    .kernarg_segment_size: 120
    .language:       OpenCL C
    .language_version:
      - 2
      - 0
    .max_flat_workgroup_size: 512
    .name:           _ZN7rocprim17ROCPRIM_400000_NS6detail17trampoline_kernelINS0_14default_configENS1_25partition_config_selectorILNS1_17partition_subalgoE5EiNS0_10empty_typeEbEEZZNS1_14partition_implILS5_5ELb0ES3_mPiPS6_N6thrust23THRUST_200600_302600_NS18transform_iteratorINSC_6detail9not_fun_tIN6dUtils8isNotOneIiEEEES9_NSC_11use_defaultESK_EENS0_5tupleIJS9_S6_EEENSM_IJSA_SA_EEES6_PlJS6_EEE10hipError_tPvRmT3_T4_T5_T6_T7_T9_mT8_P12ihipStream_tbDpT10_ENKUlT_T0_E_clISt17integral_constantIbLb0EES19_EEDaS14_S15_EUlS14_E_NS1_11comp_targetILNS1_3genE5ELNS1_11target_archE942ELNS1_3gpuE9ELNS1_3repE0EEENS1_30default_config_static_selectorELNS0_4arch9wavefront6targetE1EEEvT1_
    .private_segment_fixed_size: 0
    .sgpr_count:     4
    .sgpr_spill_count: 0
    .symbol:         _ZN7rocprim17ROCPRIM_400000_NS6detail17trampoline_kernelINS0_14default_configENS1_25partition_config_selectorILNS1_17partition_subalgoE5EiNS0_10empty_typeEbEEZZNS1_14partition_implILS5_5ELb0ES3_mPiPS6_N6thrust23THRUST_200600_302600_NS18transform_iteratorINSC_6detail9not_fun_tIN6dUtils8isNotOneIiEEEES9_NSC_11use_defaultESK_EENS0_5tupleIJS9_S6_EEENSM_IJSA_SA_EEES6_PlJS6_EEE10hipError_tPvRmT3_T4_T5_T6_T7_T9_mT8_P12ihipStream_tbDpT10_ENKUlT_T0_E_clISt17integral_constantIbLb0EES19_EEDaS14_S15_EUlS14_E_NS1_11comp_targetILNS1_3genE5ELNS1_11target_archE942ELNS1_3gpuE9ELNS1_3repE0EEENS1_30default_config_static_selectorELNS0_4arch9wavefront6targetE1EEEvT1_.kd
    .uniform_work_group_size: 1
    .uses_dynamic_stack: false
    .vgpr_count:     0
    .vgpr_spill_count: 0
    .wavefront_size: 64
  - .agpr_count:     0
    .args:
      - .offset:         0
        .size:           120
        .value_kind:     by_value
    .group_segment_fixed_size: 7184
    .kernarg_segment_align: 8
    .kernarg_segment_size: 120
    .language:       OpenCL C
    .language_version:
      - 2
      - 0
    .max_flat_workgroup_size: 256
    .name:           _ZN7rocprim17ROCPRIM_400000_NS6detail17trampoline_kernelINS0_14default_configENS1_25partition_config_selectorILNS1_17partition_subalgoE5EiNS0_10empty_typeEbEEZZNS1_14partition_implILS5_5ELb0ES3_mPiPS6_N6thrust23THRUST_200600_302600_NS18transform_iteratorINSC_6detail9not_fun_tIN6dUtils8isNotOneIiEEEES9_NSC_11use_defaultESK_EENS0_5tupleIJS9_S6_EEENSM_IJSA_SA_EEES6_PlJS6_EEE10hipError_tPvRmT3_T4_T5_T6_T7_T9_mT8_P12ihipStream_tbDpT10_ENKUlT_T0_E_clISt17integral_constantIbLb0EES19_EEDaS14_S15_EUlS14_E_NS1_11comp_targetILNS1_3genE4ELNS1_11target_archE910ELNS1_3gpuE8ELNS1_3repE0EEENS1_30default_config_static_selectorELNS0_4arch9wavefront6targetE1EEEvT1_
    .private_segment_fixed_size: 0
    .sgpr_count:     32
    .sgpr_spill_count: 0
    .symbol:         _ZN7rocprim17ROCPRIM_400000_NS6detail17trampoline_kernelINS0_14default_configENS1_25partition_config_selectorILNS1_17partition_subalgoE5EiNS0_10empty_typeEbEEZZNS1_14partition_implILS5_5ELb0ES3_mPiPS6_N6thrust23THRUST_200600_302600_NS18transform_iteratorINSC_6detail9not_fun_tIN6dUtils8isNotOneIiEEEES9_NSC_11use_defaultESK_EENS0_5tupleIJS9_S6_EEENSM_IJSA_SA_EEES6_PlJS6_EEE10hipError_tPvRmT3_T4_T5_T6_T7_T9_mT8_P12ihipStream_tbDpT10_ENKUlT_T0_E_clISt17integral_constantIbLb0EES19_EEDaS14_S15_EUlS14_E_NS1_11comp_targetILNS1_3genE4ELNS1_11target_archE910ELNS1_3gpuE8ELNS1_3repE0EEENS1_30default_config_static_selectorELNS0_4arch9wavefront6targetE1EEEvT1_.kd
    .uniform_work_group_size: 1
    .uses_dynamic_stack: false
    .vgpr_count:     56
    .vgpr_spill_count: 0
    .wavefront_size: 64
  - .agpr_count:     0
    .args:
      - .offset:         0
        .size:           120
        .value_kind:     by_value
    .group_segment_fixed_size: 0
    .kernarg_segment_align: 8
    .kernarg_segment_size: 120
    .language:       OpenCL C
    .language_version:
      - 2
      - 0
    .max_flat_workgroup_size: 512
    .name:           _ZN7rocprim17ROCPRIM_400000_NS6detail17trampoline_kernelINS0_14default_configENS1_25partition_config_selectorILNS1_17partition_subalgoE5EiNS0_10empty_typeEbEEZZNS1_14partition_implILS5_5ELb0ES3_mPiPS6_N6thrust23THRUST_200600_302600_NS18transform_iteratorINSC_6detail9not_fun_tIN6dUtils8isNotOneIiEEEES9_NSC_11use_defaultESK_EENS0_5tupleIJS9_S6_EEENSM_IJSA_SA_EEES6_PlJS6_EEE10hipError_tPvRmT3_T4_T5_T6_T7_T9_mT8_P12ihipStream_tbDpT10_ENKUlT_T0_E_clISt17integral_constantIbLb0EES19_EEDaS14_S15_EUlS14_E_NS1_11comp_targetILNS1_3genE3ELNS1_11target_archE908ELNS1_3gpuE7ELNS1_3repE0EEENS1_30default_config_static_selectorELNS0_4arch9wavefront6targetE1EEEvT1_
    .private_segment_fixed_size: 0
    .sgpr_count:     4
    .sgpr_spill_count: 0
    .symbol:         _ZN7rocprim17ROCPRIM_400000_NS6detail17trampoline_kernelINS0_14default_configENS1_25partition_config_selectorILNS1_17partition_subalgoE5EiNS0_10empty_typeEbEEZZNS1_14partition_implILS5_5ELb0ES3_mPiPS6_N6thrust23THRUST_200600_302600_NS18transform_iteratorINSC_6detail9not_fun_tIN6dUtils8isNotOneIiEEEES9_NSC_11use_defaultESK_EENS0_5tupleIJS9_S6_EEENSM_IJSA_SA_EEES6_PlJS6_EEE10hipError_tPvRmT3_T4_T5_T6_T7_T9_mT8_P12ihipStream_tbDpT10_ENKUlT_T0_E_clISt17integral_constantIbLb0EES19_EEDaS14_S15_EUlS14_E_NS1_11comp_targetILNS1_3genE3ELNS1_11target_archE908ELNS1_3gpuE7ELNS1_3repE0EEENS1_30default_config_static_selectorELNS0_4arch9wavefront6targetE1EEEvT1_.kd
    .uniform_work_group_size: 1
    .uses_dynamic_stack: false
    .vgpr_count:     0
    .vgpr_spill_count: 0
    .wavefront_size: 64
  - .agpr_count:     0
    .args:
      - .offset:         0
        .size:           120
        .value_kind:     by_value
    .group_segment_fixed_size: 0
    .kernarg_segment_align: 8
    .kernarg_segment_size: 120
    .language:       OpenCL C
    .language_version:
      - 2
      - 0
    .max_flat_workgroup_size: 256
    .name:           _ZN7rocprim17ROCPRIM_400000_NS6detail17trampoline_kernelINS0_14default_configENS1_25partition_config_selectorILNS1_17partition_subalgoE5EiNS0_10empty_typeEbEEZZNS1_14partition_implILS5_5ELb0ES3_mPiPS6_N6thrust23THRUST_200600_302600_NS18transform_iteratorINSC_6detail9not_fun_tIN6dUtils8isNotOneIiEEEES9_NSC_11use_defaultESK_EENS0_5tupleIJS9_S6_EEENSM_IJSA_SA_EEES6_PlJS6_EEE10hipError_tPvRmT3_T4_T5_T6_T7_T9_mT8_P12ihipStream_tbDpT10_ENKUlT_T0_E_clISt17integral_constantIbLb0EES19_EEDaS14_S15_EUlS14_E_NS1_11comp_targetILNS1_3genE2ELNS1_11target_archE906ELNS1_3gpuE6ELNS1_3repE0EEENS1_30default_config_static_selectorELNS0_4arch9wavefront6targetE1EEEvT1_
    .private_segment_fixed_size: 0
    .sgpr_count:     4
    .sgpr_spill_count: 0
    .symbol:         _ZN7rocprim17ROCPRIM_400000_NS6detail17trampoline_kernelINS0_14default_configENS1_25partition_config_selectorILNS1_17partition_subalgoE5EiNS0_10empty_typeEbEEZZNS1_14partition_implILS5_5ELb0ES3_mPiPS6_N6thrust23THRUST_200600_302600_NS18transform_iteratorINSC_6detail9not_fun_tIN6dUtils8isNotOneIiEEEES9_NSC_11use_defaultESK_EENS0_5tupleIJS9_S6_EEENSM_IJSA_SA_EEES6_PlJS6_EEE10hipError_tPvRmT3_T4_T5_T6_T7_T9_mT8_P12ihipStream_tbDpT10_ENKUlT_T0_E_clISt17integral_constantIbLb0EES19_EEDaS14_S15_EUlS14_E_NS1_11comp_targetILNS1_3genE2ELNS1_11target_archE906ELNS1_3gpuE6ELNS1_3repE0EEENS1_30default_config_static_selectorELNS0_4arch9wavefront6targetE1EEEvT1_.kd
    .uniform_work_group_size: 1
    .uses_dynamic_stack: false
    .vgpr_count:     0
    .vgpr_spill_count: 0
    .wavefront_size: 64
  - .agpr_count:     0
    .args:
      - .offset:         0
        .size:           120
        .value_kind:     by_value
    .group_segment_fixed_size: 0
    .kernarg_segment_align: 8
    .kernarg_segment_size: 120
    .language:       OpenCL C
    .language_version:
      - 2
      - 0
    .max_flat_workgroup_size: 192
    .name:           _ZN7rocprim17ROCPRIM_400000_NS6detail17trampoline_kernelINS0_14default_configENS1_25partition_config_selectorILNS1_17partition_subalgoE5EiNS0_10empty_typeEbEEZZNS1_14partition_implILS5_5ELb0ES3_mPiPS6_N6thrust23THRUST_200600_302600_NS18transform_iteratorINSC_6detail9not_fun_tIN6dUtils8isNotOneIiEEEES9_NSC_11use_defaultESK_EENS0_5tupleIJS9_S6_EEENSM_IJSA_SA_EEES6_PlJS6_EEE10hipError_tPvRmT3_T4_T5_T6_T7_T9_mT8_P12ihipStream_tbDpT10_ENKUlT_T0_E_clISt17integral_constantIbLb0EES19_EEDaS14_S15_EUlS14_E_NS1_11comp_targetILNS1_3genE10ELNS1_11target_archE1200ELNS1_3gpuE4ELNS1_3repE0EEENS1_30default_config_static_selectorELNS0_4arch9wavefront6targetE1EEEvT1_
    .private_segment_fixed_size: 0
    .sgpr_count:     4
    .sgpr_spill_count: 0
    .symbol:         _ZN7rocprim17ROCPRIM_400000_NS6detail17trampoline_kernelINS0_14default_configENS1_25partition_config_selectorILNS1_17partition_subalgoE5EiNS0_10empty_typeEbEEZZNS1_14partition_implILS5_5ELb0ES3_mPiPS6_N6thrust23THRUST_200600_302600_NS18transform_iteratorINSC_6detail9not_fun_tIN6dUtils8isNotOneIiEEEES9_NSC_11use_defaultESK_EENS0_5tupleIJS9_S6_EEENSM_IJSA_SA_EEES6_PlJS6_EEE10hipError_tPvRmT3_T4_T5_T6_T7_T9_mT8_P12ihipStream_tbDpT10_ENKUlT_T0_E_clISt17integral_constantIbLb0EES19_EEDaS14_S15_EUlS14_E_NS1_11comp_targetILNS1_3genE10ELNS1_11target_archE1200ELNS1_3gpuE4ELNS1_3repE0EEENS1_30default_config_static_selectorELNS0_4arch9wavefront6targetE1EEEvT1_.kd
    .uniform_work_group_size: 1
    .uses_dynamic_stack: false
    .vgpr_count:     0
    .vgpr_spill_count: 0
    .wavefront_size: 64
  - .agpr_count:     0
    .args:
      - .offset:         0
        .size:           120
        .value_kind:     by_value
    .group_segment_fixed_size: 0
    .kernarg_segment_align: 8
    .kernarg_segment_size: 120
    .language:       OpenCL C
    .language_version:
      - 2
      - 0
    .max_flat_workgroup_size: 128
    .name:           _ZN7rocprim17ROCPRIM_400000_NS6detail17trampoline_kernelINS0_14default_configENS1_25partition_config_selectorILNS1_17partition_subalgoE5EiNS0_10empty_typeEbEEZZNS1_14partition_implILS5_5ELb0ES3_mPiPS6_N6thrust23THRUST_200600_302600_NS18transform_iteratorINSC_6detail9not_fun_tIN6dUtils8isNotOneIiEEEES9_NSC_11use_defaultESK_EENS0_5tupleIJS9_S6_EEENSM_IJSA_SA_EEES6_PlJS6_EEE10hipError_tPvRmT3_T4_T5_T6_T7_T9_mT8_P12ihipStream_tbDpT10_ENKUlT_T0_E_clISt17integral_constantIbLb0EES19_EEDaS14_S15_EUlS14_E_NS1_11comp_targetILNS1_3genE9ELNS1_11target_archE1100ELNS1_3gpuE3ELNS1_3repE0EEENS1_30default_config_static_selectorELNS0_4arch9wavefront6targetE1EEEvT1_
    .private_segment_fixed_size: 0
    .sgpr_count:     4
    .sgpr_spill_count: 0
    .symbol:         _ZN7rocprim17ROCPRIM_400000_NS6detail17trampoline_kernelINS0_14default_configENS1_25partition_config_selectorILNS1_17partition_subalgoE5EiNS0_10empty_typeEbEEZZNS1_14partition_implILS5_5ELb0ES3_mPiPS6_N6thrust23THRUST_200600_302600_NS18transform_iteratorINSC_6detail9not_fun_tIN6dUtils8isNotOneIiEEEES9_NSC_11use_defaultESK_EENS0_5tupleIJS9_S6_EEENSM_IJSA_SA_EEES6_PlJS6_EEE10hipError_tPvRmT3_T4_T5_T6_T7_T9_mT8_P12ihipStream_tbDpT10_ENKUlT_T0_E_clISt17integral_constantIbLb0EES19_EEDaS14_S15_EUlS14_E_NS1_11comp_targetILNS1_3genE9ELNS1_11target_archE1100ELNS1_3gpuE3ELNS1_3repE0EEENS1_30default_config_static_selectorELNS0_4arch9wavefront6targetE1EEEvT1_.kd
    .uniform_work_group_size: 1
    .uses_dynamic_stack: false
    .vgpr_count:     0
    .vgpr_spill_count: 0
    .wavefront_size: 64
  - .agpr_count:     0
    .args:
      - .offset:         0
        .size:           120
        .value_kind:     by_value
    .group_segment_fixed_size: 0
    .kernarg_segment_align: 8
    .kernarg_segment_size: 120
    .language:       OpenCL C
    .language_version:
      - 2
      - 0
    .max_flat_workgroup_size: 512
    .name:           _ZN7rocprim17ROCPRIM_400000_NS6detail17trampoline_kernelINS0_14default_configENS1_25partition_config_selectorILNS1_17partition_subalgoE5EiNS0_10empty_typeEbEEZZNS1_14partition_implILS5_5ELb0ES3_mPiPS6_N6thrust23THRUST_200600_302600_NS18transform_iteratorINSC_6detail9not_fun_tIN6dUtils8isNotOneIiEEEES9_NSC_11use_defaultESK_EENS0_5tupleIJS9_S6_EEENSM_IJSA_SA_EEES6_PlJS6_EEE10hipError_tPvRmT3_T4_T5_T6_T7_T9_mT8_P12ihipStream_tbDpT10_ENKUlT_T0_E_clISt17integral_constantIbLb0EES19_EEDaS14_S15_EUlS14_E_NS1_11comp_targetILNS1_3genE8ELNS1_11target_archE1030ELNS1_3gpuE2ELNS1_3repE0EEENS1_30default_config_static_selectorELNS0_4arch9wavefront6targetE1EEEvT1_
    .private_segment_fixed_size: 0
    .sgpr_count:     4
    .sgpr_spill_count: 0
    .symbol:         _ZN7rocprim17ROCPRIM_400000_NS6detail17trampoline_kernelINS0_14default_configENS1_25partition_config_selectorILNS1_17partition_subalgoE5EiNS0_10empty_typeEbEEZZNS1_14partition_implILS5_5ELb0ES3_mPiPS6_N6thrust23THRUST_200600_302600_NS18transform_iteratorINSC_6detail9not_fun_tIN6dUtils8isNotOneIiEEEES9_NSC_11use_defaultESK_EENS0_5tupleIJS9_S6_EEENSM_IJSA_SA_EEES6_PlJS6_EEE10hipError_tPvRmT3_T4_T5_T6_T7_T9_mT8_P12ihipStream_tbDpT10_ENKUlT_T0_E_clISt17integral_constantIbLb0EES19_EEDaS14_S15_EUlS14_E_NS1_11comp_targetILNS1_3genE8ELNS1_11target_archE1030ELNS1_3gpuE2ELNS1_3repE0EEENS1_30default_config_static_selectorELNS0_4arch9wavefront6targetE1EEEvT1_.kd
    .uniform_work_group_size: 1
    .uses_dynamic_stack: false
    .vgpr_count:     0
    .vgpr_spill_count: 0
    .wavefront_size: 64
  - .agpr_count:     0
    .args:
      - .offset:         0
        .size:           40
        .value_kind:     by_value
    .group_segment_fixed_size: 0
    .kernarg_segment_align: 8
    .kernarg_segment_size: 40
    .language:       OpenCL C
    .language_version:
      - 2
      - 0
    .max_flat_workgroup_size: 128
    .name:           _ZN7rocprim17ROCPRIM_400000_NS6detail17trampoline_kernelINS0_14default_configENS1_25transform_config_selectorImLb1EEEZNS1_14transform_implILb1ES3_S5_PmPlNS0_8identityIvEEEE10hipError_tT2_T3_mT4_P12ihipStream_tbEUlT_E_NS1_11comp_targetILNS1_3genE0ELNS1_11target_archE4294967295ELNS1_3gpuE0ELNS1_3repE0EEENS1_30default_config_static_selectorELNS0_4arch9wavefront6targetE1EEEvT1_
    .private_segment_fixed_size: 0
    .sgpr_count:     4
    .sgpr_spill_count: 0
    .symbol:         _ZN7rocprim17ROCPRIM_400000_NS6detail17trampoline_kernelINS0_14default_configENS1_25transform_config_selectorImLb1EEEZNS1_14transform_implILb1ES3_S5_PmPlNS0_8identityIvEEEE10hipError_tT2_T3_mT4_P12ihipStream_tbEUlT_E_NS1_11comp_targetILNS1_3genE0ELNS1_11target_archE4294967295ELNS1_3gpuE0ELNS1_3repE0EEENS1_30default_config_static_selectorELNS0_4arch9wavefront6targetE1EEEvT1_.kd
    .uniform_work_group_size: 1
    .uses_dynamic_stack: false
    .vgpr_count:     0
    .vgpr_spill_count: 0
    .wavefront_size: 64
  - .agpr_count:     0
    .args:
      - .offset:         0
        .size:           40
        .value_kind:     by_value
    .group_segment_fixed_size: 0
    .kernarg_segment_align: 8
    .kernarg_segment_size: 40
    .language:       OpenCL C
    .language_version:
      - 2
      - 0
    .max_flat_workgroup_size: 1024
    .name:           _ZN7rocprim17ROCPRIM_400000_NS6detail17trampoline_kernelINS0_14default_configENS1_25transform_config_selectorImLb1EEEZNS1_14transform_implILb1ES3_S5_PmPlNS0_8identityIvEEEE10hipError_tT2_T3_mT4_P12ihipStream_tbEUlT_E_NS1_11comp_targetILNS1_3genE10ELNS1_11target_archE1201ELNS1_3gpuE5ELNS1_3repE0EEENS1_30default_config_static_selectorELNS0_4arch9wavefront6targetE1EEEvT1_
    .private_segment_fixed_size: 0
    .sgpr_count:     4
    .sgpr_spill_count: 0
    .symbol:         _ZN7rocprim17ROCPRIM_400000_NS6detail17trampoline_kernelINS0_14default_configENS1_25transform_config_selectorImLb1EEEZNS1_14transform_implILb1ES3_S5_PmPlNS0_8identityIvEEEE10hipError_tT2_T3_mT4_P12ihipStream_tbEUlT_E_NS1_11comp_targetILNS1_3genE10ELNS1_11target_archE1201ELNS1_3gpuE5ELNS1_3repE0EEENS1_30default_config_static_selectorELNS0_4arch9wavefront6targetE1EEEvT1_.kd
    .uniform_work_group_size: 1
    .uses_dynamic_stack: false
    .vgpr_count:     0
    .vgpr_spill_count: 0
    .wavefront_size: 64
  - .agpr_count:     0
    .args:
      - .offset:         0
        .size:           40
        .value_kind:     by_value
    .group_segment_fixed_size: 0
    .kernarg_segment_align: 8
    .kernarg_segment_size: 40
    .language:       OpenCL C
    .language_version:
      - 2
      - 0
    .max_flat_workgroup_size: 512
    .name:           _ZN7rocprim17ROCPRIM_400000_NS6detail17trampoline_kernelINS0_14default_configENS1_25transform_config_selectorImLb1EEEZNS1_14transform_implILb1ES3_S5_PmPlNS0_8identityIvEEEE10hipError_tT2_T3_mT4_P12ihipStream_tbEUlT_E_NS1_11comp_targetILNS1_3genE5ELNS1_11target_archE942ELNS1_3gpuE9ELNS1_3repE0EEENS1_30default_config_static_selectorELNS0_4arch9wavefront6targetE1EEEvT1_
    .private_segment_fixed_size: 0
    .sgpr_count:     4
    .sgpr_spill_count: 0
    .symbol:         _ZN7rocprim17ROCPRIM_400000_NS6detail17trampoline_kernelINS0_14default_configENS1_25transform_config_selectorImLb1EEEZNS1_14transform_implILb1ES3_S5_PmPlNS0_8identityIvEEEE10hipError_tT2_T3_mT4_P12ihipStream_tbEUlT_E_NS1_11comp_targetILNS1_3genE5ELNS1_11target_archE942ELNS1_3gpuE9ELNS1_3repE0EEENS1_30default_config_static_selectorELNS0_4arch9wavefront6targetE1EEEvT1_.kd
    .uniform_work_group_size: 1
    .uses_dynamic_stack: false
    .vgpr_count:     0
    .vgpr_spill_count: 0
    .wavefront_size: 64
  - .agpr_count:     0
    .args:
      - .offset:         0
        .size:           40
        .value_kind:     by_value
      - .offset:         40
        .size:           4
        .value_kind:     hidden_block_count_x
      - .offset:         44
        .size:           4
        .value_kind:     hidden_block_count_y
      - .offset:         48
        .size:           4
        .value_kind:     hidden_block_count_z
      - .offset:         52
        .size:           2
        .value_kind:     hidden_group_size_x
      - .offset:         54
        .size:           2
        .value_kind:     hidden_group_size_y
      - .offset:         56
        .size:           2
        .value_kind:     hidden_group_size_z
      - .offset:         58
        .size:           2
        .value_kind:     hidden_remainder_x
      - .offset:         60
        .size:           2
        .value_kind:     hidden_remainder_y
      - .offset:         62
        .size:           2
        .value_kind:     hidden_remainder_z
      - .offset:         80
        .size:           8
        .value_kind:     hidden_global_offset_x
      - .offset:         88
        .size:           8
        .value_kind:     hidden_global_offset_y
      - .offset:         96
        .size:           8
        .value_kind:     hidden_global_offset_z
      - .offset:         104
        .size:           2
        .value_kind:     hidden_grid_dims
    .group_segment_fixed_size: 0
    .kernarg_segment_align: 8
    .kernarg_segment_size: 296
    .language:       OpenCL C
    .language_version:
      - 2
      - 0
    .max_flat_workgroup_size: 1024
    .name:           _ZN7rocprim17ROCPRIM_400000_NS6detail17trampoline_kernelINS0_14default_configENS1_25transform_config_selectorImLb1EEEZNS1_14transform_implILb1ES3_S5_PmPlNS0_8identityIvEEEE10hipError_tT2_T3_mT4_P12ihipStream_tbEUlT_E_NS1_11comp_targetILNS1_3genE4ELNS1_11target_archE910ELNS1_3gpuE8ELNS1_3repE0EEENS1_30default_config_static_selectorELNS0_4arch9wavefront6targetE1EEEvT1_
    .private_segment_fixed_size: 0
    .sgpr_count:     20
    .sgpr_spill_count: 0
    .symbol:         _ZN7rocprim17ROCPRIM_400000_NS6detail17trampoline_kernelINS0_14default_configENS1_25transform_config_selectorImLb1EEEZNS1_14transform_implILb1ES3_S5_PmPlNS0_8identityIvEEEE10hipError_tT2_T3_mT4_P12ihipStream_tbEUlT_E_NS1_11comp_targetILNS1_3genE4ELNS1_11target_archE910ELNS1_3gpuE8ELNS1_3repE0EEENS1_30default_config_static_selectorELNS0_4arch9wavefront6targetE1EEEvT1_.kd
    .uniform_work_group_size: 1
    .uses_dynamic_stack: false
    .vgpr_count:     7
    .vgpr_spill_count: 0
    .wavefront_size: 64
  - .agpr_count:     0
    .args:
      - .offset:         0
        .size:           40
        .value_kind:     by_value
    .group_segment_fixed_size: 0
    .kernarg_segment_align: 8
    .kernarg_segment_size: 40
    .language:       OpenCL C
    .language_version:
      - 2
      - 0
    .max_flat_workgroup_size: 128
    .name:           _ZN7rocprim17ROCPRIM_400000_NS6detail17trampoline_kernelINS0_14default_configENS1_25transform_config_selectorImLb1EEEZNS1_14transform_implILb1ES3_S5_PmPlNS0_8identityIvEEEE10hipError_tT2_T3_mT4_P12ihipStream_tbEUlT_E_NS1_11comp_targetILNS1_3genE3ELNS1_11target_archE908ELNS1_3gpuE7ELNS1_3repE0EEENS1_30default_config_static_selectorELNS0_4arch9wavefront6targetE1EEEvT1_
    .private_segment_fixed_size: 0
    .sgpr_count:     4
    .sgpr_spill_count: 0
    .symbol:         _ZN7rocprim17ROCPRIM_400000_NS6detail17trampoline_kernelINS0_14default_configENS1_25transform_config_selectorImLb1EEEZNS1_14transform_implILb1ES3_S5_PmPlNS0_8identityIvEEEE10hipError_tT2_T3_mT4_P12ihipStream_tbEUlT_E_NS1_11comp_targetILNS1_3genE3ELNS1_11target_archE908ELNS1_3gpuE7ELNS1_3repE0EEENS1_30default_config_static_selectorELNS0_4arch9wavefront6targetE1EEEvT1_.kd
    .uniform_work_group_size: 1
    .uses_dynamic_stack: false
    .vgpr_count:     0
    .vgpr_spill_count: 0
    .wavefront_size: 64
  - .agpr_count:     0
    .args:
      - .offset:         0
        .size:           40
        .value_kind:     by_value
    .group_segment_fixed_size: 0
    .kernarg_segment_align: 8
    .kernarg_segment_size: 40
    .language:       OpenCL C
    .language_version:
      - 2
      - 0
    .max_flat_workgroup_size: 512
    .name:           _ZN7rocprim17ROCPRIM_400000_NS6detail17trampoline_kernelINS0_14default_configENS1_25transform_config_selectorImLb1EEEZNS1_14transform_implILb1ES3_S5_PmPlNS0_8identityIvEEEE10hipError_tT2_T3_mT4_P12ihipStream_tbEUlT_E_NS1_11comp_targetILNS1_3genE2ELNS1_11target_archE906ELNS1_3gpuE6ELNS1_3repE0EEENS1_30default_config_static_selectorELNS0_4arch9wavefront6targetE1EEEvT1_
    .private_segment_fixed_size: 0
    .sgpr_count:     4
    .sgpr_spill_count: 0
    .symbol:         _ZN7rocprim17ROCPRIM_400000_NS6detail17trampoline_kernelINS0_14default_configENS1_25transform_config_selectorImLb1EEEZNS1_14transform_implILb1ES3_S5_PmPlNS0_8identityIvEEEE10hipError_tT2_T3_mT4_P12ihipStream_tbEUlT_E_NS1_11comp_targetILNS1_3genE2ELNS1_11target_archE906ELNS1_3gpuE6ELNS1_3repE0EEENS1_30default_config_static_selectorELNS0_4arch9wavefront6targetE1EEEvT1_.kd
    .uniform_work_group_size: 1
    .uses_dynamic_stack: false
    .vgpr_count:     0
    .vgpr_spill_count: 0
    .wavefront_size: 64
  - .agpr_count:     0
    .args:
      - .offset:         0
        .size:           40
        .value_kind:     by_value
    .group_segment_fixed_size: 0
    .kernarg_segment_align: 8
    .kernarg_segment_size: 40
    .language:       OpenCL C
    .language_version:
      - 2
      - 0
    .max_flat_workgroup_size: 1024
    .name:           _ZN7rocprim17ROCPRIM_400000_NS6detail17trampoline_kernelINS0_14default_configENS1_25transform_config_selectorImLb1EEEZNS1_14transform_implILb1ES3_S5_PmPlNS0_8identityIvEEEE10hipError_tT2_T3_mT4_P12ihipStream_tbEUlT_E_NS1_11comp_targetILNS1_3genE9ELNS1_11target_archE1100ELNS1_3gpuE3ELNS1_3repE0EEENS1_30default_config_static_selectorELNS0_4arch9wavefront6targetE1EEEvT1_
    .private_segment_fixed_size: 0
    .sgpr_count:     4
    .sgpr_spill_count: 0
    .symbol:         _ZN7rocprim17ROCPRIM_400000_NS6detail17trampoline_kernelINS0_14default_configENS1_25transform_config_selectorImLb1EEEZNS1_14transform_implILb1ES3_S5_PmPlNS0_8identityIvEEEE10hipError_tT2_T3_mT4_P12ihipStream_tbEUlT_E_NS1_11comp_targetILNS1_3genE9ELNS1_11target_archE1100ELNS1_3gpuE3ELNS1_3repE0EEENS1_30default_config_static_selectorELNS0_4arch9wavefront6targetE1EEEvT1_.kd
    .uniform_work_group_size: 1
    .uses_dynamic_stack: false
    .vgpr_count:     0
    .vgpr_spill_count: 0
    .wavefront_size: 64
  - .agpr_count:     0
    .args:
      - .offset:         0
        .size:           40
        .value_kind:     by_value
    .group_segment_fixed_size: 0
    .kernarg_segment_align: 8
    .kernarg_segment_size: 40
    .language:       OpenCL C
    .language_version:
      - 2
      - 0
    .max_flat_workgroup_size: 1024
    .name:           _ZN7rocprim17ROCPRIM_400000_NS6detail17trampoline_kernelINS0_14default_configENS1_25transform_config_selectorImLb1EEEZNS1_14transform_implILb1ES3_S5_PmPlNS0_8identityIvEEEE10hipError_tT2_T3_mT4_P12ihipStream_tbEUlT_E_NS1_11comp_targetILNS1_3genE8ELNS1_11target_archE1030ELNS1_3gpuE2ELNS1_3repE0EEENS1_30default_config_static_selectorELNS0_4arch9wavefront6targetE1EEEvT1_
    .private_segment_fixed_size: 0
    .sgpr_count:     4
    .sgpr_spill_count: 0
    .symbol:         _ZN7rocprim17ROCPRIM_400000_NS6detail17trampoline_kernelINS0_14default_configENS1_25transform_config_selectorImLb1EEEZNS1_14transform_implILb1ES3_S5_PmPlNS0_8identityIvEEEE10hipError_tT2_T3_mT4_P12ihipStream_tbEUlT_E_NS1_11comp_targetILNS1_3genE8ELNS1_11target_archE1030ELNS1_3gpuE2ELNS1_3repE0EEENS1_30default_config_static_selectorELNS0_4arch9wavefront6targetE1EEEvT1_.kd
    .uniform_work_group_size: 1
    .uses_dynamic_stack: false
    .vgpr_count:     0
    .vgpr_spill_count: 0
    .wavefront_size: 64
  - .agpr_count:     0
    .args:
      - .address_space:  global
        .offset:         0
        .size:           8
        .value_kind:     global_buffer
      - .offset:         8
        .size:           4
        .value_kind:     by_value
      - .address_space:  global
        .offset:         16
        .size:           8
        .value_kind:     global_buffer
      - .offset:         24
        .size:           4
        .value_kind:     by_value
      - .address_space:  global
        .offset:         32
        .size:           8
        .value_kind:     global_buffer
      - .offset:         40
        .size:           4
        .value_kind:     hidden_block_count_x
      - .offset:         44
        .size:           4
        .value_kind:     hidden_block_count_y
      - .offset:         48
        .size:           4
        .value_kind:     hidden_block_count_z
      - .offset:         52
        .size:           2
        .value_kind:     hidden_group_size_x
      - .offset:         54
        .size:           2
        .value_kind:     hidden_group_size_y
      - .offset:         56
        .size:           2
        .value_kind:     hidden_group_size_z
      - .offset:         58
        .size:           2
        .value_kind:     hidden_remainder_x
      - .offset:         60
        .size:           2
        .value_kind:     hidden_remainder_y
      - .offset:         62
        .size:           2
        .value_kind:     hidden_remainder_z
      - .offset:         80
        .size:           8
        .value_kind:     hidden_global_offset_x
      - .offset:         88
        .size:           8
        .value_kind:     hidden_global_offset_y
      - .offset:         96
        .size:           8
        .value_kind:     hidden_global_offset_z
      - .offset:         104
        .size:           2
        .value_kind:     hidden_grid_dims
    .group_segment_fixed_size: 0
    .kernarg_segment_align: 8
    .kernarg_segment_size: 296
    .language:       OpenCL C
    .language_version:
      - 2
      - 0
    .max_flat_workgroup_size: 256
    .name:           _ZN7rocprim17ROCPRIM_400000_NS6detail31init_lookback_scan_state_kernelINS1_19lookback_scan_stateImLb1ELb1EEENS1_16block_id_wrapperIjLb1EEEEEvT_jT0_jPNS7_10value_typeE
    .private_segment_fixed_size: 0
    .sgpr_count:     20
    .sgpr_spill_count: 0
    .symbol:         _ZN7rocprim17ROCPRIM_400000_NS6detail31init_lookback_scan_state_kernelINS1_19lookback_scan_stateImLb1ELb1EEENS1_16block_id_wrapperIjLb1EEEEEvT_jT0_jPNS7_10value_typeE.kd
    .uniform_work_group_size: 1
    .uses_dynamic_stack: false
    .vgpr_count:     10
    .vgpr_spill_count: 0
    .wavefront_size: 64
  - .agpr_count:     0
    .args:
      - .offset:         0
        .size:           136
        .value_kind:     by_value
    .group_segment_fixed_size: 0
    .kernarg_segment_align: 8
    .kernarg_segment_size: 136
    .language:       OpenCL C
    .language_version:
      - 2
      - 0
    .max_flat_workgroup_size: 512
    .name:           _ZN7rocprim17ROCPRIM_400000_NS6detail17trampoline_kernelINS0_14default_configENS1_25partition_config_selectorILNS1_17partition_subalgoE5EiNS0_10empty_typeEbEEZZNS1_14partition_implILS5_5ELb0ES3_mPiPS6_N6thrust23THRUST_200600_302600_NS18transform_iteratorINSC_6detail9not_fun_tIN6dUtils8isNotOneIiEEEES9_NSC_11use_defaultESK_EENS0_5tupleIJS9_S6_EEENSM_IJSA_SA_EEES6_PlJS6_EEE10hipError_tPvRmT3_T4_T5_T6_T7_T9_mT8_P12ihipStream_tbDpT10_ENKUlT_T0_E_clISt17integral_constantIbLb1EES19_EEDaS14_S15_EUlS14_E_NS1_11comp_targetILNS1_3genE0ELNS1_11target_archE4294967295ELNS1_3gpuE0ELNS1_3repE0EEENS1_30default_config_static_selectorELNS0_4arch9wavefront6targetE1EEEvT1_
    .private_segment_fixed_size: 0
    .sgpr_count:     4
    .sgpr_spill_count: 0
    .symbol:         _ZN7rocprim17ROCPRIM_400000_NS6detail17trampoline_kernelINS0_14default_configENS1_25partition_config_selectorILNS1_17partition_subalgoE5EiNS0_10empty_typeEbEEZZNS1_14partition_implILS5_5ELb0ES3_mPiPS6_N6thrust23THRUST_200600_302600_NS18transform_iteratorINSC_6detail9not_fun_tIN6dUtils8isNotOneIiEEEES9_NSC_11use_defaultESK_EENS0_5tupleIJS9_S6_EEENSM_IJSA_SA_EEES6_PlJS6_EEE10hipError_tPvRmT3_T4_T5_T6_T7_T9_mT8_P12ihipStream_tbDpT10_ENKUlT_T0_E_clISt17integral_constantIbLb1EES19_EEDaS14_S15_EUlS14_E_NS1_11comp_targetILNS1_3genE0ELNS1_11target_archE4294967295ELNS1_3gpuE0ELNS1_3repE0EEENS1_30default_config_static_selectorELNS0_4arch9wavefront6targetE1EEEvT1_.kd
    .uniform_work_group_size: 1
    .uses_dynamic_stack: false
    .vgpr_count:     0
    .vgpr_spill_count: 0
    .wavefront_size: 64
  - .agpr_count:     0
    .args:
      - .offset:         0
        .size:           136
        .value_kind:     by_value
    .group_segment_fixed_size: 0
    .kernarg_segment_align: 8
    .kernarg_segment_size: 136
    .language:       OpenCL C
    .language_version:
      - 2
      - 0
    .max_flat_workgroup_size: 512
    .name:           _ZN7rocprim17ROCPRIM_400000_NS6detail17trampoline_kernelINS0_14default_configENS1_25partition_config_selectorILNS1_17partition_subalgoE5EiNS0_10empty_typeEbEEZZNS1_14partition_implILS5_5ELb0ES3_mPiPS6_N6thrust23THRUST_200600_302600_NS18transform_iteratorINSC_6detail9not_fun_tIN6dUtils8isNotOneIiEEEES9_NSC_11use_defaultESK_EENS0_5tupleIJS9_S6_EEENSM_IJSA_SA_EEES6_PlJS6_EEE10hipError_tPvRmT3_T4_T5_T6_T7_T9_mT8_P12ihipStream_tbDpT10_ENKUlT_T0_E_clISt17integral_constantIbLb1EES19_EEDaS14_S15_EUlS14_E_NS1_11comp_targetILNS1_3genE5ELNS1_11target_archE942ELNS1_3gpuE9ELNS1_3repE0EEENS1_30default_config_static_selectorELNS0_4arch9wavefront6targetE1EEEvT1_
    .private_segment_fixed_size: 0
    .sgpr_count:     4
    .sgpr_spill_count: 0
    .symbol:         _ZN7rocprim17ROCPRIM_400000_NS6detail17trampoline_kernelINS0_14default_configENS1_25partition_config_selectorILNS1_17partition_subalgoE5EiNS0_10empty_typeEbEEZZNS1_14partition_implILS5_5ELb0ES3_mPiPS6_N6thrust23THRUST_200600_302600_NS18transform_iteratorINSC_6detail9not_fun_tIN6dUtils8isNotOneIiEEEES9_NSC_11use_defaultESK_EENS0_5tupleIJS9_S6_EEENSM_IJSA_SA_EEES6_PlJS6_EEE10hipError_tPvRmT3_T4_T5_T6_T7_T9_mT8_P12ihipStream_tbDpT10_ENKUlT_T0_E_clISt17integral_constantIbLb1EES19_EEDaS14_S15_EUlS14_E_NS1_11comp_targetILNS1_3genE5ELNS1_11target_archE942ELNS1_3gpuE9ELNS1_3repE0EEENS1_30default_config_static_selectorELNS0_4arch9wavefront6targetE1EEEvT1_.kd
    .uniform_work_group_size: 1
    .uses_dynamic_stack: false
    .vgpr_count:     0
    .vgpr_spill_count: 0
    .wavefront_size: 64
  - .agpr_count:     0
    .args:
      - .offset:         0
        .size:           136
        .value_kind:     by_value
    .group_segment_fixed_size: 7184
    .kernarg_segment_align: 8
    .kernarg_segment_size: 136
    .language:       OpenCL C
    .language_version:
      - 2
      - 0
    .max_flat_workgroup_size: 256
    .name:           _ZN7rocprim17ROCPRIM_400000_NS6detail17trampoline_kernelINS0_14default_configENS1_25partition_config_selectorILNS1_17partition_subalgoE5EiNS0_10empty_typeEbEEZZNS1_14partition_implILS5_5ELb0ES3_mPiPS6_N6thrust23THRUST_200600_302600_NS18transform_iteratorINSC_6detail9not_fun_tIN6dUtils8isNotOneIiEEEES9_NSC_11use_defaultESK_EENS0_5tupleIJS9_S6_EEENSM_IJSA_SA_EEES6_PlJS6_EEE10hipError_tPvRmT3_T4_T5_T6_T7_T9_mT8_P12ihipStream_tbDpT10_ENKUlT_T0_E_clISt17integral_constantIbLb1EES19_EEDaS14_S15_EUlS14_E_NS1_11comp_targetILNS1_3genE4ELNS1_11target_archE910ELNS1_3gpuE8ELNS1_3repE0EEENS1_30default_config_static_selectorELNS0_4arch9wavefront6targetE1EEEvT1_
    .private_segment_fixed_size: 0
    .sgpr_count:     32
    .sgpr_spill_count: 0
    .symbol:         _ZN7rocprim17ROCPRIM_400000_NS6detail17trampoline_kernelINS0_14default_configENS1_25partition_config_selectorILNS1_17partition_subalgoE5EiNS0_10empty_typeEbEEZZNS1_14partition_implILS5_5ELb0ES3_mPiPS6_N6thrust23THRUST_200600_302600_NS18transform_iteratorINSC_6detail9not_fun_tIN6dUtils8isNotOneIiEEEES9_NSC_11use_defaultESK_EENS0_5tupleIJS9_S6_EEENSM_IJSA_SA_EEES6_PlJS6_EEE10hipError_tPvRmT3_T4_T5_T6_T7_T9_mT8_P12ihipStream_tbDpT10_ENKUlT_T0_E_clISt17integral_constantIbLb1EES19_EEDaS14_S15_EUlS14_E_NS1_11comp_targetILNS1_3genE4ELNS1_11target_archE910ELNS1_3gpuE8ELNS1_3repE0EEENS1_30default_config_static_selectorELNS0_4arch9wavefront6targetE1EEEvT1_.kd
    .uniform_work_group_size: 1
    .uses_dynamic_stack: false
    .vgpr_count:     58
    .vgpr_spill_count: 0
    .wavefront_size: 64
  - .agpr_count:     0
    .args:
      - .offset:         0
        .size:           136
        .value_kind:     by_value
    .group_segment_fixed_size: 0
    .kernarg_segment_align: 8
    .kernarg_segment_size: 136
    .language:       OpenCL C
    .language_version:
      - 2
      - 0
    .max_flat_workgroup_size: 512
    .name:           _ZN7rocprim17ROCPRIM_400000_NS6detail17trampoline_kernelINS0_14default_configENS1_25partition_config_selectorILNS1_17partition_subalgoE5EiNS0_10empty_typeEbEEZZNS1_14partition_implILS5_5ELb0ES3_mPiPS6_N6thrust23THRUST_200600_302600_NS18transform_iteratorINSC_6detail9not_fun_tIN6dUtils8isNotOneIiEEEES9_NSC_11use_defaultESK_EENS0_5tupleIJS9_S6_EEENSM_IJSA_SA_EEES6_PlJS6_EEE10hipError_tPvRmT3_T4_T5_T6_T7_T9_mT8_P12ihipStream_tbDpT10_ENKUlT_T0_E_clISt17integral_constantIbLb1EES19_EEDaS14_S15_EUlS14_E_NS1_11comp_targetILNS1_3genE3ELNS1_11target_archE908ELNS1_3gpuE7ELNS1_3repE0EEENS1_30default_config_static_selectorELNS0_4arch9wavefront6targetE1EEEvT1_
    .private_segment_fixed_size: 0
    .sgpr_count:     4
    .sgpr_spill_count: 0
    .symbol:         _ZN7rocprim17ROCPRIM_400000_NS6detail17trampoline_kernelINS0_14default_configENS1_25partition_config_selectorILNS1_17partition_subalgoE5EiNS0_10empty_typeEbEEZZNS1_14partition_implILS5_5ELb0ES3_mPiPS6_N6thrust23THRUST_200600_302600_NS18transform_iteratorINSC_6detail9not_fun_tIN6dUtils8isNotOneIiEEEES9_NSC_11use_defaultESK_EENS0_5tupleIJS9_S6_EEENSM_IJSA_SA_EEES6_PlJS6_EEE10hipError_tPvRmT3_T4_T5_T6_T7_T9_mT8_P12ihipStream_tbDpT10_ENKUlT_T0_E_clISt17integral_constantIbLb1EES19_EEDaS14_S15_EUlS14_E_NS1_11comp_targetILNS1_3genE3ELNS1_11target_archE908ELNS1_3gpuE7ELNS1_3repE0EEENS1_30default_config_static_selectorELNS0_4arch9wavefront6targetE1EEEvT1_.kd
    .uniform_work_group_size: 1
    .uses_dynamic_stack: false
    .vgpr_count:     0
    .vgpr_spill_count: 0
    .wavefront_size: 64
  - .agpr_count:     0
    .args:
      - .offset:         0
        .size:           136
        .value_kind:     by_value
    .group_segment_fixed_size: 0
    .kernarg_segment_align: 8
    .kernarg_segment_size: 136
    .language:       OpenCL C
    .language_version:
      - 2
      - 0
    .max_flat_workgroup_size: 256
    .name:           _ZN7rocprim17ROCPRIM_400000_NS6detail17trampoline_kernelINS0_14default_configENS1_25partition_config_selectorILNS1_17partition_subalgoE5EiNS0_10empty_typeEbEEZZNS1_14partition_implILS5_5ELb0ES3_mPiPS6_N6thrust23THRUST_200600_302600_NS18transform_iteratorINSC_6detail9not_fun_tIN6dUtils8isNotOneIiEEEES9_NSC_11use_defaultESK_EENS0_5tupleIJS9_S6_EEENSM_IJSA_SA_EEES6_PlJS6_EEE10hipError_tPvRmT3_T4_T5_T6_T7_T9_mT8_P12ihipStream_tbDpT10_ENKUlT_T0_E_clISt17integral_constantIbLb1EES19_EEDaS14_S15_EUlS14_E_NS1_11comp_targetILNS1_3genE2ELNS1_11target_archE906ELNS1_3gpuE6ELNS1_3repE0EEENS1_30default_config_static_selectorELNS0_4arch9wavefront6targetE1EEEvT1_
    .private_segment_fixed_size: 0
    .sgpr_count:     4
    .sgpr_spill_count: 0
    .symbol:         _ZN7rocprim17ROCPRIM_400000_NS6detail17trampoline_kernelINS0_14default_configENS1_25partition_config_selectorILNS1_17partition_subalgoE5EiNS0_10empty_typeEbEEZZNS1_14partition_implILS5_5ELb0ES3_mPiPS6_N6thrust23THRUST_200600_302600_NS18transform_iteratorINSC_6detail9not_fun_tIN6dUtils8isNotOneIiEEEES9_NSC_11use_defaultESK_EENS0_5tupleIJS9_S6_EEENSM_IJSA_SA_EEES6_PlJS6_EEE10hipError_tPvRmT3_T4_T5_T6_T7_T9_mT8_P12ihipStream_tbDpT10_ENKUlT_T0_E_clISt17integral_constantIbLb1EES19_EEDaS14_S15_EUlS14_E_NS1_11comp_targetILNS1_3genE2ELNS1_11target_archE906ELNS1_3gpuE6ELNS1_3repE0EEENS1_30default_config_static_selectorELNS0_4arch9wavefront6targetE1EEEvT1_.kd
    .uniform_work_group_size: 1
    .uses_dynamic_stack: false
    .vgpr_count:     0
    .vgpr_spill_count: 0
    .wavefront_size: 64
  - .agpr_count:     0
    .args:
      - .offset:         0
        .size:           136
        .value_kind:     by_value
    .group_segment_fixed_size: 0
    .kernarg_segment_align: 8
    .kernarg_segment_size: 136
    .language:       OpenCL C
    .language_version:
      - 2
      - 0
    .max_flat_workgroup_size: 192
    .name:           _ZN7rocprim17ROCPRIM_400000_NS6detail17trampoline_kernelINS0_14default_configENS1_25partition_config_selectorILNS1_17partition_subalgoE5EiNS0_10empty_typeEbEEZZNS1_14partition_implILS5_5ELb0ES3_mPiPS6_N6thrust23THRUST_200600_302600_NS18transform_iteratorINSC_6detail9not_fun_tIN6dUtils8isNotOneIiEEEES9_NSC_11use_defaultESK_EENS0_5tupleIJS9_S6_EEENSM_IJSA_SA_EEES6_PlJS6_EEE10hipError_tPvRmT3_T4_T5_T6_T7_T9_mT8_P12ihipStream_tbDpT10_ENKUlT_T0_E_clISt17integral_constantIbLb1EES19_EEDaS14_S15_EUlS14_E_NS1_11comp_targetILNS1_3genE10ELNS1_11target_archE1200ELNS1_3gpuE4ELNS1_3repE0EEENS1_30default_config_static_selectorELNS0_4arch9wavefront6targetE1EEEvT1_
    .private_segment_fixed_size: 0
    .sgpr_count:     4
    .sgpr_spill_count: 0
    .symbol:         _ZN7rocprim17ROCPRIM_400000_NS6detail17trampoline_kernelINS0_14default_configENS1_25partition_config_selectorILNS1_17partition_subalgoE5EiNS0_10empty_typeEbEEZZNS1_14partition_implILS5_5ELb0ES3_mPiPS6_N6thrust23THRUST_200600_302600_NS18transform_iteratorINSC_6detail9not_fun_tIN6dUtils8isNotOneIiEEEES9_NSC_11use_defaultESK_EENS0_5tupleIJS9_S6_EEENSM_IJSA_SA_EEES6_PlJS6_EEE10hipError_tPvRmT3_T4_T5_T6_T7_T9_mT8_P12ihipStream_tbDpT10_ENKUlT_T0_E_clISt17integral_constantIbLb1EES19_EEDaS14_S15_EUlS14_E_NS1_11comp_targetILNS1_3genE10ELNS1_11target_archE1200ELNS1_3gpuE4ELNS1_3repE0EEENS1_30default_config_static_selectorELNS0_4arch9wavefront6targetE1EEEvT1_.kd
    .uniform_work_group_size: 1
    .uses_dynamic_stack: false
    .vgpr_count:     0
    .vgpr_spill_count: 0
    .wavefront_size: 64
  - .agpr_count:     0
    .args:
      - .offset:         0
        .size:           136
        .value_kind:     by_value
    .group_segment_fixed_size: 0
    .kernarg_segment_align: 8
    .kernarg_segment_size: 136
    .language:       OpenCL C
    .language_version:
      - 2
      - 0
    .max_flat_workgroup_size: 128
    .name:           _ZN7rocprim17ROCPRIM_400000_NS6detail17trampoline_kernelINS0_14default_configENS1_25partition_config_selectorILNS1_17partition_subalgoE5EiNS0_10empty_typeEbEEZZNS1_14partition_implILS5_5ELb0ES3_mPiPS6_N6thrust23THRUST_200600_302600_NS18transform_iteratorINSC_6detail9not_fun_tIN6dUtils8isNotOneIiEEEES9_NSC_11use_defaultESK_EENS0_5tupleIJS9_S6_EEENSM_IJSA_SA_EEES6_PlJS6_EEE10hipError_tPvRmT3_T4_T5_T6_T7_T9_mT8_P12ihipStream_tbDpT10_ENKUlT_T0_E_clISt17integral_constantIbLb1EES19_EEDaS14_S15_EUlS14_E_NS1_11comp_targetILNS1_3genE9ELNS1_11target_archE1100ELNS1_3gpuE3ELNS1_3repE0EEENS1_30default_config_static_selectorELNS0_4arch9wavefront6targetE1EEEvT1_
    .private_segment_fixed_size: 0
    .sgpr_count:     4
    .sgpr_spill_count: 0
    .symbol:         _ZN7rocprim17ROCPRIM_400000_NS6detail17trampoline_kernelINS0_14default_configENS1_25partition_config_selectorILNS1_17partition_subalgoE5EiNS0_10empty_typeEbEEZZNS1_14partition_implILS5_5ELb0ES3_mPiPS6_N6thrust23THRUST_200600_302600_NS18transform_iteratorINSC_6detail9not_fun_tIN6dUtils8isNotOneIiEEEES9_NSC_11use_defaultESK_EENS0_5tupleIJS9_S6_EEENSM_IJSA_SA_EEES6_PlJS6_EEE10hipError_tPvRmT3_T4_T5_T6_T7_T9_mT8_P12ihipStream_tbDpT10_ENKUlT_T0_E_clISt17integral_constantIbLb1EES19_EEDaS14_S15_EUlS14_E_NS1_11comp_targetILNS1_3genE9ELNS1_11target_archE1100ELNS1_3gpuE3ELNS1_3repE0EEENS1_30default_config_static_selectorELNS0_4arch9wavefront6targetE1EEEvT1_.kd
    .uniform_work_group_size: 1
    .uses_dynamic_stack: false
    .vgpr_count:     0
    .vgpr_spill_count: 0
    .wavefront_size: 64
  - .agpr_count:     0
    .args:
      - .offset:         0
        .size:           136
        .value_kind:     by_value
    .group_segment_fixed_size: 0
    .kernarg_segment_align: 8
    .kernarg_segment_size: 136
    .language:       OpenCL C
    .language_version:
      - 2
      - 0
    .max_flat_workgroup_size: 512
    .name:           _ZN7rocprim17ROCPRIM_400000_NS6detail17trampoline_kernelINS0_14default_configENS1_25partition_config_selectorILNS1_17partition_subalgoE5EiNS0_10empty_typeEbEEZZNS1_14partition_implILS5_5ELb0ES3_mPiPS6_N6thrust23THRUST_200600_302600_NS18transform_iteratorINSC_6detail9not_fun_tIN6dUtils8isNotOneIiEEEES9_NSC_11use_defaultESK_EENS0_5tupleIJS9_S6_EEENSM_IJSA_SA_EEES6_PlJS6_EEE10hipError_tPvRmT3_T4_T5_T6_T7_T9_mT8_P12ihipStream_tbDpT10_ENKUlT_T0_E_clISt17integral_constantIbLb1EES19_EEDaS14_S15_EUlS14_E_NS1_11comp_targetILNS1_3genE8ELNS1_11target_archE1030ELNS1_3gpuE2ELNS1_3repE0EEENS1_30default_config_static_selectorELNS0_4arch9wavefront6targetE1EEEvT1_
    .private_segment_fixed_size: 0
    .sgpr_count:     4
    .sgpr_spill_count: 0
    .symbol:         _ZN7rocprim17ROCPRIM_400000_NS6detail17trampoline_kernelINS0_14default_configENS1_25partition_config_selectorILNS1_17partition_subalgoE5EiNS0_10empty_typeEbEEZZNS1_14partition_implILS5_5ELb0ES3_mPiPS6_N6thrust23THRUST_200600_302600_NS18transform_iteratorINSC_6detail9not_fun_tIN6dUtils8isNotOneIiEEEES9_NSC_11use_defaultESK_EENS0_5tupleIJS9_S6_EEENSM_IJSA_SA_EEES6_PlJS6_EEE10hipError_tPvRmT3_T4_T5_T6_T7_T9_mT8_P12ihipStream_tbDpT10_ENKUlT_T0_E_clISt17integral_constantIbLb1EES19_EEDaS14_S15_EUlS14_E_NS1_11comp_targetILNS1_3genE8ELNS1_11target_archE1030ELNS1_3gpuE2ELNS1_3repE0EEENS1_30default_config_static_selectorELNS0_4arch9wavefront6targetE1EEEvT1_.kd
    .uniform_work_group_size: 1
    .uses_dynamic_stack: false
    .vgpr_count:     0
    .vgpr_spill_count: 0
    .wavefront_size: 64
  - .agpr_count:     0
    .args:
      - .address_space:  global
        .offset:         0
        .size:           8
        .value_kind:     global_buffer
      - .offset:         8
        .size:           4
        .value_kind:     by_value
      - .offset:         12
        .size:           1
        .value_kind:     by_value
      - .offset:         16
        .size:           4
        .value_kind:     by_value
      - .address_space:  global
        .offset:         24
        .size:           8
        .value_kind:     global_buffer
      - .offset:         32
        .size:           4
        .value_kind:     hidden_block_count_x
      - .offset:         36
        .size:           4
        .value_kind:     hidden_block_count_y
      - .offset:         40
        .size:           4
        .value_kind:     hidden_block_count_z
      - .offset:         44
        .size:           2
        .value_kind:     hidden_group_size_x
      - .offset:         46
        .size:           2
        .value_kind:     hidden_group_size_y
      - .offset:         48
        .size:           2
        .value_kind:     hidden_group_size_z
      - .offset:         50
        .size:           2
        .value_kind:     hidden_remainder_x
      - .offset:         52
        .size:           2
        .value_kind:     hidden_remainder_y
      - .offset:         54
        .size:           2
        .value_kind:     hidden_remainder_z
      - .offset:         72
        .size:           8
        .value_kind:     hidden_global_offset_x
      - .offset:         80
        .size:           8
        .value_kind:     hidden_global_offset_y
      - .offset:         88
        .size:           8
        .value_kind:     hidden_global_offset_z
      - .offset:         96
        .size:           2
        .value_kind:     hidden_grid_dims
    .group_segment_fixed_size: 0
    .kernarg_segment_align: 8
    .kernarg_segment_size: 288
    .language:       OpenCL C
    .language_version:
      - 2
      - 0
    .max_flat_workgroup_size: 256
    .name:           _ZN7rocprim17ROCPRIM_400000_NS6detail31init_lookback_scan_state_kernelINS1_19lookback_scan_stateImLb1ELb1EEENS1_16block_id_wrapperIjLb0EEEEEvT_jT0_jPNS7_10value_typeE
    .private_segment_fixed_size: 0
    .sgpr_count:     18
    .sgpr_spill_count: 0
    .symbol:         _ZN7rocprim17ROCPRIM_400000_NS6detail31init_lookback_scan_state_kernelINS1_19lookback_scan_stateImLb1ELb1EEENS1_16block_id_wrapperIjLb0EEEEEvT_jT0_jPNS7_10value_typeE.kd
    .uniform_work_group_size: 1
    .uses_dynamic_stack: false
    .vgpr_count:     10
    .vgpr_spill_count: 0
    .wavefront_size: 64
  - .agpr_count:     0
    .args:
      - .offset:         0
        .size:           120
        .value_kind:     by_value
    .group_segment_fixed_size: 0
    .kernarg_segment_align: 8
    .kernarg_segment_size: 120
    .language:       OpenCL C
    .language_version:
      - 2
      - 0
    .max_flat_workgroup_size: 512
    .name:           _ZN7rocprim17ROCPRIM_400000_NS6detail17trampoline_kernelINS0_14default_configENS1_25partition_config_selectorILNS1_17partition_subalgoE5EiNS0_10empty_typeEbEEZZNS1_14partition_implILS5_5ELb0ES3_mPiPS6_N6thrust23THRUST_200600_302600_NS18transform_iteratorINSC_6detail9not_fun_tIN6dUtils8isNotOneIiEEEES9_NSC_11use_defaultESK_EENS0_5tupleIJS9_S6_EEENSM_IJSA_SA_EEES6_PlJS6_EEE10hipError_tPvRmT3_T4_T5_T6_T7_T9_mT8_P12ihipStream_tbDpT10_ENKUlT_T0_E_clISt17integral_constantIbLb1EES18_IbLb0EEEEDaS14_S15_EUlS14_E_NS1_11comp_targetILNS1_3genE0ELNS1_11target_archE4294967295ELNS1_3gpuE0ELNS1_3repE0EEENS1_30default_config_static_selectorELNS0_4arch9wavefront6targetE1EEEvT1_
    .private_segment_fixed_size: 0
    .sgpr_count:     4
    .sgpr_spill_count: 0
    .symbol:         _ZN7rocprim17ROCPRIM_400000_NS6detail17trampoline_kernelINS0_14default_configENS1_25partition_config_selectorILNS1_17partition_subalgoE5EiNS0_10empty_typeEbEEZZNS1_14partition_implILS5_5ELb0ES3_mPiPS6_N6thrust23THRUST_200600_302600_NS18transform_iteratorINSC_6detail9not_fun_tIN6dUtils8isNotOneIiEEEES9_NSC_11use_defaultESK_EENS0_5tupleIJS9_S6_EEENSM_IJSA_SA_EEES6_PlJS6_EEE10hipError_tPvRmT3_T4_T5_T6_T7_T9_mT8_P12ihipStream_tbDpT10_ENKUlT_T0_E_clISt17integral_constantIbLb1EES18_IbLb0EEEEDaS14_S15_EUlS14_E_NS1_11comp_targetILNS1_3genE0ELNS1_11target_archE4294967295ELNS1_3gpuE0ELNS1_3repE0EEENS1_30default_config_static_selectorELNS0_4arch9wavefront6targetE1EEEvT1_.kd
    .uniform_work_group_size: 1
    .uses_dynamic_stack: false
    .vgpr_count:     0
    .vgpr_spill_count: 0
    .wavefront_size: 64
  - .agpr_count:     0
    .args:
      - .offset:         0
        .size:           120
        .value_kind:     by_value
    .group_segment_fixed_size: 0
    .kernarg_segment_align: 8
    .kernarg_segment_size: 120
    .language:       OpenCL C
    .language_version:
      - 2
      - 0
    .max_flat_workgroup_size: 512
    .name:           _ZN7rocprim17ROCPRIM_400000_NS6detail17trampoline_kernelINS0_14default_configENS1_25partition_config_selectorILNS1_17partition_subalgoE5EiNS0_10empty_typeEbEEZZNS1_14partition_implILS5_5ELb0ES3_mPiPS6_N6thrust23THRUST_200600_302600_NS18transform_iteratorINSC_6detail9not_fun_tIN6dUtils8isNotOneIiEEEES9_NSC_11use_defaultESK_EENS0_5tupleIJS9_S6_EEENSM_IJSA_SA_EEES6_PlJS6_EEE10hipError_tPvRmT3_T4_T5_T6_T7_T9_mT8_P12ihipStream_tbDpT10_ENKUlT_T0_E_clISt17integral_constantIbLb1EES18_IbLb0EEEEDaS14_S15_EUlS14_E_NS1_11comp_targetILNS1_3genE5ELNS1_11target_archE942ELNS1_3gpuE9ELNS1_3repE0EEENS1_30default_config_static_selectorELNS0_4arch9wavefront6targetE1EEEvT1_
    .private_segment_fixed_size: 0
    .sgpr_count:     4
    .sgpr_spill_count: 0
    .symbol:         _ZN7rocprim17ROCPRIM_400000_NS6detail17trampoline_kernelINS0_14default_configENS1_25partition_config_selectorILNS1_17partition_subalgoE5EiNS0_10empty_typeEbEEZZNS1_14partition_implILS5_5ELb0ES3_mPiPS6_N6thrust23THRUST_200600_302600_NS18transform_iteratorINSC_6detail9not_fun_tIN6dUtils8isNotOneIiEEEES9_NSC_11use_defaultESK_EENS0_5tupleIJS9_S6_EEENSM_IJSA_SA_EEES6_PlJS6_EEE10hipError_tPvRmT3_T4_T5_T6_T7_T9_mT8_P12ihipStream_tbDpT10_ENKUlT_T0_E_clISt17integral_constantIbLb1EES18_IbLb0EEEEDaS14_S15_EUlS14_E_NS1_11comp_targetILNS1_3genE5ELNS1_11target_archE942ELNS1_3gpuE9ELNS1_3repE0EEENS1_30default_config_static_selectorELNS0_4arch9wavefront6targetE1EEEvT1_.kd
    .uniform_work_group_size: 1
    .uses_dynamic_stack: false
    .vgpr_count:     0
    .vgpr_spill_count: 0
    .wavefront_size: 64
  - .agpr_count:     0
    .args:
      - .offset:         0
        .size:           120
        .value_kind:     by_value
    .group_segment_fixed_size: 7184
    .kernarg_segment_align: 8
    .kernarg_segment_size: 120
    .language:       OpenCL C
    .language_version:
      - 2
      - 0
    .max_flat_workgroup_size: 256
    .name:           _ZN7rocprim17ROCPRIM_400000_NS6detail17trampoline_kernelINS0_14default_configENS1_25partition_config_selectorILNS1_17partition_subalgoE5EiNS0_10empty_typeEbEEZZNS1_14partition_implILS5_5ELb0ES3_mPiPS6_N6thrust23THRUST_200600_302600_NS18transform_iteratorINSC_6detail9not_fun_tIN6dUtils8isNotOneIiEEEES9_NSC_11use_defaultESK_EENS0_5tupleIJS9_S6_EEENSM_IJSA_SA_EEES6_PlJS6_EEE10hipError_tPvRmT3_T4_T5_T6_T7_T9_mT8_P12ihipStream_tbDpT10_ENKUlT_T0_E_clISt17integral_constantIbLb1EES18_IbLb0EEEEDaS14_S15_EUlS14_E_NS1_11comp_targetILNS1_3genE4ELNS1_11target_archE910ELNS1_3gpuE8ELNS1_3repE0EEENS1_30default_config_static_selectorELNS0_4arch9wavefront6targetE1EEEvT1_
    .private_segment_fixed_size: 0
    .sgpr_count:     32
    .sgpr_spill_count: 0
    .symbol:         _ZN7rocprim17ROCPRIM_400000_NS6detail17trampoline_kernelINS0_14default_configENS1_25partition_config_selectorILNS1_17partition_subalgoE5EiNS0_10empty_typeEbEEZZNS1_14partition_implILS5_5ELb0ES3_mPiPS6_N6thrust23THRUST_200600_302600_NS18transform_iteratorINSC_6detail9not_fun_tIN6dUtils8isNotOneIiEEEES9_NSC_11use_defaultESK_EENS0_5tupleIJS9_S6_EEENSM_IJSA_SA_EEES6_PlJS6_EEE10hipError_tPvRmT3_T4_T5_T6_T7_T9_mT8_P12ihipStream_tbDpT10_ENKUlT_T0_E_clISt17integral_constantIbLb1EES18_IbLb0EEEEDaS14_S15_EUlS14_E_NS1_11comp_targetILNS1_3genE4ELNS1_11target_archE910ELNS1_3gpuE8ELNS1_3repE0EEENS1_30default_config_static_selectorELNS0_4arch9wavefront6targetE1EEEvT1_.kd
    .uniform_work_group_size: 1
    .uses_dynamic_stack: false
    .vgpr_count:     56
    .vgpr_spill_count: 0
    .wavefront_size: 64
  - .agpr_count:     0
    .args:
      - .offset:         0
        .size:           120
        .value_kind:     by_value
    .group_segment_fixed_size: 0
    .kernarg_segment_align: 8
    .kernarg_segment_size: 120
    .language:       OpenCL C
    .language_version:
      - 2
      - 0
    .max_flat_workgroup_size: 512
    .name:           _ZN7rocprim17ROCPRIM_400000_NS6detail17trampoline_kernelINS0_14default_configENS1_25partition_config_selectorILNS1_17partition_subalgoE5EiNS0_10empty_typeEbEEZZNS1_14partition_implILS5_5ELb0ES3_mPiPS6_N6thrust23THRUST_200600_302600_NS18transform_iteratorINSC_6detail9not_fun_tIN6dUtils8isNotOneIiEEEES9_NSC_11use_defaultESK_EENS0_5tupleIJS9_S6_EEENSM_IJSA_SA_EEES6_PlJS6_EEE10hipError_tPvRmT3_T4_T5_T6_T7_T9_mT8_P12ihipStream_tbDpT10_ENKUlT_T0_E_clISt17integral_constantIbLb1EES18_IbLb0EEEEDaS14_S15_EUlS14_E_NS1_11comp_targetILNS1_3genE3ELNS1_11target_archE908ELNS1_3gpuE7ELNS1_3repE0EEENS1_30default_config_static_selectorELNS0_4arch9wavefront6targetE1EEEvT1_
    .private_segment_fixed_size: 0
    .sgpr_count:     4
    .sgpr_spill_count: 0
    .symbol:         _ZN7rocprim17ROCPRIM_400000_NS6detail17trampoline_kernelINS0_14default_configENS1_25partition_config_selectorILNS1_17partition_subalgoE5EiNS0_10empty_typeEbEEZZNS1_14partition_implILS5_5ELb0ES3_mPiPS6_N6thrust23THRUST_200600_302600_NS18transform_iteratorINSC_6detail9not_fun_tIN6dUtils8isNotOneIiEEEES9_NSC_11use_defaultESK_EENS0_5tupleIJS9_S6_EEENSM_IJSA_SA_EEES6_PlJS6_EEE10hipError_tPvRmT3_T4_T5_T6_T7_T9_mT8_P12ihipStream_tbDpT10_ENKUlT_T0_E_clISt17integral_constantIbLb1EES18_IbLb0EEEEDaS14_S15_EUlS14_E_NS1_11comp_targetILNS1_3genE3ELNS1_11target_archE908ELNS1_3gpuE7ELNS1_3repE0EEENS1_30default_config_static_selectorELNS0_4arch9wavefront6targetE1EEEvT1_.kd
    .uniform_work_group_size: 1
    .uses_dynamic_stack: false
    .vgpr_count:     0
    .vgpr_spill_count: 0
    .wavefront_size: 64
  - .agpr_count:     0
    .args:
      - .offset:         0
        .size:           120
        .value_kind:     by_value
    .group_segment_fixed_size: 0
    .kernarg_segment_align: 8
    .kernarg_segment_size: 120
    .language:       OpenCL C
    .language_version:
      - 2
      - 0
    .max_flat_workgroup_size: 256
    .name:           _ZN7rocprim17ROCPRIM_400000_NS6detail17trampoline_kernelINS0_14default_configENS1_25partition_config_selectorILNS1_17partition_subalgoE5EiNS0_10empty_typeEbEEZZNS1_14partition_implILS5_5ELb0ES3_mPiPS6_N6thrust23THRUST_200600_302600_NS18transform_iteratorINSC_6detail9not_fun_tIN6dUtils8isNotOneIiEEEES9_NSC_11use_defaultESK_EENS0_5tupleIJS9_S6_EEENSM_IJSA_SA_EEES6_PlJS6_EEE10hipError_tPvRmT3_T4_T5_T6_T7_T9_mT8_P12ihipStream_tbDpT10_ENKUlT_T0_E_clISt17integral_constantIbLb1EES18_IbLb0EEEEDaS14_S15_EUlS14_E_NS1_11comp_targetILNS1_3genE2ELNS1_11target_archE906ELNS1_3gpuE6ELNS1_3repE0EEENS1_30default_config_static_selectorELNS0_4arch9wavefront6targetE1EEEvT1_
    .private_segment_fixed_size: 0
    .sgpr_count:     4
    .sgpr_spill_count: 0
    .symbol:         _ZN7rocprim17ROCPRIM_400000_NS6detail17trampoline_kernelINS0_14default_configENS1_25partition_config_selectorILNS1_17partition_subalgoE5EiNS0_10empty_typeEbEEZZNS1_14partition_implILS5_5ELb0ES3_mPiPS6_N6thrust23THRUST_200600_302600_NS18transform_iteratorINSC_6detail9not_fun_tIN6dUtils8isNotOneIiEEEES9_NSC_11use_defaultESK_EENS0_5tupleIJS9_S6_EEENSM_IJSA_SA_EEES6_PlJS6_EEE10hipError_tPvRmT3_T4_T5_T6_T7_T9_mT8_P12ihipStream_tbDpT10_ENKUlT_T0_E_clISt17integral_constantIbLb1EES18_IbLb0EEEEDaS14_S15_EUlS14_E_NS1_11comp_targetILNS1_3genE2ELNS1_11target_archE906ELNS1_3gpuE6ELNS1_3repE0EEENS1_30default_config_static_selectorELNS0_4arch9wavefront6targetE1EEEvT1_.kd
    .uniform_work_group_size: 1
    .uses_dynamic_stack: false
    .vgpr_count:     0
    .vgpr_spill_count: 0
    .wavefront_size: 64
  - .agpr_count:     0
    .args:
      - .offset:         0
        .size:           120
        .value_kind:     by_value
    .group_segment_fixed_size: 0
    .kernarg_segment_align: 8
    .kernarg_segment_size: 120
    .language:       OpenCL C
    .language_version:
      - 2
      - 0
    .max_flat_workgroup_size: 192
    .name:           _ZN7rocprim17ROCPRIM_400000_NS6detail17trampoline_kernelINS0_14default_configENS1_25partition_config_selectorILNS1_17partition_subalgoE5EiNS0_10empty_typeEbEEZZNS1_14partition_implILS5_5ELb0ES3_mPiPS6_N6thrust23THRUST_200600_302600_NS18transform_iteratorINSC_6detail9not_fun_tIN6dUtils8isNotOneIiEEEES9_NSC_11use_defaultESK_EENS0_5tupleIJS9_S6_EEENSM_IJSA_SA_EEES6_PlJS6_EEE10hipError_tPvRmT3_T4_T5_T6_T7_T9_mT8_P12ihipStream_tbDpT10_ENKUlT_T0_E_clISt17integral_constantIbLb1EES18_IbLb0EEEEDaS14_S15_EUlS14_E_NS1_11comp_targetILNS1_3genE10ELNS1_11target_archE1200ELNS1_3gpuE4ELNS1_3repE0EEENS1_30default_config_static_selectorELNS0_4arch9wavefront6targetE1EEEvT1_
    .private_segment_fixed_size: 0
    .sgpr_count:     4
    .sgpr_spill_count: 0
    .symbol:         _ZN7rocprim17ROCPRIM_400000_NS6detail17trampoline_kernelINS0_14default_configENS1_25partition_config_selectorILNS1_17partition_subalgoE5EiNS0_10empty_typeEbEEZZNS1_14partition_implILS5_5ELb0ES3_mPiPS6_N6thrust23THRUST_200600_302600_NS18transform_iteratorINSC_6detail9not_fun_tIN6dUtils8isNotOneIiEEEES9_NSC_11use_defaultESK_EENS0_5tupleIJS9_S6_EEENSM_IJSA_SA_EEES6_PlJS6_EEE10hipError_tPvRmT3_T4_T5_T6_T7_T9_mT8_P12ihipStream_tbDpT10_ENKUlT_T0_E_clISt17integral_constantIbLb1EES18_IbLb0EEEEDaS14_S15_EUlS14_E_NS1_11comp_targetILNS1_3genE10ELNS1_11target_archE1200ELNS1_3gpuE4ELNS1_3repE0EEENS1_30default_config_static_selectorELNS0_4arch9wavefront6targetE1EEEvT1_.kd
    .uniform_work_group_size: 1
    .uses_dynamic_stack: false
    .vgpr_count:     0
    .vgpr_spill_count: 0
    .wavefront_size: 64
  - .agpr_count:     0
    .args:
      - .offset:         0
        .size:           120
        .value_kind:     by_value
    .group_segment_fixed_size: 0
    .kernarg_segment_align: 8
    .kernarg_segment_size: 120
    .language:       OpenCL C
    .language_version:
      - 2
      - 0
    .max_flat_workgroup_size: 128
    .name:           _ZN7rocprim17ROCPRIM_400000_NS6detail17trampoline_kernelINS0_14default_configENS1_25partition_config_selectorILNS1_17partition_subalgoE5EiNS0_10empty_typeEbEEZZNS1_14partition_implILS5_5ELb0ES3_mPiPS6_N6thrust23THRUST_200600_302600_NS18transform_iteratorINSC_6detail9not_fun_tIN6dUtils8isNotOneIiEEEES9_NSC_11use_defaultESK_EENS0_5tupleIJS9_S6_EEENSM_IJSA_SA_EEES6_PlJS6_EEE10hipError_tPvRmT3_T4_T5_T6_T7_T9_mT8_P12ihipStream_tbDpT10_ENKUlT_T0_E_clISt17integral_constantIbLb1EES18_IbLb0EEEEDaS14_S15_EUlS14_E_NS1_11comp_targetILNS1_3genE9ELNS1_11target_archE1100ELNS1_3gpuE3ELNS1_3repE0EEENS1_30default_config_static_selectorELNS0_4arch9wavefront6targetE1EEEvT1_
    .private_segment_fixed_size: 0
    .sgpr_count:     4
    .sgpr_spill_count: 0
    .symbol:         _ZN7rocprim17ROCPRIM_400000_NS6detail17trampoline_kernelINS0_14default_configENS1_25partition_config_selectorILNS1_17partition_subalgoE5EiNS0_10empty_typeEbEEZZNS1_14partition_implILS5_5ELb0ES3_mPiPS6_N6thrust23THRUST_200600_302600_NS18transform_iteratorINSC_6detail9not_fun_tIN6dUtils8isNotOneIiEEEES9_NSC_11use_defaultESK_EENS0_5tupleIJS9_S6_EEENSM_IJSA_SA_EEES6_PlJS6_EEE10hipError_tPvRmT3_T4_T5_T6_T7_T9_mT8_P12ihipStream_tbDpT10_ENKUlT_T0_E_clISt17integral_constantIbLb1EES18_IbLb0EEEEDaS14_S15_EUlS14_E_NS1_11comp_targetILNS1_3genE9ELNS1_11target_archE1100ELNS1_3gpuE3ELNS1_3repE0EEENS1_30default_config_static_selectorELNS0_4arch9wavefront6targetE1EEEvT1_.kd
    .uniform_work_group_size: 1
    .uses_dynamic_stack: false
    .vgpr_count:     0
    .vgpr_spill_count: 0
    .wavefront_size: 64
  - .agpr_count:     0
    .args:
      - .offset:         0
        .size:           120
        .value_kind:     by_value
    .group_segment_fixed_size: 0
    .kernarg_segment_align: 8
    .kernarg_segment_size: 120
    .language:       OpenCL C
    .language_version:
      - 2
      - 0
    .max_flat_workgroup_size: 512
    .name:           _ZN7rocprim17ROCPRIM_400000_NS6detail17trampoline_kernelINS0_14default_configENS1_25partition_config_selectorILNS1_17partition_subalgoE5EiNS0_10empty_typeEbEEZZNS1_14partition_implILS5_5ELb0ES3_mPiPS6_N6thrust23THRUST_200600_302600_NS18transform_iteratorINSC_6detail9not_fun_tIN6dUtils8isNotOneIiEEEES9_NSC_11use_defaultESK_EENS0_5tupleIJS9_S6_EEENSM_IJSA_SA_EEES6_PlJS6_EEE10hipError_tPvRmT3_T4_T5_T6_T7_T9_mT8_P12ihipStream_tbDpT10_ENKUlT_T0_E_clISt17integral_constantIbLb1EES18_IbLb0EEEEDaS14_S15_EUlS14_E_NS1_11comp_targetILNS1_3genE8ELNS1_11target_archE1030ELNS1_3gpuE2ELNS1_3repE0EEENS1_30default_config_static_selectorELNS0_4arch9wavefront6targetE1EEEvT1_
    .private_segment_fixed_size: 0
    .sgpr_count:     4
    .sgpr_spill_count: 0
    .symbol:         _ZN7rocprim17ROCPRIM_400000_NS6detail17trampoline_kernelINS0_14default_configENS1_25partition_config_selectorILNS1_17partition_subalgoE5EiNS0_10empty_typeEbEEZZNS1_14partition_implILS5_5ELb0ES3_mPiPS6_N6thrust23THRUST_200600_302600_NS18transform_iteratorINSC_6detail9not_fun_tIN6dUtils8isNotOneIiEEEES9_NSC_11use_defaultESK_EENS0_5tupleIJS9_S6_EEENSM_IJSA_SA_EEES6_PlJS6_EEE10hipError_tPvRmT3_T4_T5_T6_T7_T9_mT8_P12ihipStream_tbDpT10_ENKUlT_T0_E_clISt17integral_constantIbLb1EES18_IbLb0EEEEDaS14_S15_EUlS14_E_NS1_11comp_targetILNS1_3genE8ELNS1_11target_archE1030ELNS1_3gpuE2ELNS1_3repE0EEENS1_30default_config_static_selectorELNS0_4arch9wavefront6targetE1EEEvT1_.kd
    .uniform_work_group_size: 1
    .uses_dynamic_stack: false
    .vgpr_count:     0
    .vgpr_spill_count: 0
    .wavefront_size: 64
  - .agpr_count:     0
    .args:
      - .address_space:  global
        .offset:         0
        .size:           8
        .value_kind:     global_buffer
      - .offset:         8
        .size:           4
        .value_kind:     by_value
      - .address_space:  global
        .offset:         16
        .size:           8
        .value_kind:     global_buffer
      - .offset:         24
        .size:           4
        .value_kind:     by_value
      - .address_space:  global
        .offset:         32
        .size:           8
        .value_kind:     global_buffer
      - .offset:         40
        .size:           4
        .value_kind:     hidden_block_count_x
      - .offset:         44
        .size:           4
        .value_kind:     hidden_block_count_y
      - .offset:         48
        .size:           4
        .value_kind:     hidden_block_count_z
      - .offset:         52
        .size:           2
        .value_kind:     hidden_group_size_x
      - .offset:         54
        .size:           2
        .value_kind:     hidden_group_size_y
      - .offset:         56
        .size:           2
        .value_kind:     hidden_group_size_z
      - .offset:         58
        .size:           2
        .value_kind:     hidden_remainder_x
      - .offset:         60
        .size:           2
        .value_kind:     hidden_remainder_y
      - .offset:         62
        .size:           2
        .value_kind:     hidden_remainder_z
      - .offset:         80
        .size:           8
        .value_kind:     hidden_global_offset_x
      - .offset:         88
        .size:           8
        .value_kind:     hidden_global_offset_y
      - .offset:         96
        .size:           8
        .value_kind:     hidden_global_offset_z
      - .offset:         104
        .size:           2
        .value_kind:     hidden_grid_dims
    .group_segment_fixed_size: 0
    .kernarg_segment_align: 8
    .kernarg_segment_size: 296
    .language:       OpenCL C
    .language_version:
      - 2
      - 0
    .max_flat_workgroup_size: 256
    .name:           _ZN7rocprim17ROCPRIM_400000_NS6detail31init_lookback_scan_state_kernelINS1_19lookback_scan_stateImLb0ELb1EEENS1_16block_id_wrapperIjLb1EEEEEvT_jT0_jPNS7_10value_typeE
    .private_segment_fixed_size: 0
    .sgpr_count:     19
    .sgpr_spill_count: 0
    .symbol:         _ZN7rocprim17ROCPRIM_400000_NS6detail31init_lookback_scan_state_kernelINS1_19lookback_scan_stateImLb0ELb1EEENS1_16block_id_wrapperIjLb1EEEEEvT_jT0_jPNS7_10value_typeE.kd
    .uniform_work_group_size: 1
    .uses_dynamic_stack: false
    .vgpr_count:     10
    .vgpr_spill_count: 0
    .wavefront_size: 64
  - .agpr_count:     0
    .args:
      - .offset:         0
        .size:           136
        .value_kind:     by_value
    .group_segment_fixed_size: 0
    .kernarg_segment_align: 8
    .kernarg_segment_size: 136
    .language:       OpenCL C
    .language_version:
      - 2
      - 0
    .max_flat_workgroup_size: 512
    .name:           _ZN7rocprim17ROCPRIM_400000_NS6detail17trampoline_kernelINS0_14default_configENS1_25partition_config_selectorILNS1_17partition_subalgoE5EiNS0_10empty_typeEbEEZZNS1_14partition_implILS5_5ELb0ES3_mPiPS6_N6thrust23THRUST_200600_302600_NS18transform_iteratorINSC_6detail9not_fun_tIN6dUtils8isNotOneIiEEEES9_NSC_11use_defaultESK_EENS0_5tupleIJS9_S6_EEENSM_IJSA_SA_EEES6_PlJS6_EEE10hipError_tPvRmT3_T4_T5_T6_T7_T9_mT8_P12ihipStream_tbDpT10_ENKUlT_T0_E_clISt17integral_constantIbLb0EES18_IbLb1EEEEDaS14_S15_EUlS14_E_NS1_11comp_targetILNS1_3genE0ELNS1_11target_archE4294967295ELNS1_3gpuE0ELNS1_3repE0EEENS1_30default_config_static_selectorELNS0_4arch9wavefront6targetE1EEEvT1_
    .private_segment_fixed_size: 0
    .sgpr_count:     4
    .sgpr_spill_count: 0
    .symbol:         _ZN7rocprim17ROCPRIM_400000_NS6detail17trampoline_kernelINS0_14default_configENS1_25partition_config_selectorILNS1_17partition_subalgoE5EiNS0_10empty_typeEbEEZZNS1_14partition_implILS5_5ELb0ES3_mPiPS6_N6thrust23THRUST_200600_302600_NS18transform_iteratorINSC_6detail9not_fun_tIN6dUtils8isNotOneIiEEEES9_NSC_11use_defaultESK_EENS0_5tupleIJS9_S6_EEENSM_IJSA_SA_EEES6_PlJS6_EEE10hipError_tPvRmT3_T4_T5_T6_T7_T9_mT8_P12ihipStream_tbDpT10_ENKUlT_T0_E_clISt17integral_constantIbLb0EES18_IbLb1EEEEDaS14_S15_EUlS14_E_NS1_11comp_targetILNS1_3genE0ELNS1_11target_archE4294967295ELNS1_3gpuE0ELNS1_3repE0EEENS1_30default_config_static_selectorELNS0_4arch9wavefront6targetE1EEEvT1_.kd
    .uniform_work_group_size: 1
    .uses_dynamic_stack: false
    .vgpr_count:     0
    .vgpr_spill_count: 0
    .wavefront_size: 64
  - .agpr_count:     0
    .args:
      - .offset:         0
        .size:           136
        .value_kind:     by_value
    .group_segment_fixed_size: 0
    .kernarg_segment_align: 8
    .kernarg_segment_size: 136
    .language:       OpenCL C
    .language_version:
      - 2
      - 0
    .max_flat_workgroup_size: 512
    .name:           _ZN7rocprim17ROCPRIM_400000_NS6detail17trampoline_kernelINS0_14default_configENS1_25partition_config_selectorILNS1_17partition_subalgoE5EiNS0_10empty_typeEbEEZZNS1_14partition_implILS5_5ELb0ES3_mPiPS6_N6thrust23THRUST_200600_302600_NS18transform_iteratorINSC_6detail9not_fun_tIN6dUtils8isNotOneIiEEEES9_NSC_11use_defaultESK_EENS0_5tupleIJS9_S6_EEENSM_IJSA_SA_EEES6_PlJS6_EEE10hipError_tPvRmT3_T4_T5_T6_T7_T9_mT8_P12ihipStream_tbDpT10_ENKUlT_T0_E_clISt17integral_constantIbLb0EES18_IbLb1EEEEDaS14_S15_EUlS14_E_NS1_11comp_targetILNS1_3genE5ELNS1_11target_archE942ELNS1_3gpuE9ELNS1_3repE0EEENS1_30default_config_static_selectorELNS0_4arch9wavefront6targetE1EEEvT1_
    .private_segment_fixed_size: 0
    .sgpr_count:     4
    .sgpr_spill_count: 0
    .symbol:         _ZN7rocprim17ROCPRIM_400000_NS6detail17trampoline_kernelINS0_14default_configENS1_25partition_config_selectorILNS1_17partition_subalgoE5EiNS0_10empty_typeEbEEZZNS1_14partition_implILS5_5ELb0ES3_mPiPS6_N6thrust23THRUST_200600_302600_NS18transform_iteratorINSC_6detail9not_fun_tIN6dUtils8isNotOneIiEEEES9_NSC_11use_defaultESK_EENS0_5tupleIJS9_S6_EEENSM_IJSA_SA_EEES6_PlJS6_EEE10hipError_tPvRmT3_T4_T5_T6_T7_T9_mT8_P12ihipStream_tbDpT10_ENKUlT_T0_E_clISt17integral_constantIbLb0EES18_IbLb1EEEEDaS14_S15_EUlS14_E_NS1_11comp_targetILNS1_3genE5ELNS1_11target_archE942ELNS1_3gpuE9ELNS1_3repE0EEENS1_30default_config_static_selectorELNS0_4arch9wavefront6targetE1EEEvT1_.kd
    .uniform_work_group_size: 1
    .uses_dynamic_stack: false
    .vgpr_count:     0
    .vgpr_spill_count: 0
    .wavefront_size: 64
  - .agpr_count:     0
    .args:
      - .offset:         0
        .size:           136
        .value_kind:     by_value
    .group_segment_fixed_size: 7184
    .kernarg_segment_align: 8
    .kernarg_segment_size: 136
    .language:       OpenCL C
    .language_version:
      - 2
      - 0
    .max_flat_workgroup_size: 256
    .name:           _ZN7rocprim17ROCPRIM_400000_NS6detail17trampoline_kernelINS0_14default_configENS1_25partition_config_selectorILNS1_17partition_subalgoE5EiNS0_10empty_typeEbEEZZNS1_14partition_implILS5_5ELb0ES3_mPiPS6_N6thrust23THRUST_200600_302600_NS18transform_iteratorINSC_6detail9not_fun_tIN6dUtils8isNotOneIiEEEES9_NSC_11use_defaultESK_EENS0_5tupleIJS9_S6_EEENSM_IJSA_SA_EEES6_PlJS6_EEE10hipError_tPvRmT3_T4_T5_T6_T7_T9_mT8_P12ihipStream_tbDpT10_ENKUlT_T0_E_clISt17integral_constantIbLb0EES18_IbLb1EEEEDaS14_S15_EUlS14_E_NS1_11comp_targetILNS1_3genE4ELNS1_11target_archE910ELNS1_3gpuE8ELNS1_3repE0EEENS1_30default_config_static_selectorELNS0_4arch9wavefront6targetE1EEEvT1_
    .private_segment_fixed_size: 0
    .sgpr_count:     32
    .sgpr_spill_count: 0
    .symbol:         _ZN7rocprim17ROCPRIM_400000_NS6detail17trampoline_kernelINS0_14default_configENS1_25partition_config_selectorILNS1_17partition_subalgoE5EiNS0_10empty_typeEbEEZZNS1_14partition_implILS5_5ELb0ES3_mPiPS6_N6thrust23THRUST_200600_302600_NS18transform_iteratorINSC_6detail9not_fun_tIN6dUtils8isNotOneIiEEEES9_NSC_11use_defaultESK_EENS0_5tupleIJS9_S6_EEENSM_IJSA_SA_EEES6_PlJS6_EEE10hipError_tPvRmT3_T4_T5_T6_T7_T9_mT8_P12ihipStream_tbDpT10_ENKUlT_T0_E_clISt17integral_constantIbLb0EES18_IbLb1EEEEDaS14_S15_EUlS14_E_NS1_11comp_targetILNS1_3genE4ELNS1_11target_archE910ELNS1_3gpuE8ELNS1_3repE0EEENS1_30default_config_static_selectorELNS0_4arch9wavefront6targetE1EEEvT1_.kd
    .uniform_work_group_size: 1
    .uses_dynamic_stack: false
    .vgpr_count:     58
    .vgpr_spill_count: 0
    .wavefront_size: 64
  - .agpr_count:     0
    .args:
      - .offset:         0
        .size:           136
        .value_kind:     by_value
    .group_segment_fixed_size: 0
    .kernarg_segment_align: 8
    .kernarg_segment_size: 136
    .language:       OpenCL C
    .language_version:
      - 2
      - 0
    .max_flat_workgroup_size: 512
    .name:           _ZN7rocprim17ROCPRIM_400000_NS6detail17trampoline_kernelINS0_14default_configENS1_25partition_config_selectorILNS1_17partition_subalgoE5EiNS0_10empty_typeEbEEZZNS1_14partition_implILS5_5ELb0ES3_mPiPS6_N6thrust23THRUST_200600_302600_NS18transform_iteratorINSC_6detail9not_fun_tIN6dUtils8isNotOneIiEEEES9_NSC_11use_defaultESK_EENS0_5tupleIJS9_S6_EEENSM_IJSA_SA_EEES6_PlJS6_EEE10hipError_tPvRmT3_T4_T5_T6_T7_T9_mT8_P12ihipStream_tbDpT10_ENKUlT_T0_E_clISt17integral_constantIbLb0EES18_IbLb1EEEEDaS14_S15_EUlS14_E_NS1_11comp_targetILNS1_3genE3ELNS1_11target_archE908ELNS1_3gpuE7ELNS1_3repE0EEENS1_30default_config_static_selectorELNS0_4arch9wavefront6targetE1EEEvT1_
    .private_segment_fixed_size: 0
    .sgpr_count:     4
    .sgpr_spill_count: 0
    .symbol:         _ZN7rocprim17ROCPRIM_400000_NS6detail17trampoline_kernelINS0_14default_configENS1_25partition_config_selectorILNS1_17partition_subalgoE5EiNS0_10empty_typeEbEEZZNS1_14partition_implILS5_5ELb0ES3_mPiPS6_N6thrust23THRUST_200600_302600_NS18transform_iteratorINSC_6detail9not_fun_tIN6dUtils8isNotOneIiEEEES9_NSC_11use_defaultESK_EENS0_5tupleIJS9_S6_EEENSM_IJSA_SA_EEES6_PlJS6_EEE10hipError_tPvRmT3_T4_T5_T6_T7_T9_mT8_P12ihipStream_tbDpT10_ENKUlT_T0_E_clISt17integral_constantIbLb0EES18_IbLb1EEEEDaS14_S15_EUlS14_E_NS1_11comp_targetILNS1_3genE3ELNS1_11target_archE908ELNS1_3gpuE7ELNS1_3repE0EEENS1_30default_config_static_selectorELNS0_4arch9wavefront6targetE1EEEvT1_.kd
    .uniform_work_group_size: 1
    .uses_dynamic_stack: false
    .vgpr_count:     0
    .vgpr_spill_count: 0
    .wavefront_size: 64
  - .agpr_count:     0
    .args:
      - .offset:         0
        .size:           136
        .value_kind:     by_value
    .group_segment_fixed_size: 0
    .kernarg_segment_align: 8
    .kernarg_segment_size: 136
    .language:       OpenCL C
    .language_version:
      - 2
      - 0
    .max_flat_workgroup_size: 256
    .name:           _ZN7rocprim17ROCPRIM_400000_NS6detail17trampoline_kernelINS0_14default_configENS1_25partition_config_selectorILNS1_17partition_subalgoE5EiNS0_10empty_typeEbEEZZNS1_14partition_implILS5_5ELb0ES3_mPiPS6_N6thrust23THRUST_200600_302600_NS18transform_iteratorINSC_6detail9not_fun_tIN6dUtils8isNotOneIiEEEES9_NSC_11use_defaultESK_EENS0_5tupleIJS9_S6_EEENSM_IJSA_SA_EEES6_PlJS6_EEE10hipError_tPvRmT3_T4_T5_T6_T7_T9_mT8_P12ihipStream_tbDpT10_ENKUlT_T0_E_clISt17integral_constantIbLb0EES18_IbLb1EEEEDaS14_S15_EUlS14_E_NS1_11comp_targetILNS1_3genE2ELNS1_11target_archE906ELNS1_3gpuE6ELNS1_3repE0EEENS1_30default_config_static_selectorELNS0_4arch9wavefront6targetE1EEEvT1_
    .private_segment_fixed_size: 0
    .sgpr_count:     4
    .sgpr_spill_count: 0
    .symbol:         _ZN7rocprim17ROCPRIM_400000_NS6detail17trampoline_kernelINS0_14default_configENS1_25partition_config_selectorILNS1_17partition_subalgoE5EiNS0_10empty_typeEbEEZZNS1_14partition_implILS5_5ELb0ES3_mPiPS6_N6thrust23THRUST_200600_302600_NS18transform_iteratorINSC_6detail9not_fun_tIN6dUtils8isNotOneIiEEEES9_NSC_11use_defaultESK_EENS0_5tupleIJS9_S6_EEENSM_IJSA_SA_EEES6_PlJS6_EEE10hipError_tPvRmT3_T4_T5_T6_T7_T9_mT8_P12ihipStream_tbDpT10_ENKUlT_T0_E_clISt17integral_constantIbLb0EES18_IbLb1EEEEDaS14_S15_EUlS14_E_NS1_11comp_targetILNS1_3genE2ELNS1_11target_archE906ELNS1_3gpuE6ELNS1_3repE0EEENS1_30default_config_static_selectorELNS0_4arch9wavefront6targetE1EEEvT1_.kd
    .uniform_work_group_size: 1
    .uses_dynamic_stack: false
    .vgpr_count:     0
    .vgpr_spill_count: 0
    .wavefront_size: 64
  - .agpr_count:     0
    .args:
      - .offset:         0
        .size:           136
        .value_kind:     by_value
    .group_segment_fixed_size: 0
    .kernarg_segment_align: 8
    .kernarg_segment_size: 136
    .language:       OpenCL C
    .language_version:
      - 2
      - 0
    .max_flat_workgroup_size: 192
    .name:           _ZN7rocprim17ROCPRIM_400000_NS6detail17trampoline_kernelINS0_14default_configENS1_25partition_config_selectorILNS1_17partition_subalgoE5EiNS0_10empty_typeEbEEZZNS1_14partition_implILS5_5ELb0ES3_mPiPS6_N6thrust23THRUST_200600_302600_NS18transform_iteratorINSC_6detail9not_fun_tIN6dUtils8isNotOneIiEEEES9_NSC_11use_defaultESK_EENS0_5tupleIJS9_S6_EEENSM_IJSA_SA_EEES6_PlJS6_EEE10hipError_tPvRmT3_T4_T5_T6_T7_T9_mT8_P12ihipStream_tbDpT10_ENKUlT_T0_E_clISt17integral_constantIbLb0EES18_IbLb1EEEEDaS14_S15_EUlS14_E_NS1_11comp_targetILNS1_3genE10ELNS1_11target_archE1200ELNS1_3gpuE4ELNS1_3repE0EEENS1_30default_config_static_selectorELNS0_4arch9wavefront6targetE1EEEvT1_
    .private_segment_fixed_size: 0
    .sgpr_count:     4
    .sgpr_spill_count: 0
    .symbol:         _ZN7rocprim17ROCPRIM_400000_NS6detail17trampoline_kernelINS0_14default_configENS1_25partition_config_selectorILNS1_17partition_subalgoE5EiNS0_10empty_typeEbEEZZNS1_14partition_implILS5_5ELb0ES3_mPiPS6_N6thrust23THRUST_200600_302600_NS18transform_iteratorINSC_6detail9not_fun_tIN6dUtils8isNotOneIiEEEES9_NSC_11use_defaultESK_EENS0_5tupleIJS9_S6_EEENSM_IJSA_SA_EEES6_PlJS6_EEE10hipError_tPvRmT3_T4_T5_T6_T7_T9_mT8_P12ihipStream_tbDpT10_ENKUlT_T0_E_clISt17integral_constantIbLb0EES18_IbLb1EEEEDaS14_S15_EUlS14_E_NS1_11comp_targetILNS1_3genE10ELNS1_11target_archE1200ELNS1_3gpuE4ELNS1_3repE0EEENS1_30default_config_static_selectorELNS0_4arch9wavefront6targetE1EEEvT1_.kd
    .uniform_work_group_size: 1
    .uses_dynamic_stack: false
    .vgpr_count:     0
    .vgpr_spill_count: 0
    .wavefront_size: 64
  - .agpr_count:     0
    .args:
      - .offset:         0
        .size:           136
        .value_kind:     by_value
    .group_segment_fixed_size: 0
    .kernarg_segment_align: 8
    .kernarg_segment_size: 136
    .language:       OpenCL C
    .language_version:
      - 2
      - 0
    .max_flat_workgroup_size: 128
    .name:           _ZN7rocprim17ROCPRIM_400000_NS6detail17trampoline_kernelINS0_14default_configENS1_25partition_config_selectorILNS1_17partition_subalgoE5EiNS0_10empty_typeEbEEZZNS1_14partition_implILS5_5ELb0ES3_mPiPS6_N6thrust23THRUST_200600_302600_NS18transform_iteratorINSC_6detail9not_fun_tIN6dUtils8isNotOneIiEEEES9_NSC_11use_defaultESK_EENS0_5tupleIJS9_S6_EEENSM_IJSA_SA_EEES6_PlJS6_EEE10hipError_tPvRmT3_T4_T5_T6_T7_T9_mT8_P12ihipStream_tbDpT10_ENKUlT_T0_E_clISt17integral_constantIbLb0EES18_IbLb1EEEEDaS14_S15_EUlS14_E_NS1_11comp_targetILNS1_3genE9ELNS1_11target_archE1100ELNS1_3gpuE3ELNS1_3repE0EEENS1_30default_config_static_selectorELNS0_4arch9wavefront6targetE1EEEvT1_
    .private_segment_fixed_size: 0
    .sgpr_count:     4
    .sgpr_spill_count: 0
    .symbol:         _ZN7rocprim17ROCPRIM_400000_NS6detail17trampoline_kernelINS0_14default_configENS1_25partition_config_selectorILNS1_17partition_subalgoE5EiNS0_10empty_typeEbEEZZNS1_14partition_implILS5_5ELb0ES3_mPiPS6_N6thrust23THRUST_200600_302600_NS18transform_iteratorINSC_6detail9not_fun_tIN6dUtils8isNotOneIiEEEES9_NSC_11use_defaultESK_EENS0_5tupleIJS9_S6_EEENSM_IJSA_SA_EEES6_PlJS6_EEE10hipError_tPvRmT3_T4_T5_T6_T7_T9_mT8_P12ihipStream_tbDpT10_ENKUlT_T0_E_clISt17integral_constantIbLb0EES18_IbLb1EEEEDaS14_S15_EUlS14_E_NS1_11comp_targetILNS1_3genE9ELNS1_11target_archE1100ELNS1_3gpuE3ELNS1_3repE0EEENS1_30default_config_static_selectorELNS0_4arch9wavefront6targetE1EEEvT1_.kd
    .uniform_work_group_size: 1
    .uses_dynamic_stack: false
    .vgpr_count:     0
    .vgpr_spill_count: 0
    .wavefront_size: 64
  - .agpr_count:     0
    .args:
      - .offset:         0
        .size:           136
        .value_kind:     by_value
    .group_segment_fixed_size: 0
    .kernarg_segment_align: 8
    .kernarg_segment_size: 136
    .language:       OpenCL C
    .language_version:
      - 2
      - 0
    .max_flat_workgroup_size: 512
    .name:           _ZN7rocprim17ROCPRIM_400000_NS6detail17trampoline_kernelINS0_14default_configENS1_25partition_config_selectorILNS1_17partition_subalgoE5EiNS0_10empty_typeEbEEZZNS1_14partition_implILS5_5ELb0ES3_mPiPS6_N6thrust23THRUST_200600_302600_NS18transform_iteratorINSC_6detail9not_fun_tIN6dUtils8isNotOneIiEEEES9_NSC_11use_defaultESK_EENS0_5tupleIJS9_S6_EEENSM_IJSA_SA_EEES6_PlJS6_EEE10hipError_tPvRmT3_T4_T5_T6_T7_T9_mT8_P12ihipStream_tbDpT10_ENKUlT_T0_E_clISt17integral_constantIbLb0EES18_IbLb1EEEEDaS14_S15_EUlS14_E_NS1_11comp_targetILNS1_3genE8ELNS1_11target_archE1030ELNS1_3gpuE2ELNS1_3repE0EEENS1_30default_config_static_selectorELNS0_4arch9wavefront6targetE1EEEvT1_
    .private_segment_fixed_size: 0
    .sgpr_count:     4
    .sgpr_spill_count: 0
    .symbol:         _ZN7rocprim17ROCPRIM_400000_NS6detail17trampoline_kernelINS0_14default_configENS1_25partition_config_selectorILNS1_17partition_subalgoE5EiNS0_10empty_typeEbEEZZNS1_14partition_implILS5_5ELb0ES3_mPiPS6_N6thrust23THRUST_200600_302600_NS18transform_iteratorINSC_6detail9not_fun_tIN6dUtils8isNotOneIiEEEES9_NSC_11use_defaultESK_EENS0_5tupleIJS9_S6_EEENSM_IJSA_SA_EEES6_PlJS6_EEE10hipError_tPvRmT3_T4_T5_T6_T7_T9_mT8_P12ihipStream_tbDpT10_ENKUlT_T0_E_clISt17integral_constantIbLb0EES18_IbLb1EEEEDaS14_S15_EUlS14_E_NS1_11comp_targetILNS1_3genE8ELNS1_11target_archE1030ELNS1_3gpuE2ELNS1_3repE0EEENS1_30default_config_static_selectorELNS0_4arch9wavefront6targetE1EEEvT1_.kd
    .uniform_work_group_size: 1
    .uses_dynamic_stack: false
    .vgpr_count:     0
    .vgpr_spill_count: 0
    .wavefront_size: 64
  - .agpr_count:     0
    .args:
      - .offset:         0
        .size:           16
        .value_kind:     by_value
      - .offset:         16
        .size:           8
        .value_kind:     by_value
      - .offset:         24
        .size:           8
        .value_kind:     by_value
    .group_segment_fixed_size: 0
    .kernarg_segment_align: 8
    .kernarg_segment_size: 32
    .language:       OpenCL C
    .language_version:
      - 2
      - 0
    .max_flat_workgroup_size: 256
    .name:           _ZN6thrust23THRUST_200600_302600_NS11hip_rocprim14__parallel_for6kernelILj256ENS1_10__tabulate7functorIPiNS0_6system6detail7generic6detail22compute_sequence_valueIivEElEElLj1EEEvT0_T1_SF_
    .private_segment_fixed_size: 0
    .sgpr_count:     16
    .sgpr_spill_count: 0
    .symbol:         _ZN6thrust23THRUST_200600_302600_NS11hip_rocprim14__parallel_for6kernelILj256ENS1_10__tabulate7functorIPiNS0_6system6detail7generic6detail22compute_sequence_valueIivEElEElLj1EEEvT0_T1_SF_.kd
    .uniform_work_group_size: 1
    .uses_dynamic_stack: false
    .vgpr_count:     4
    .vgpr_spill_count: 0
    .wavefront_size: 64
  - .agpr_count:     0
    .args:
      - .offset:         0
        .size:           120
        .value_kind:     by_value
    .group_segment_fixed_size: 0
    .kernarg_segment_align: 8
    .kernarg_segment_size: 120
    .language:       OpenCL C
    .language_version:
      - 2
      - 0
    .max_flat_workgroup_size: 512
    .name:           _ZN7rocprim17ROCPRIM_400000_NS6detail17trampoline_kernelINS0_14default_configENS1_25partition_config_selectorILNS1_17partition_subalgoE5EiNS0_10empty_typeEbEEZZNS1_14partition_implILS5_5ELb0ES3_mPiPS6_N6thrust23THRUST_200600_302600_NS18transform_iteratorIN6dUtils5isOneIiEES9_NSC_11use_defaultESH_EENS0_5tupleIJS9_S6_EEENSJ_IJSA_SA_EEES6_PlJS6_EEE10hipError_tPvRmT3_T4_T5_T6_T7_T9_mT8_P12ihipStream_tbDpT10_ENKUlT_T0_E_clISt17integral_constantIbLb0EES16_EEDaS11_S12_EUlS11_E_NS1_11comp_targetILNS1_3genE0ELNS1_11target_archE4294967295ELNS1_3gpuE0ELNS1_3repE0EEENS1_30default_config_static_selectorELNS0_4arch9wavefront6targetE1EEEvT1_
    .private_segment_fixed_size: 0
    .sgpr_count:     4
    .sgpr_spill_count: 0
    .symbol:         _ZN7rocprim17ROCPRIM_400000_NS6detail17trampoline_kernelINS0_14default_configENS1_25partition_config_selectorILNS1_17partition_subalgoE5EiNS0_10empty_typeEbEEZZNS1_14partition_implILS5_5ELb0ES3_mPiPS6_N6thrust23THRUST_200600_302600_NS18transform_iteratorIN6dUtils5isOneIiEES9_NSC_11use_defaultESH_EENS0_5tupleIJS9_S6_EEENSJ_IJSA_SA_EEES6_PlJS6_EEE10hipError_tPvRmT3_T4_T5_T6_T7_T9_mT8_P12ihipStream_tbDpT10_ENKUlT_T0_E_clISt17integral_constantIbLb0EES16_EEDaS11_S12_EUlS11_E_NS1_11comp_targetILNS1_3genE0ELNS1_11target_archE4294967295ELNS1_3gpuE0ELNS1_3repE0EEENS1_30default_config_static_selectorELNS0_4arch9wavefront6targetE1EEEvT1_.kd
    .uniform_work_group_size: 1
    .uses_dynamic_stack: false
    .vgpr_count:     0
    .vgpr_spill_count: 0
    .wavefront_size: 64
  - .agpr_count:     0
    .args:
      - .offset:         0
        .size:           120
        .value_kind:     by_value
    .group_segment_fixed_size: 0
    .kernarg_segment_align: 8
    .kernarg_segment_size: 120
    .language:       OpenCL C
    .language_version:
      - 2
      - 0
    .max_flat_workgroup_size: 512
    .name:           _ZN7rocprim17ROCPRIM_400000_NS6detail17trampoline_kernelINS0_14default_configENS1_25partition_config_selectorILNS1_17partition_subalgoE5EiNS0_10empty_typeEbEEZZNS1_14partition_implILS5_5ELb0ES3_mPiPS6_N6thrust23THRUST_200600_302600_NS18transform_iteratorIN6dUtils5isOneIiEES9_NSC_11use_defaultESH_EENS0_5tupleIJS9_S6_EEENSJ_IJSA_SA_EEES6_PlJS6_EEE10hipError_tPvRmT3_T4_T5_T6_T7_T9_mT8_P12ihipStream_tbDpT10_ENKUlT_T0_E_clISt17integral_constantIbLb0EES16_EEDaS11_S12_EUlS11_E_NS1_11comp_targetILNS1_3genE5ELNS1_11target_archE942ELNS1_3gpuE9ELNS1_3repE0EEENS1_30default_config_static_selectorELNS0_4arch9wavefront6targetE1EEEvT1_
    .private_segment_fixed_size: 0
    .sgpr_count:     4
    .sgpr_spill_count: 0
    .symbol:         _ZN7rocprim17ROCPRIM_400000_NS6detail17trampoline_kernelINS0_14default_configENS1_25partition_config_selectorILNS1_17partition_subalgoE5EiNS0_10empty_typeEbEEZZNS1_14partition_implILS5_5ELb0ES3_mPiPS6_N6thrust23THRUST_200600_302600_NS18transform_iteratorIN6dUtils5isOneIiEES9_NSC_11use_defaultESH_EENS0_5tupleIJS9_S6_EEENSJ_IJSA_SA_EEES6_PlJS6_EEE10hipError_tPvRmT3_T4_T5_T6_T7_T9_mT8_P12ihipStream_tbDpT10_ENKUlT_T0_E_clISt17integral_constantIbLb0EES16_EEDaS11_S12_EUlS11_E_NS1_11comp_targetILNS1_3genE5ELNS1_11target_archE942ELNS1_3gpuE9ELNS1_3repE0EEENS1_30default_config_static_selectorELNS0_4arch9wavefront6targetE1EEEvT1_.kd
    .uniform_work_group_size: 1
    .uses_dynamic_stack: false
    .vgpr_count:     0
    .vgpr_spill_count: 0
    .wavefront_size: 64
  - .agpr_count:     0
    .args:
      - .offset:         0
        .size:           120
        .value_kind:     by_value
    .group_segment_fixed_size: 7184
    .kernarg_segment_align: 8
    .kernarg_segment_size: 120
    .language:       OpenCL C
    .language_version:
      - 2
      - 0
    .max_flat_workgroup_size: 256
    .name:           _ZN7rocprim17ROCPRIM_400000_NS6detail17trampoline_kernelINS0_14default_configENS1_25partition_config_selectorILNS1_17partition_subalgoE5EiNS0_10empty_typeEbEEZZNS1_14partition_implILS5_5ELb0ES3_mPiPS6_N6thrust23THRUST_200600_302600_NS18transform_iteratorIN6dUtils5isOneIiEES9_NSC_11use_defaultESH_EENS0_5tupleIJS9_S6_EEENSJ_IJSA_SA_EEES6_PlJS6_EEE10hipError_tPvRmT3_T4_T5_T6_T7_T9_mT8_P12ihipStream_tbDpT10_ENKUlT_T0_E_clISt17integral_constantIbLb0EES16_EEDaS11_S12_EUlS11_E_NS1_11comp_targetILNS1_3genE4ELNS1_11target_archE910ELNS1_3gpuE8ELNS1_3repE0EEENS1_30default_config_static_selectorELNS0_4arch9wavefront6targetE1EEEvT1_
    .private_segment_fixed_size: 0
    .sgpr_count:     32
    .sgpr_spill_count: 0
    .symbol:         _ZN7rocprim17ROCPRIM_400000_NS6detail17trampoline_kernelINS0_14default_configENS1_25partition_config_selectorILNS1_17partition_subalgoE5EiNS0_10empty_typeEbEEZZNS1_14partition_implILS5_5ELb0ES3_mPiPS6_N6thrust23THRUST_200600_302600_NS18transform_iteratorIN6dUtils5isOneIiEES9_NSC_11use_defaultESH_EENS0_5tupleIJS9_S6_EEENSJ_IJSA_SA_EEES6_PlJS6_EEE10hipError_tPvRmT3_T4_T5_T6_T7_T9_mT8_P12ihipStream_tbDpT10_ENKUlT_T0_E_clISt17integral_constantIbLb0EES16_EEDaS11_S12_EUlS11_E_NS1_11comp_targetILNS1_3genE4ELNS1_11target_archE910ELNS1_3gpuE8ELNS1_3repE0EEENS1_30default_config_static_selectorELNS0_4arch9wavefront6targetE1EEEvT1_.kd
    .uniform_work_group_size: 1
    .uses_dynamic_stack: false
    .vgpr_count:     56
    .vgpr_spill_count: 0
    .wavefront_size: 64
  - .agpr_count:     0
    .args:
      - .offset:         0
        .size:           120
        .value_kind:     by_value
    .group_segment_fixed_size: 0
    .kernarg_segment_align: 8
    .kernarg_segment_size: 120
    .language:       OpenCL C
    .language_version:
      - 2
      - 0
    .max_flat_workgroup_size: 512
    .name:           _ZN7rocprim17ROCPRIM_400000_NS6detail17trampoline_kernelINS0_14default_configENS1_25partition_config_selectorILNS1_17partition_subalgoE5EiNS0_10empty_typeEbEEZZNS1_14partition_implILS5_5ELb0ES3_mPiPS6_N6thrust23THRUST_200600_302600_NS18transform_iteratorIN6dUtils5isOneIiEES9_NSC_11use_defaultESH_EENS0_5tupleIJS9_S6_EEENSJ_IJSA_SA_EEES6_PlJS6_EEE10hipError_tPvRmT3_T4_T5_T6_T7_T9_mT8_P12ihipStream_tbDpT10_ENKUlT_T0_E_clISt17integral_constantIbLb0EES16_EEDaS11_S12_EUlS11_E_NS1_11comp_targetILNS1_3genE3ELNS1_11target_archE908ELNS1_3gpuE7ELNS1_3repE0EEENS1_30default_config_static_selectorELNS0_4arch9wavefront6targetE1EEEvT1_
    .private_segment_fixed_size: 0
    .sgpr_count:     4
    .sgpr_spill_count: 0
    .symbol:         _ZN7rocprim17ROCPRIM_400000_NS6detail17trampoline_kernelINS0_14default_configENS1_25partition_config_selectorILNS1_17partition_subalgoE5EiNS0_10empty_typeEbEEZZNS1_14partition_implILS5_5ELb0ES3_mPiPS6_N6thrust23THRUST_200600_302600_NS18transform_iteratorIN6dUtils5isOneIiEES9_NSC_11use_defaultESH_EENS0_5tupleIJS9_S6_EEENSJ_IJSA_SA_EEES6_PlJS6_EEE10hipError_tPvRmT3_T4_T5_T6_T7_T9_mT8_P12ihipStream_tbDpT10_ENKUlT_T0_E_clISt17integral_constantIbLb0EES16_EEDaS11_S12_EUlS11_E_NS1_11comp_targetILNS1_3genE3ELNS1_11target_archE908ELNS1_3gpuE7ELNS1_3repE0EEENS1_30default_config_static_selectorELNS0_4arch9wavefront6targetE1EEEvT1_.kd
    .uniform_work_group_size: 1
    .uses_dynamic_stack: false
    .vgpr_count:     0
    .vgpr_spill_count: 0
    .wavefront_size: 64
  - .agpr_count:     0
    .args:
      - .offset:         0
        .size:           120
        .value_kind:     by_value
    .group_segment_fixed_size: 0
    .kernarg_segment_align: 8
    .kernarg_segment_size: 120
    .language:       OpenCL C
    .language_version:
      - 2
      - 0
    .max_flat_workgroup_size: 256
    .name:           _ZN7rocprim17ROCPRIM_400000_NS6detail17trampoline_kernelINS0_14default_configENS1_25partition_config_selectorILNS1_17partition_subalgoE5EiNS0_10empty_typeEbEEZZNS1_14partition_implILS5_5ELb0ES3_mPiPS6_N6thrust23THRUST_200600_302600_NS18transform_iteratorIN6dUtils5isOneIiEES9_NSC_11use_defaultESH_EENS0_5tupleIJS9_S6_EEENSJ_IJSA_SA_EEES6_PlJS6_EEE10hipError_tPvRmT3_T4_T5_T6_T7_T9_mT8_P12ihipStream_tbDpT10_ENKUlT_T0_E_clISt17integral_constantIbLb0EES16_EEDaS11_S12_EUlS11_E_NS1_11comp_targetILNS1_3genE2ELNS1_11target_archE906ELNS1_3gpuE6ELNS1_3repE0EEENS1_30default_config_static_selectorELNS0_4arch9wavefront6targetE1EEEvT1_
    .private_segment_fixed_size: 0
    .sgpr_count:     4
    .sgpr_spill_count: 0
    .symbol:         _ZN7rocprim17ROCPRIM_400000_NS6detail17trampoline_kernelINS0_14default_configENS1_25partition_config_selectorILNS1_17partition_subalgoE5EiNS0_10empty_typeEbEEZZNS1_14partition_implILS5_5ELb0ES3_mPiPS6_N6thrust23THRUST_200600_302600_NS18transform_iteratorIN6dUtils5isOneIiEES9_NSC_11use_defaultESH_EENS0_5tupleIJS9_S6_EEENSJ_IJSA_SA_EEES6_PlJS6_EEE10hipError_tPvRmT3_T4_T5_T6_T7_T9_mT8_P12ihipStream_tbDpT10_ENKUlT_T0_E_clISt17integral_constantIbLb0EES16_EEDaS11_S12_EUlS11_E_NS1_11comp_targetILNS1_3genE2ELNS1_11target_archE906ELNS1_3gpuE6ELNS1_3repE0EEENS1_30default_config_static_selectorELNS0_4arch9wavefront6targetE1EEEvT1_.kd
    .uniform_work_group_size: 1
    .uses_dynamic_stack: false
    .vgpr_count:     0
    .vgpr_spill_count: 0
    .wavefront_size: 64
  - .agpr_count:     0
    .args:
      - .offset:         0
        .size:           120
        .value_kind:     by_value
    .group_segment_fixed_size: 0
    .kernarg_segment_align: 8
    .kernarg_segment_size: 120
    .language:       OpenCL C
    .language_version:
      - 2
      - 0
    .max_flat_workgroup_size: 192
    .name:           _ZN7rocprim17ROCPRIM_400000_NS6detail17trampoline_kernelINS0_14default_configENS1_25partition_config_selectorILNS1_17partition_subalgoE5EiNS0_10empty_typeEbEEZZNS1_14partition_implILS5_5ELb0ES3_mPiPS6_N6thrust23THRUST_200600_302600_NS18transform_iteratorIN6dUtils5isOneIiEES9_NSC_11use_defaultESH_EENS0_5tupleIJS9_S6_EEENSJ_IJSA_SA_EEES6_PlJS6_EEE10hipError_tPvRmT3_T4_T5_T6_T7_T9_mT8_P12ihipStream_tbDpT10_ENKUlT_T0_E_clISt17integral_constantIbLb0EES16_EEDaS11_S12_EUlS11_E_NS1_11comp_targetILNS1_3genE10ELNS1_11target_archE1200ELNS1_3gpuE4ELNS1_3repE0EEENS1_30default_config_static_selectorELNS0_4arch9wavefront6targetE1EEEvT1_
    .private_segment_fixed_size: 0
    .sgpr_count:     4
    .sgpr_spill_count: 0
    .symbol:         _ZN7rocprim17ROCPRIM_400000_NS6detail17trampoline_kernelINS0_14default_configENS1_25partition_config_selectorILNS1_17partition_subalgoE5EiNS0_10empty_typeEbEEZZNS1_14partition_implILS5_5ELb0ES3_mPiPS6_N6thrust23THRUST_200600_302600_NS18transform_iteratorIN6dUtils5isOneIiEES9_NSC_11use_defaultESH_EENS0_5tupleIJS9_S6_EEENSJ_IJSA_SA_EEES6_PlJS6_EEE10hipError_tPvRmT3_T4_T5_T6_T7_T9_mT8_P12ihipStream_tbDpT10_ENKUlT_T0_E_clISt17integral_constantIbLb0EES16_EEDaS11_S12_EUlS11_E_NS1_11comp_targetILNS1_3genE10ELNS1_11target_archE1200ELNS1_3gpuE4ELNS1_3repE0EEENS1_30default_config_static_selectorELNS0_4arch9wavefront6targetE1EEEvT1_.kd
    .uniform_work_group_size: 1
    .uses_dynamic_stack: false
    .vgpr_count:     0
    .vgpr_spill_count: 0
    .wavefront_size: 64
  - .agpr_count:     0
    .args:
      - .offset:         0
        .size:           120
        .value_kind:     by_value
    .group_segment_fixed_size: 0
    .kernarg_segment_align: 8
    .kernarg_segment_size: 120
    .language:       OpenCL C
    .language_version:
      - 2
      - 0
    .max_flat_workgroup_size: 128
    .name:           _ZN7rocprim17ROCPRIM_400000_NS6detail17trampoline_kernelINS0_14default_configENS1_25partition_config_selectorILNS1_17partition_subalgoE5EiNS0_10empty_typeEbEEZZNS1_14partition_implILS5_5ELb0ES3_mPiPS6_N6thrust23THRUST_200600_302600_NS18transform_iteratorIN6dUtils5isOneIiEES9_NSC_11use_defaultESH_EENS0_5tupleIJS9_S6_EEENSJ_IJSA_SA_EEES6_PlJS6_EEE10hipError_tPvRmT3_T4_T5_T6_T7_T9_mT8_P12ihipStream_tbDpT10_ENKUlT_T0_E_clISt17integral_constantIbLb0EES16_EEDaS11_S12_EUlS11_E_NS1_11comp_targetILNS1_3genE9ELNS1_11target_archE1100ELNS1_3gpuE3ELNS1_3repE0EEENS1_30default_config_static_selectorELNS0_4arch9wavefront6targetE1EEEvT1_
    .private_segment_fixed_size: 0
    .sgpr_count:     4
    .sgpr_spill_count: 0
    .symbol:         _ZN7rocprim17ROCPRIM_400000_NS6detail17trampoline_kernelINS0_14default_configENS1_25partition_config_selectorILNS1_17partition_subalgoE5EiNS0_10empty_typeEbEEZZNS1_14partition_implILS5_5ELb0ES3_mPiPS6_N6thrust23THRUST_200600_302600_NS18transform_iteratorIN6dUtils5isOneIiEES9_NSC_11use_defaultESH_EENS0_5tupleIJS9_S6_EEENSJ_IJSA_SA_EEES6_PlJS6_EEE10hipError_tPvRmT3_T4_T5_T6_T7_T9_mT8_P12ihipStream_tbDpT10_ENKUlT_T0_E_clISt17integral_constantIbLb0EES16_EEDaS11_S12_EUlS11_E_NS1_11comp_targetILNS1_3genE9ELNS1_11target_archE1100ELNS1_3gpuE3ELNS1_3repE0EEENS1_30default_config_static_selectorELNS0_4arch9wavefront6targetE1EEEvT1_.kd
    .uniform_work_group_size: 1
    .uses_dynamic_stack: false
    .vgpr_count:     0
    .vgpr_spill_count: 0
    .wavefront_size: 64
  - .agpr_count:     0
    .args:
      - .offset:         0
        .size:           120
        .value_kind:     by_value
    .group_segment_fixed_size: 0
    .kernarg_segment_align: 8
    .kernarg_segment_size: 120
    .language:       OpenCL C
    .language_version:
      - 2
      - 0
    .max_flat_workgroup_size: 512
    .name:           _ZN7rocprim17ROCPRIM_400000_NS6detail17trampoline_kernelINS0_14default_configENS1_25partition_config_selectorILNS1_17partition_subalgoE5EiNS0_10empty_typeEbEEZZNS1_14partition_implILS5_5ELb0ES3_mPiPS6_N6thrust23THRUST_200600_302600_NS18transform_iteratorIN6dUtils5isOneIiEES9_NSC_11use_defaultESH_EENS0_5tupleIJS9_S6_EEENSJ_IJSA_SA_EEES6_PlJS6_EEE10hipError_tPvRmT3_T4_T5_T6_T7_T9_mT8_P12ihipStream_tbDpT10_ENKUlT_T0_E_clISt17integral_constantIbLb0EES16_EEDaS11_S12_EUlS11_E_NS1_11comp_targetILNS1_3genE8ELNS1_11target_archE1030ELNS1_3gpuE2ELNS1_3repE0EEENS1_30default_config_static_selectorELNS0_4arch9wavefront6targetE1EEEvT1_
    .private_segment_fixed_size: 0
    .sgpr_count:     4
    .sgpr_spill_count: 0
    .symbol:         _ZN7rocprim17ROCPRIM_400000_NS6detail17trampoline_kernelINS0_14default_configENS1_25partition_config_selectorILNS1_17partition_subalgoE5EiNS0_10empty_typeEbEEZZNS1_14partition_implILS5_5ELb0ES3_mPiPS6_N6thrust23THRUST_200600_302600_NS18transform_iteratorIN6dUtils5isOneIiEES9_NSC_11use_defaultESH_EENS0_5tupleIJS9_S6_EEENSJ_IJSA_SA_EEES6_PlJS6_EEE10hipError_tPvRmT3_T4_T5_T6_T7_T9_mT8_P12ihipStream_tbDpT10_ENKUlT_T0_E_clISt17integral_constantIbLb0EES16_EEDaS11_S12_EUlS11_E_NS1_11comp_targetILNS1_3genE8ELNS1_11target_archE1030ELNS1_3gpuE2ELNS1_3repE0EEENS1_30default_config_static_selectorELNS0_4arch9wavefront6targetE1EEEvT1_.kd
    .uniform_work_group_size: 1
    .uses_dynamic_stack: false
    .vgpr_count:     0
    .vgpr_spill_count: 0
    .wavefront_size: 64
  - .agpr_count:     0
    .args:
      - .offset:         0
        .size:           136
        .value_kind:     by_value
    .group_segment_fixed_size: 0
    .kernarg_segment_align: 8
    .kernarg_segment_size: 136
    .language:       OpenCL C
    .language_version:
      - 2
      - 0
    .max_flat_workgroup_size: 512
    .name:           _ZN7rocprim17ROCPRIM_400000_NS6detail17trampoline_kernelINS0_14default_configENS1_25partition_config_selectorILNS1_17partition_subalgoE5EiNS0_10empty_typeEbEEZZNS1_14partition_implILS5_5ELb0ES3_mPiPS6_N6thrust23THRUST_200600_302600_NS18transform_iteratorIN6dUtils5isOneIiEES9_NSC_11use_defaultESH_EENS0_5tupleIJS9_S6_EEENSJ_IJSA_SA_EEES6_PlJS6_EEE10hipError_tPvRmT3_T4_T5_T6_T7_T9_mT8_P12ihipStream_tbDpT10_ENKUlT_T0_E_clISt17integral_constantIbLb1EES16_EEDaS11_S12_EUlS11_E_NS1_11comp_targetILNS1_3genE0ELNS1_11target_archE4294967295ELNS1_3gpuE0ELNS1_3repE0EEENS1_30default_config_static_selectorELNS0_4arch9wavefront6targetE1EEEvT1_
    .private_segment_fixed_size: 0
    .sgpr_count:     4
    .sgpr_spill_count: 0
    .symbol:         _ZN7rocprim17ROCPRIM_400000_NS6detail17trampoline_kernelINS0_14default_configENS1_25partition_config_selectorILNS1_17partition_subalgoE5EiNS0_10empty_typeEbEEZZNS1_14partition_implILS5_5ELb0ES3_mPiPS6_N6thrust23THRUST_200600_302600_NS18transform_iteratorIN6dUtils5isOneIiEES9_NSC_11use_defaultESH_EENS0_5tupleIJS9_S6_EEENSJ_IJSA_SA_EEES6_PlJS6_EEE10hipError_tPvRmT3_T4_T5_T6_T7_T9_mT8_P12ihipStream_tbDpT10_ENKUlT_T0_E_clISt17integral_constantIbLb1EES16_EEDaS11_S12_EUlS11_E_NS1_11comp_targetILNS1_3genE0ELNS1_11target_archE4294967295ELNS1_3gpuE0ELNS1_3repE0EEENS1_30default_config_static_selectorELNS0_4arch9wavefront6targetE1EEEvT1_.kd
    .uniform_work_group_size: 1
    .uses_dynamic_stack: false
    .vgpr_count:     0
    .vgpr_spill_count: 0
    .wavefront_size: 64
  - .agpr_count:     0
    .args:
      - .offset:         0
        .size:           136
        .value_kind:     by_value
    .group_segment_fixed_size: 0
    .kernarg_segment_align: 8
    .kernarg_segment_size: 136
    .language:       OpenCL C
    .language_version:
      - 2
      - 0
    .max_flat_workgroup_size: 512
    .name:           _ZN7rocprim17ROCPRIM_400000_NS6detail17trampoline_kernelINS0_14default_configENS1_25partition_config_selectorILNS1_17partition_subalgoE5EiNS0_10empty_typeEbEEZZNS1_14partition_implILS5_5ELb0ES3_mPiPS6_N6thrust23THRUST_200600_302600_NS18transform_iteratorIN6dUtils5isOneIiEES9_NSC_11use_defaultESH_EENS0_5tupleIJS9_S6_EEENSJ_IJSA_SA_EEES6_PlJS6_EEE10hipError_tPvRmT3_T4_T5_T6_T7_T9_mT8_P12ihipStream_tbDpT10_ENKUlT_T0_E_clISt17integral_constantIbLb1EES16_EEDaS11_S12_EUlS11_E_NS1_11comp_targetILNS1_3genE5ELNS1_11target_archE942ELNS1_3gpuE9ELNS1_3repE0EEENS1_30default_config_static_selectorELNS0_4arch9wavefront6targetE1EEEvT1_
    .private_segment_fixed_size: 0
    .sgpr_count:     4
    .sgpr_spill_count: 0
    .symbol:         _ZN7rocprim17ROCPRIM_400000_NS6detail17trampoline_kernelINS0_14default_configENS1_25partition_config_selectorILNS1_17partition_subalgoE5EiNS0_10empty_typeEbEEZZNS1_14partition_implILS5_5ELb0ES3_mPiPS6_N6thrust23THRUST_200600_302600_NS18transform_iteratorIN6dUtils5isOneIiEES9_NSC_11use_defaultESH_EENS0_5tupleIJS9_S6_EEENSJ_IJSA_SA_EEES6_PlJS6_EEE10hipError_tPvRmT3_T4_T5_T6_T7_T9_mT8_P12ihipStream_tbDpT10_ENKUlT_T0_E_clISt17integral_constantIbLb1EES16_EEDaS11_S12_EUlS11_E_NS1_11comp_targetILNS1_3genE5ELNS1_11target_archE942ELNS1_3gpuE9ELNS1_3repE0EEENS1_30default_config_static_selectorELNS0_4arch9wavefront6targetE1EEEvT1_.kd
    .uniform_work_group_size: 1
    .uses_dynamic_stack: false
    .vgpr_count:     0
    .vgpr_spill_count: 0
    .wavefront_size: 64
  - .agpr_count:     0
    .args:
      - .offset:         0
        .size:           136
        .value_kind:     by_value
    .group_segment_fixed_size: 7184
    .kernarg_segment_align: 8
    .kernarg_segment_size: 136
    .language:       OpenCL C
    .language_version:
      - 2
      - 0
    .max_flat_workgroup_size: 256
    .name:           _ZN7rocprim17ROCPRIM_400000_NS6detail17trampoline_kernelINS0_14default_configENS1_25partition_config_selectorILNS1_17partition_subalgoE5EiNS0_10empty_typeEbEEZZNS1_14partition_implILS5_5ELb0ES3_mPiPS6_N6thrust23THRUST_200600_302600_NS18transform_iteratorIN6dUtils5isOneIiEES9_NSC_11use_defaultESH_EENS0_5tupleIJS9_S6_EEENSJ_IJSA_SA_EEES6_PlJS6_EEE10hipError_tPvRmT3_T4_T5_T6_T7_T9_mT8_P12ihipStream_tbDpT10_ENKUlT_T0_E_clISt17integral_constantIbLb1EES16_EEDaS11_S12_EUlS11_E_NS1_11comp_targetILNS1_3genE4ELNS1_11target_archE910ELNS1_3gpuE8ELNS1_3repE0EEENS1_30default_config_static_selectorELNS0_4arch9wavefront6targetE1EEEvT1_
    .private_segment_fixed_size: 0
    .sgpr_count:     32
    .sgpr_spill_count: 0
    .symbol:         _ZN7rocprim17ROCPRIM_400000_NS6detail17trampoline_kernelINS0_14default_configENS1_25partition_config_selectorILNS1_17partition_subalgoE5EiNS0_10empty_typeEbEEZZNS1_14partition_implILS5_5ELb0ES3_mPiPS6_N6thrust23THRUST_200600_302600_NS18transform_iteratorIN6dUtils5isOneIiEES9_NSC_11use_defaultESH_EENS0_5tupleIJS9_S6_EEENSJ_IJSA_SA_EEES6_PlJS6_EEE10hipError_tPvRmT3_T4_T5_T6_T7_T9_mT8_P12ihipStream_tbDpT10_ENKUlT_T0_E_clISt17integral_constantIbLb1EES16_EEDaS11_S12_EUlS11_E_NS1_11comp_targetILNS1_3genE4ELNS1_11target_archE910ELNS1_3gpuE8ELNS1_3repE0EEENS1_30default_config_static_selectorELNS0_4arch9wavefront6targetE1EEEvT1_.kd
    .uniform_work_group_size: 1
    .uses_dynamic_stack: false
    .vgpr_count:     58
    .vgpr_spill_count: 0
    .wavefront_size: 64
  - .agpr_count:     0
    .args:
      - .offset:         0
        .size:           136
        .value_kind:     by_value
    .group_segment_fixed_size: 0
    .kernarg_segment_align: 8
    .kernarg_segment_size: 136
    .language:       OpenCL C
    .language_version:
      - 2
      - 0
    .max_flat_workgroup_size: 512
    .name:           _ZN7rocprim17ROCPRIM_400000_NS6detail17trampoline_kernelINS0_14default_configENS1_25partition_config_selectorILNS1_17partition_subalgoE5EiNS0_10empty_typeEbEEZZNS1_14partition_implILS5_5ELb0ES3_mPiPS6_N6thrust23THRUST_200600_302600_NS18transform_iteratorIN6dUtils5isOneIiEES9_NSC_11use_defaultESH_EENS0_5tupleIJS9_S6_EEENSJ_IJSA_SA_EEES6_PlJS6_EEE10hipError_tPvRmT3_T4_T5_T6_T7_T9_mT8_P12ihipStream_tbDpT10_ENKUlT_T0_E_clISt17integral_constantIbLb1EES16_EEDaS11_S12_EUlS11_E_NS1_11comp_targetILNS1_3genE3ELNS1_11target_archE908ELNS1_3gpuE7ELNS1_3repE0EEENS1_30default_config_static_selectorELNS0_4arch9wavefront6targetE1EEEvT1_
    .private_segment_fixed_size: 0
    .sgpr_count:     4
    .sgpr_spill_count: 0
    .symbol:         _ZN7rocprim17ROCPRIM_400000_NS6detail17trampoline_kernelINS0_14default_configENS1_25partition_config_selectorILNS1_17partition_subalgoE5EiNS0_10empty_typeEbEEZZNS1_14partition_implILS5_5ELb0ES3_mPiPS6_N6thrust23THRUST_200600_302600_NS18transform_iteratorIN6dUtils5isOneIiEES9_NSC_11use_defaultESH_EENS0_5tupleIJS9_S6_EEENSJ_IJSA_SA_EEES6_PlJS6_EEE10hipError_tPvRmT3_T4_T5_T6_T7_T9_mT8_P12ihipStream_tbDpT10_ENKUlT_T0_E_clISt17integral_constantIbLb1EES16_EEDaS11_S12_EUlS11_E_NS1_11comp_targetILNS1_3genE3ELNS1_11target_archE908ELNS1_3gpuE7ELNS1_3repE0EEENS1_30default_config_static_selectorELNS0_4arch9wavefront6targetE1EEEvT1_.kd
    .uniform_work_group_size: 1
    .uses_dynamic_stack: false
    .vgpr_count:     0
    .vgpr_spill_count: 0
    .wavefront_size: 64
  - .agpr_count:     0
    .args:
      - .offset:         0
        .size:           136
        .value_kind:     by_value
    .group_segment_fixed_size: 0
    .kernarg_segment_align: 8
    .kernarg_segment_size: 136
    .language:       OpenCL C
    .language_version:
      - 2
      - 0
    .max_flat_workgroup_size: 256
    .name:           _ZN7rocprim17ROCPRIM_400000_NS6detail17trampoline_kernelINS0_14default_configENS1_25partition_config_selectorILNS1_17partition_subalgoE5EiNS0_10empty_typeEbEEZZNS1_14partition_implILS5_5ELb0ES3_mPiPS6_N6thrust23THRUST_200600_302600_NS18transform_iteratorIN6dUtils5isOneIiEES9_NSC_11use_defaultESH_EENS0_5tupleIJS9_S6_EEENSJ_IJSA_SA_EEES6_PlJS6_EEE10hipError_tPvRmT3_T4_T5_T6_T7_T9_mT8_P12ihipStream_tbDpT10_ENKUlT_T0_E_clISt17integral_constantIbLb1EES16_EEDaS11_S12_EUlS11_E_NS1_11comp_targetILNS1_3genE2ELNS1_11target_archE906ELNS1_3gpuE6ELNS1_3repE0EEENS1_30default_config_static_selectorELNS0_4arch9wavefront6targetE1EEEvT1_
    .private_segment_fixed_size: 0
    .sgpr_count:     4
    .sgpr_spill_count: 0
    .symbol:         _ZN7rocprim17ROCPRIM_400000_NS6detail17trampoline_kernelINS0_14default_configENS1_25partition_config_selectorILNS1_17partition_subalgoE5EiNS0_10empty_typeEbEEZZNS1_14partition_implILS5_5ELb0ES3_mPiPS6_N6thrust23THRUST_200600_302600_NS18transform_iteratorIN6dUtils5isOneIiEES9_NSC_11use_defaultESH_EENS0_5tupleIJS9_S6_EEENSJ_IJSA_SA_EEES6_PlJS6_EEE10hipError_tPvRmT3_T4_T5_T6_T7_T9_mT8_P12ihipStream_tbDpT10_ENKUlT_T0_E_clISt17integral_constantIbLb1EES16_EEDaS11_S12_EUlS11_E_NS1_11comp_targetILNS1_3genE2ELNS1_11target_archE906ELNS1_3gpuE6ELNS1_3repE0EEENS1_30default_config_static_selectorELNS0_4arch9wavefront6targetE1EEEvT1_.kd
    .uniform_work_group_size: 1
    .uses_dynamic_stack: false
    .vgpr_count:     0
    .vgpr_spill_count: 0
    .wavefront_size: 64
  - .agpr_count:     0
    .args:
      - .offset:         0
        .size:           136
        .value_kind:     by_value
    .group_segment_fixed_size: 0
    .kernarg_segment_align: 8
    .kernarg_segment_size: 136
    .language:       OpenCL C
    .language_version:
      - 2
      - 0
    .max_flat_workgroup_size: 192
    .name:           _ZN7rocprim17ROCPRIM_400000_NS6detail17trampoline_kernelINS0_14default_configENS1_25partition_config_selectorILNS1_17partition_subalgoE5EiNS0_10empty_typeEbEEZZNS1_14partition_implILS5_5ELb0ES3_mPiPS6_N6thrust23THRUST_200600_302600_NS18transform_iteratorIN6dUtils5isOneIiEES9_NSC_11use_defaultESH_EENS0_5tupleIJS9_S6_EEENSJ_IJSA_SA_EEES6_PlJS6_EEE10hipError_tPvRmT3_T4_T5_T6_T7_T9_mT8_P12ihipStream_tbDpT10_ENKUlT_T0_E_clISt17integral_constantIbLb1EES16_EEDaS11_S12_EUlS11_E_NS1_11comp_targetILNS1_3genE10ELNS1_11target_archE1200ELNS1_3gpuE4ELNS1_3repE0EEENS1_30default_config_static_selectorELNS0_4arch9wavefront6targetE1EEEvT1_
    .private_segment_fixed_size: 0
    .sgpr_count:     4
    .sgpr_spill_count: 0
    .symbol:         _ZN7rocprim17ROCPRIM_400000_NS6detail17trampoline_kernelINS0_14default_configENS1_25partition_config_selectorILNS1_17partition_subalgoE5EiNS0_10empty_typeEbEEZZNS1_14partition_implILS5_5ELb0ES3_mPiPS6_N6thrust23THRUST_200600_302600_NS18transform_iteratorIN6dUtils5isOneIiEES9_NSC_11use_defaultESH_EENS0_5tupleIJS9_S6_EEENSJ_IJSA_SA_EEES6_PlJS6_EEE10hipError_tPvRmT3_T4_T5_T6_T7_T9_mT8_P12ihipStream_tbDpT10_ENKUlT_T0_E_clISt17integral_constantIbLb1EES16_EEDaS11_S12_EUlS11_E_NS1_11comp_targetILNS1_3genE10ELNS1_11target_archE1200ELNS1_3gpuE4ELNS1_3repE0EEENS1_30default_config_static_selectorELNS0_4arch9wavefront6targetE1EEEvT1_.kd
    .uniform_work_group_size: 1
    .uses_dynamic_stack: false
    .vgpr_count:     0
    .vgpr_spill_count: 0
    .wavefront_size: 64
  - .agpr_count:     0
    .args:
      - .offset:         0
        .size:           136
        .value_kind:     by_value
    .group_segment_fixed_size: 0
    .kernarg_segment_align: 8
    .kernarg_segment_size: 136
    .language:       OpenCL C
    .language_version:
      - 2
      - 0
    .max_flat_workgroup_size: 128
    .name:           _ZN7rocprim17ROCPRIM_400000_NS6detail17trampoline_kernelINS0_14default_configENS1_25partition_config_selectorILNS1_17partition_subalgoE5EiNS0_10empty_typeEbEEZZNS1_14partition_implILS5_5ELb0ES3_mPiPS6_N6thrust23THRUST_200600_302600_NS18transform_iteratorIN6dUtils5isOneIiEES9_NSC_11use_defaultESH_EENS0_5tupleIJS9_S6_EEENSJ_IJSA_SA_EEES6_PlJS6_EEE10hipError_tPvRmT3_T4_T5_T6_T7_T9_mT8_P12ihipStream_tbDpT10_ENKUlT_T0_E_clISt17integral_constantIbLb1EES16_EEDaS11_S12_EUlS11_E_NS1_11comp_targetILNS1_3genE9ELNS1_11target_archE1100ELNS1_3gpuE3ELNS1_3repE0EEENS1_30default_config_static_selectorELNS0_4arch9wavefront6targetE1EEEvT1_
    .private_segment_fixed_size: 0
    .sgpr_count:     4
    .sgpr_spill_count: 0
    .symbol:         _ZN7rocprim17ROCPRIM_400000_NS6detail17trampoline_kernelINS0_14default_configENS1_25partition_config_selectorILNS1_17partition_subalgoE5EiNS0_10empty_typeEbEEZZNS1_14partition_implILS5_5ELb0ES3_mPiPS6_N6thrust23THRUST_200600_302600_NS18transform_iteratorIN6dUtils5isOneIiEES9_NSC_11use_defaultESH_EENS0_5tupleIJS9_S6_EEENSJ_IJSA_SA_EEES6_PlJS6_EEE10hipError_tPvRmT3_T4_T5_T6_T7_T9_mT8_P12ihipStream_tbDpT10_ENKUlT_T0_E_clISt17integral_constantIbLb1EES16_EEDaS11_S12_EUlS11_E_NS1_11comp_targetILNS1_3genE9ELNS1_11target_archE1100ELNS1_3gpuE3ELNS1_3repE0EEENS1_30default_config_static_selectorELNS0_4arch9wavefront6targetE1EEEvT1_.kd
    .uniform_work_group_size: 1
    .uses_dynamic_stack: false
    .vgpr_count:     0
    .vgpr_spill_count: 0
    .wavefront_size: 64
  - .agpr_count:     0
    .args:
      - .offset:         0
        .size:           136
        .value_kind:     by_value
    .group_segment_fixed_size: 0
    .kernarg_segment_align: 8
    .kernarg_segment_size: 136
    .language:       OpenCL C
    .language_version:
      - 2
      - 0
    .max_flat_workgroup_size: 512
    .name:           _ZN7rocprim17ROCPRIM_400000_NS6detail17trampoline_kernelINS0_14default_configENS1_25partition_config_selectorILNS1_17partition_subalgoE5EiNS0_10empty_typeEbEEZZNS1_14partition_implILS5_5ELb0ES3_mPiPS6_N6thrust23THRUST_200600_302600_NS18transform_iteratorIN6dUtils5isOneIiEES9_NSC_11use_defaultESH_EENS0_5tupleIJS9_S6_EEENSJ_IJSA_SA_EEES6_PlJS6_EEE10hipError_tPvRmT3_T4_T5_T6_T7_T9_mT8_P12ihipStream_tbDpT10_ENKUlT_T0_E_clISt17integral_constantIbLb1EES16_EEDaS11_S12_EUlS11_E_NS1_11comp_targetILNS1_3genE8ELNS1_11target_archE1030ELNS1_3gpuE2ELNS1_3repE0EEENS1_30default_config_static_selectorELNS0_4arch9wavefront6targetE1EEEvT1_
    .private_segment_fixed_size: 0
    .sgpr_count:     4
    .sgpr_spill_count: 0
    .symbol:         _ZN7rocprim17ROCPRIM_400000_NS6detail17trampoline_kernelINS0_14default_configENS1_25partition_config_selectorILNS1_17partition_subalgoE5EiNS0_10empty_typeEbEEZZNS1_14partition_implILS5_5ELb0ES3_mPiPS6_N6thrust23THRUST_200600_302600_NS18transform_iteratorIN6dUtils5isOneIiEES9_NSC_11use_defaultESH_EENS0_5tupleIJS9_S6_EEENSJ_IJSA_SA_EEES6_PlJS6_EEE10hipError_tPvRmT3_T4_T5_T6_T7_T9_mT8_P12ihipStream_tbDpT10_ENKUlT_T0_E_clISt17integral_constantIbLb1EES16_EEDaS11_S12_EUlS11_E_NS1_11comp_targetILNS1_3genE8ELNS1_11target_archE1030ELNS1_3gpuE2ELNS1_3repE0EEENS1_30default_config_static_selectorELNS0_4arch9wavefront6targetE1EEEvT1_.kd
    .uniform_work_group_size: 1
    .uses_dynamic_stack: false
    .vgpr_count:     0
    .vgpr_spill_count: 0
    .wavefront_size: 64
  - .agpr_count:     0
    .args:
      - .offset:         0
        .size:           120
        .value_kind:     by_value
    .group_segment_fixed_size: 0
    .kernarg_segment_align: 8
    .kernarg_segment_size: 120
    .language:       OpenCL C
    .language_version:
      - 2
      - 0
    .max_flat_workgroup_size: 512
    .name:           _ZN7rocprim17ROCPRIM_400000_NS6detail17trampoline_kernelINS0_14default_configENS1_25partition_config_selectorILNS1_17partition_subalgoE5EiNS0_10empty_typeEbEEZZNS1_14partition_implILS5_5ELb0ES3_mPiPS6_N6thrust23THRUST_200600_302600_NS18transform_iteratorIN6dUtils5isOneIiEES9_NSC_11use_defaultESH_EENS0_5tupleIJS9_S6_EEENSJ_IJSA_SA_EEES6_PlJS6_EEE10hipError_tPvRmT3_T4_T5_T6_T7_T9_mT8_P12ihipStream_tbDpT10_ENKUlT_T0_E_clISt17integral_constantIbLb1EES15_IbLb0EEEEDaS11_S12_EUlS11_E_NS1_11comp_targetILNS1_3genE0ELNS1_11target_archE4294967295ELNS1_3gpuE0ELNS1_3repE0EEENS1_30default_config_static_selectorELNS0_4arch9wavefront6targetE1EEEvT1_
    .private_segment_fixed_size: 0
    .sgpr_count:     4
    .sgpr_spill_count: 0
    .symbol:         _ZN7rocprim17ROCPRIM_400000_NS6detail17trampoline_kernelINS0_14default_configENS1_25partition_config_selectorILNS1_17partition_subalgoE5EiNS0_10empty_typeEbEEZZNS1_14partition_implILS5_5ELb0ES3_mPiPS6_N6thrust23THRUST_200600_302600_NS18transform_iteratorIN6dUtils5isOneIiEES9_NSC_11use_defaultESH_EENS0_5tupleIJS9_S6_EEENSJ_IJSA_SA_EEES6_PlJS6_EEE10hipError_tPvRmT3_T4_T5_T6_T7_T9_mT8_P12ihipStream_tbDpT10_ENKUlT_T0_E_clISt17integral_constantIbLb1EES15_IbLb0EEEEDaS11_S12_EUlS11_E_NS1_11comp_targetILNS1_3genE0ELNS1_11target_archE4294967295ELNS1_3gpuE0ELNS1_3repE0EEENS1_30default_config_static_selectorELNS0_4arch9wavefront6targetE1EEEvT1_.kd
    .uniform_work_group_size: 1
    .uses_dynamic_stack: false
    .vgpr_count:     0
    .vgpr_spill_count: 0
    .wavefront_size: 64
  - .agpr_count:     0
    .args:
      - .offset:         0
        .size:           120
        .value_kind:     by_value
    .group_segment_fixed_size: 0
    .kernarg_segment_align: 8
    .kernarg_segment_size: 120
    .language:       OpenCL C
    .language_version:
      - 2
      - 0
    .max_flat_workgroup_size: 512
    .name:           _ZN7rocprim17ROCPRIM_400000_NS6detail17trampoline_kernelINS0_14default_configENS1_25partition_config_selectorILNS1_17partition_subalgoE5EiNS0_10empty_typeEbEEZZNS1_14partition_implILS5_5ELb0ES3_mPiPS6_N6thrust23THRUST_200600_302600_NS18transform_iteratorIN6dUtils5isOneIiEES9_NSC_11use_defaultESH_EENS0_5tupleIJS9_S6_EEENSJ_IJSA_SA_EEES6_PlJS6_EEE10hipError_tPvRmT3_T4_T5_T6_T7_T9_mT8_P12ihipStream_tbDpT10_ENKUlT_T0_E_clISt17integral_constantIbLb1EES15_IbLb0EEEEDaS11_S12_EUlS11_E_NS1_11comp_targetILNS1_3genE5ELNS1_11target_archE942ELNS1_3gpuE9ELNS1_3repE0EEENS1_30default_config_static_selectorELNS0_4arch9wavefront6targetE1EEEvT1_
    .private_segment_fixed_size: 0
    .sgpr_count:     4
    .sgpr_spill_count: 0
    .symbol:         _ZN7rocprim17ROCPRIM_400000_NS6detail17trampoline_kernelINS0_14default_configENS1_25partition_config_selectorILNS1_17partition_subalgoE5EiNS0_10empty_typeEbEEZZNS1_14partition_implILS5_5ELb0ES3_mPiPS6_N6thrust23THRUST_200600_302600_NS18transform_iteratorIN6dUtils5isOneIiEES9_NSC_11use_defaultESH_EENS0_5tupleIJS9_S6_EEENSJ_IJSA_SA_EEES6_PlJS6_EEE10hipError_tPvRmT3_T4_T5_T6_T7_T9_mT8_P12ihipStream_tbDpT10_ENKUlT_T0_E_clISt17integral_constantIbLb1EES15_IbLb0EEEEDaS11_S12_EUlS11_E_NS1_11comp_targetILNS1_3genE5ELNS1_11target_archE942ELNS1_3gpuE9ELNS1_3repE0EEENS1_30default_config_static_selectorELNS0_4arch9wavefront6targetE1EEEvT1_.kd
    .uniform_work_group_size: 1
    .uses_dynamic_stack: false
    .vgpr_count:     0
    .vgpr_spill_count: 0
    .wavefront_size: 64
  - .agpr_count:     0
    .args:
      - .offset:         0
        .size:           120
        .value_kind:     by_value
    .group_segment_fixed_size: 7184
    .kernarg_segment_align: 8
    .kernarg_segment_size: 120
    .language:       OpenCL C
    .language_version:
      - 2
      - 0
    .max_flat_workgroup_size: 256
    .name:           _ZN7rocprim17ROCPRIM_400000_NS6detail17trampoline_kernelINS0_14default_configENS1_25partition_config_selectorILNS1_17partition_subalgoE5EiNS0_10empty_typeEbEEZZNS1_14partition_implILS5_5ELb0ES3_mPiPS6_N6thrust23THRUST_200600_302600_NS18transform_iteratorIN6dUtils5isOneIiEES9_NSC_11use_defaultESH_EENS0_5tupleIJS9_S6_EEENSJ_IJSA_SA_EEES6_PlJS6_EEE10hipError_tPvRmT3_T4_T5_T6_T7_T9_mT8_P12ihipStream_tbDpT10_ENKUlT_T0_E_clISt17integral_constantIbLb1EES15_IbLb0EEEEDaS11_S12_EUlS11_E_NS1_11comp_targetILNS1_3genE4ELNS1_11target_archE910ELNS1_3gpuE8ELNS1_3repE0EEENS1_30default_config_static_selectorELNS0_4arch9wavefront6targetE1EEEvT1_
    .private_segment_fixed_size: 0
    .sgpr_count:     32
    .sgpr_spill_count: 0
    .symbol:         _ZN7rocprim17ROCPRIM_400000_NS6detail17trampoline_kernelINS0_14default_configENS1_25partition_config_selectorILNS1_17partition_subalgoE5EiNS0_10empty_typeEbEEZZNS1_14partition_implILS5_5ELb0ES3_mPiPS6_N6thrust23THRUST_200600_302600_NS18transform_iteratorIN6dUtils5isOneIiEES9_NSC_11use_defaultESH_EENS0_5tupleIJS9_S6_EEENSJ_IJSA_SA_EEES6_PlJS6_EEE10hipError_tPvRmT3_T4_T5_T6_T7_T9_mT8_P12ihipStream_tbDpT10_ENKUlT_T0_E_clISt17integral_constantIbLb1EES15_IbLb0EEEEDaS11_S12_EUlS11_E_NS1_11comp_targetILNS1_3genE4ELNS1_11target_archE910ELNS1_3gpuE8ELNS1_3repE0EEENS1_30default_config_static_selectorELNS0_4arch9wavefront6targetE1EEEvT1_.kd
    .uniform_work_group_size: 1
    .uses_dynamic_stack: false
    .vgpr_count:     56
    .vgpr_spill_count: 0
    .wavefront_size: 64
  - .agpr_count:     0
    .args:
      - .offset:         0
        .size:           120
        .value_kind:     by_value
    .group_segment_fixed_size: 0
    .kernarg_segment_align: 8
    .kernarg_segment_size: 120
    .language:       OpenCL C
    .language_version:
      - 2
      - 0
    .max_flat_workgroup_size: 512
    .name:           _ZN7rocprim17ROCPRIM_400000_NS6detail17trampoline_kernelINS0_14default_configENS1_25partition_config_selectorILNS1_17partition_subalgoE5EiNS0_10empty_typeEbEEZZNS1_14partition_implILS5_5ELb0ES3_mPiPS6_N6thrust23THRUST_200600_302600_NS18transform_iteratorIN6dUtils5isOneIiEES9_NSC_11use_defaultESH_EENS0_5tupleIJS9_S6_EEENSJ_IJSA_SA_EEES6_PlJS6_EEE10hipError_tPvRmT3_T4_T5_T6_T7_T9_mT8_P12ihipStream_tbDpT10_ENKUlT_T0_E_clISt17integral_constantIbLb1EES15_IbLb0EEEEDaS11_S12_EUlS11_E_NS1_11comp_targetILNS1_3genE3ELNS1_11target_archE908ELNS1_3gpuE7ELNS1_3repE0EEENS1_30default_config_static_selectorELNS0_4arch9wavefront6targetE1EEEvT1_
    .private_segment_fixed_size: 0
    .sgpr_count:     4
    .sgpr_spill_count: 0
    .symbol:         _ZN7rocprim17ROCPRIM_400000_NS6detail17trampoline_kernelINS0_14default_configENS1_25partition_config_selectorILNS1_17partition_subalgoE5EiNS0_10empty_typeEbEEZZNS1_14partition_implILS5_5ELb0ES3_mPiPS6_N6thrust23THRUST_200600_302600_NS18transform_iteratorIN6dUtils5isOneIiEES9_NSC_11use_defaultESH_EENS0_5tupleIJS9_S6_EEENSJ_IJSA_SA_EEES6_PlJS6_EEE10hipError_tPvRmT3_T4_T5_T6_T7_T9_mT8_P12ihipStream_tbDpT10_ENKUlT_T0_E_clISt17integral_constantIbLb1EES15_IbLb0EEEEDaS11_S12_EUlS11_E_NS1_11comp_targetILNS1_3genE3ELNS1_11target_archE908ELNS1_3gpuE7ELNS1_3repE0EEENS1_30default_config_static_selectorELNS0_4arch9wavefront6targetE1EEEvT1_.kd
    .uniform_work_group_size: 1
    .uses_dynamic_stack: false
    .vgpr_count:     0
    .vgpr_spill_count: 0
    .wavefront_size: 64
  - .agpr_count:     0
    .args:
      - .offset:         0
        .size:           120
        .value_kind:     by_value
    .group_segment_fixed_size: 0
    .kernarg_segment_align: 8
    .kernarg_segment_size: 120
    .language:       OpenCL C
    .language_version:
      - 2
      - 0
    .max_flat_workgroup_size: 256
    .name:           _ZN7rocprim17ROCPRIM_400000_NS6detail17trampoline_kernelINS0_14default_configENS1_25partition_config_selectorILNS1_17partition_subalgoE5EiNS0_10empty_typeEbEEZZNS1_14partition_implILS5_5ELb0ES3_mPiPS6_N6thrust23THRUST_200600_302600_NS18transform_iteratorIN6dUtils5isOneIiEES9_NSC_11use_defaultESH_EENS0_5tupleIJS9_S6_EEENSJ_IJSA_SA_EEES6_PlJS6_EEE10hipError_tPvRmT3_T4_T5_T6_T7_T9_mT8_P12ihipStream_tbDpT10_ENKUlT_T0_E_clISt17integral_constantIbLb1EES15_IbLb0EEEEDaS11_S12_EUlS11_E_NS1_11comp_targetILNS1_3genE2ELNS1_11target_archE906ELNS1_3gpuE6ELNS1_3repE0EEENS1_30default_config_static_selectorELNS0_4arch9wavefront6targetE1EEEvT1_
    .private_segment_fixed_size: 0
    .sgpr_count:     4
    .sgpr_spill_count: 0
    .symbol:         _ZN7rocprim17ROCPRIM_400000_NS6detail17trampoline_kernelINS0_14default_configENS1_25partition_config_selectorILNS1_17partition_subalgoE5EiNS0_10empty_typeEbEEZZNS1_14partition_implILS5_5ELb0ES3_mPiPS6_N6thrust23THRUST_200600_302600_NS18transform_iteratorIN6dUtils5isOneIiEES9_NSC_11use_defaultESH_EENS0_5tupleIJS9_S6_EEENSJ_IJSA_SA_EEES6_PlJS6_EEE10hipError_tPvRmT3_T4_T5_T6_T7_T9_mT8_P12ihipStream_tbDpT10_ENKUlT_T0_E_clISt17integral_constantIbLb1EES15_IbLb0EEEEDaS11_S12_EUlS11_E_NS1_11comp_targetILNS1_3genE2ELNS1_11target_archE906ELNS1_3gpuE6ELNS1_3repE0EEENS1_30default_config_static_selectorELNS0_4arch9wavefront6targetE1EEEvT1_.kd
    .uniform_work_group_size: 1
    .uses_dynamic_stack: false
    .vgpr_count:     0
    .vgpr_spill_count: 0
    .wavefront_size: 64
  - .agpr_count:     0
    .args:
      - .offset:         0
        .size:           120
        .value_kind:     by_value
    .group_segment_fixed_size: 0
    .kernarg_segment_align: 8
    .kernarg_segment_size: 120
    .language:       OpenCL C
    .language_version:
      - 2
      - 0
    .max_flat_workgroup_size: 192
    .name:           _ZN7rocprim17ROCPRIM_400000_NS6detail17trampoline_kernelINS0_14default_configENS1_25partition_config_selectorILNS1_17partition_subalgoE5EiNS0_10empty_typeEbEEZZNS1_14partition_implILS5_5ELb0ES3_mPiPS6_N6thrust23THRUST_200600_302600_NS18transform_iteratorIN6dUtils5isOneIiEES9_NSC_11use_defaultESH_EENS0_5tupleIJS9_S6_EEENSJ_IJSA_SA_EEES6_PlJS6_EEE10hipError_tPvRmT3_T4_T5_T6_T7_T9_mT8_P12ihipStream_tbDpT10_ENKUlT_T0_E_clISt17integral_constantIbLb1EES15_IbLb0EEEEDaS11_S12_EUlS11_E_NS1_11comp_targetILNS1_3genE10ELNS1_11target_archE1200ELNS1_3gpuE4ELNS1_3repE0EEENS1_30default_config_static_selectorELNS0_4arch9wavefront6targetE1EEEvT1_
    .private_segment_fixed_size: 0
    .sgpr_count:     4
    .sgpr_spill_count: 0
    .symbol:         _ZN7rocprim17ROCPRIM_400000_NS6detail17trampoline_kernelINS0_14default_configENS1_25partition_config_selectorILNS1_17partition_subalgoE5EiNS0_10empty_typeEbEEZZNS1_14partition_implILS5_5ELb0ES3_mPiPS6_N6thrust23THRUST_200600_302600_NS18transform_iteratorIN6dUtils5isOneIiEES9_NSC_11use_defaultESH_EENS0_5tupleIJS9_S6_EEENSJ_IJSA_SA_EEES6_PlJS6_EEE10hipError_tPvRmT3_T4_T5_T6_T7_T9_mT8_P12ihipStream_tbDpT10_ENKUlT_T0_E_clISt17integral_constantIbLb1EES15_IbLb0EEEEDaS11_S12_EUlS11_E_NS1_11comp_targetILNS1_3genE10ELNS1_11target_archE1200ELNS1_3gpuE4ELNS1_3repE0EEENS1_30default_config_static_selectorELNS0_4arch9wavefront6targetE1EEEvT1_.kd
    .uniform_work_group_size: 1
    .uses_dynamic_stack: false
    .vgpr_count:     0
    .vgpr_spill_count: 0
    .wavefront_size: 64
  - .agpr_count:     0
    .args:
      - .offset:         0
        .size:           120
        .value_kind:     by_value
    .group_segment_fixed_size: 0
    .kernarg_segment_align: 8
    .kernarg_segment_size: 120
    .language:       OpenCL C
    .language_version:
      - 2
      - 0
    .max_flat_workgroup_size: 128
    .name:           _ZN7rocprim17ROCPRIM_400000_NS6detail17trampoline_kernelINS0_14default_configENS1_25partition_config_selectorILNS1_17partition_subalgoE5EiNS0_10empty_typeEbEEZZNS1_14partition_implILS5_5ELb0ES3_mPiPS6_N6thrust23THRUST_200600_302600_NS18transform_iteratorIN6dUtils5isOneIiEES9_NSC_11use_defaultESH_EENS0_5tupleIJS9_S6_EEENSJ_IJSA_SA_EEES6_PlJS6_EEE10hipError_tPvRmT3_T4_T5_T6_T7_T9_mT8_P12ihipStream_tbDpT10_ENKUlT_T0_E_clISt17integral_constantIbLb1EES15_IbLb0EEEEDaS11_S12_EUlS11_E_NS1_11comp_targetILNS1_3genE9ELNS1_11target_archE1100ELNS1_3gpuE3ELNS1_3repE0EEENS1_30default_config_static_selectorELNS0_4arch9wavefront6targetE1EEEvT1_
    .private_segment_fixed_size: 0
    .sgpr_count:     4
    .sgpr_spill_count: 0
    .symbol:         _ZN7rocprim17ROCPRIM_400000_NS6detail17trampoline_kernelINS0_14default_configENS1_25partition_config_selectorILNS1_17partition_subalgoE5EiNS0_10empty_typeEbEEZZNS1_14partition_implILS5_5ELb0ES3_mPiPS6_N6thrust23THRUST_200600_302600_NS18transform_iteratorIN6dUtils5isOneIiEES9_NSC_11use_defaultESH_EENS0_5tupleIJS9_S6_EEENSJ_IJSA_SA_EEES6_PlJS6_EEE10hipError_tPvRmT3_T4_T5_T6_T7_T9_mT8_P12ihipStream_tbDpT10_ENKUlT_T0_E_clISt17integral_constantIbLb1EES15_IbLb0EEEEDaS11_S12_EUlS11_E_NS1_11comp_targetILNS1_3genE9ELNS1_11target_archE1100ELNS1_3gpuE3ELNS1_3repE0EEENS1_30default_config_static_selectorELNS0_4arch9wavefront6targetE1EEEvT1_.kd
    .uniform_work_group_size: 1
    .uses_dynamic_stack: false
    .vgpr_count:     0
    .vgpr_spill_count: 0
    .wavefront_size: 64
  - .agpr_count:     0
    .args:
      - .offset:         0
        .size:           120
        .value_kind:     by_value
    .group_segment_fixed_size: 0
    .kernarg_segment_align: 8
    .kernarg_segment_size: 120
    .language:       OpenCL C
    .language_version:
      - 2
      - 0
    .max_flat_workgroup_size: 512
    .name:           _ZN7rocprim17ROCPRIM_400000_NS6detail17trampoline_kernelINS0_14default_configENS1_25partition_config_selectorILNS1_17partition_subalgoE5EiNS0_10empty_typeEbEEZZNS1_14partition_implILS5_5ELb0ES3_mPiPS6_N6thrust23THRUST_200600_302600_NS18transform_iteratorIN6dUtils5isOneIiEES9_NSC_11use_defaultESH_EENS0_5tupleIJS9_S6_EEENSJ_IJSA_SA_EEES6_PlJS6_EEE10hipError_tPvRmT3_T4_T5_T6_T7_T9_mT8_P12ihipStream_tbDpT10_ENKUlT_T0_E_clISt17integral_constantIbLb1EES15_IbLb0EEEEDaS11_S12_EUlS11_E_NS1_11comp_targetILNS1_3genE8ELNS1_11target_archE1030ELNS1_3gpuE2ELNS1_3repE0EEENS1_30default_config_static_selectorELNS0_4arch9wavefront6targetE1EEEvT1_
    .private_segment_fixed_size: 0
    .sgpr_count:     4
    .sgpr_spill_count: 0
    .symbol:         _ZN7rocprim17ROCPRIM_400000_NS6detail17trampoline_kernelINS0_14default_configENS1_25partition_config_selectorILNS1_17partition_subalgoE5EiNS0_10empty_typeEbEEZZNS1_14partition_implILS5_5ELb0ES3_mPiPS6_N6thrust23THRUST_200600_302600_NS18transform_iteratorIN6dUtils5isOneIiEES9_NSC_11use_defaultESH_EENS0_5tupleIJS9_S6_EEENSJ_IJSA_SA_EEES6_PlJS6_EEE10hipError_tPvRmT3_T4_T5_T6_T7_T9_mT8_P12ihipStream_tbDpT10_ENKUlT_T0_E_clISt17integral_constantIbLb1EES15_IbLb0EEEEDaS11_S12_EUlS11_E_NS1_11comp_targetILNS1_3genE8ELNS1_11target_archE1030ELNS1_3gpuE2ELNS1_3repE0EEENS1_30default_config_static_selectorELNS0_4arch9wavefront6targetE1EEEvT1_.kd
    .uniform_work_group_size: 1
    .uses_dynamic_stack: false
    .vgpr_count:     0
    .vgpr_spill_count: 0
    .wavefront_size: 64
  - .agpr_count:     0
    .args:
      - .offset:         0
        .size:           136
        .value_kind:     by_value
    .group_segment_fixed_size: 0
    .kernarg_segment_align: 8
    .kernarg_segment_size: 136
    .language:       OpenCL C
    .language_version:
      - 2
      - 0
    .max_flat_workgroup_size: 512
    .name:           _ZN7rocprim17ROCPRIM_400000_NS6detail17trampoline_kernelINS0_14default_configENS1_25partition_config_selectorILNS1_17partition_subalgoE5EiNS0_10empty_typeEbEEZZNS1_14partition_implILS5_5ELb0ES3_mPiPS6_N6thrust23THRUST_200600_302600_NS18transform_iteratorIN6dUtils5isOneIiEES9_NSC_11use_defaultESH_EENS0_5tupleIJS9_S6_EEENSJ_IJSA_SA_EEES6_PlJS6_EEE10hipError_tPvRmT3_T4_T5_T6_T7_T9_mT8_P12ihipStream_tbDpT10_ENKUlT_T0_E_clISt17integral_constantIbLb0EES15_IbLb1EEEEDaS11_S12_EUlS11_E_NS1_11comp_targetILNS1_3genE0ELNS1_11target_archE4294967295ELNS1_3gpuE0ELNS1_3repE0EEENS1_30default_config_static_selectorELNS0_4arch9wavefront6targetE1EEEvT1_
    .private_segment_fixed_size: 0
    .sgpr_count:     4
    .sgpr_spill_count: 0
    .symbol:         _ZN7rocprim17ROCPRIM_400000_NS6detail17trampoline_kernelINS0_14default_configENS1_25partition_config_selectorILNS1_17partition_subalgoE5EiNS0_10empty_typeEbEEZZNS1_14partition_implILS5_5ELb0ES3_mPiPS6_N6thrust23THRUST_200600_302600_NS18transform_iteratorIN6dUtils5isOneIiEES9_NSC_11use_defaultESH_EENS0_5tupleIJS9_S6_EEENSJ_IJSA_SA_EEES6_PlJS6_EEE10hipError_tPvRmT3_T4_T5_T6_T7_T9_mT8_P12ihipStream_tbDpT10_ENKUlT_T0_E_clISt17integral_constantIbLb0EES15_IbLb1EEEEDaS11_S12_EUlS11_E_NS1_11comp_targetILNS1_3genE0ELNS1_11target_archE4294967295ELNS1_3gpuE0ELNS1_3repE0EEENS1_30default_config_static_selectorELNS0_4arch9wavefront6targetE1EEEvT1_.kd
    .uniform_work_group_size: 1
    .uses_dynamic_stack: false
    .vgpr_count:     0
    .vgpr_spill_count: 0
    .wavefront_size: 64
  - .agpr_count:     0
    .args:
      - .offset:         0
        .size:           136
        .value_kind:     by_value
    .group_segment_fixed_size: 0
    .kernarg_segment_align: 8
    .kernarg_segment_size: 136
    .language:       OpenCL C
    .language_version:
      - 2
      - 0
    .max_flat_workgroup_size: 512
    .name:           _ZN7rocprim17ROCPRIM_400000_NS6detail17trampoline_kernelINS0_14default_configENS1_25partition_config_selectorILNS1_17partition_subalgoE5EiNS0_10empty_typeEbEEZZNS1_14partition_implILS5_5ELb0ES3_mPiPS6_N6thrust23THRUST_200600_302600_NS18transform_iteratorIN6dUtils5isOneIiEES9_NSC_11use_defaultESH_EENS0_5tupleIJS9_S6_EEENSJ_IJSA_SA_EEES6_PlJS6_EEE10hipError_tPvRmT3_T4_T5_T6_T7_T9_mT8_P12ihipStream_tbDpT10_ENKUlT_T0_E_clISt17integral_constantIbLb0EES15_IbLb1EEEEDaS11_S12_EUlS11_E_NS1_11comp_targetILNS1_3genE5ELNS1_11target_archE942ELNS1_3gpuE9ELNS1_3repE0EEENS1_30default_config_static_selectorELNS0_4arch9wavefront6targetE1EEEvT1_
    .private_segment_fixed_size: 0
    .sgpr_count:     4
    .sgpr_spill_count: 0
    .symbol:         _ZN7rocprim17ROCPRIM_400000_NS6detail17trampoline_kernelINS0_14default_configENS1_25partition_config_selectorILNS1_17partition_subalgoE5EiNS0_10empty_typeEbEEZZNS1_14partition_implILS5_5ELb0ES3_mPiPS6_N6thrust23THRUST_200600_302600_NS18transform_iteratorIN6dUtils5isOneIiEES9_NSC_11use_defaultESH_EENS0_5tupleIJS9_S6_EEENSJ_IJSA_SA_EEES6_PlJS6_EEE10hipError_tPvRmT3_T4_T5_T6_T7_T9_mT8_P12ihipStream_tbDpT10_ENKUlT_T0_E_clISt17integral_constantIbLb0EES15_IbLb1EEEEDaS11_S12_EUlS11_E_NS1_11comp_targetILNS1_3genE5ELNS1_11target_archE942ELNS1_3gpuE9ELNS1_3repE0EEENS1_30default_config_static_selectorELNS0_4arch9wavefront6targetE1EEEvT1_.kd
    .uniform_work_group_size: 1
    .uses_dynamic_stack: false
    .vgpr_count:     0
    .vgpr_spill_count: 0
    .wavefront_size: 64
  - .agpr_count:     0
    .args:
      - .offset:         0
        .size:           136
        .value_kind:     by_value
    .group_segment_fixed_size: 7184
    .kernarg_segment_align: 8
    .kernarg_segment_size: 136
    .language:       OpenCL C
    .language_version:
      - 2
      - 0
    .max_flat_workgroup_size: 256
    .name:           _ZN7rocprim17ROCPRIM_400000_NS6detail17trampoline_kernelINS0_14default_configENS1_25partition_config_selectorILNS1_17partition_subalgoE5EiNS0_10empty_typeEbEEZZNS1_14partition_implILS5_5ELb0ES3_mPiPS6_N6thrust23THRUST_200600_302600_NS18transform_iteratorIN6dUtils5isOneIiEES9_NSC_11use_defaultESH_EENS0_5tupleIJS9_S6_EEENSJ_IJSA_SA_EEES6_PlJS6_EEE10hipError_tPvRmT3_T4_T5_T6_T7_T9_mT8_P12ihipStream_tbDpT10_ENKUlT_T0_E_clISt17integral_constantIbLb0EES15_IbLb1EEEEDaS11_S12_EUlS11_E_NS1_11comp_targetILNS1_3genE4ELNS1_11target_archE910ELNS1_3gpuE8ELNS1_3repE0EEENS1_30default_config_static_selectorELNS0_4arch9wavefront6targetE1EEEvT1_
    .private_segment_fixed_size: 0
    .sgpr_count:     32
    .sgpr_spill_count: 0
    .symbol:         _ZN7rocprim17ROCPRIM_400000_NS6detail17trampoline_kernelINS0_14default_configENS1_25partition_config_selectorILNS1_17partition_subalgoE5EiNS0_10empty_typeEbEEZZNS1_14partition_implILS5_5ELb0ES3_mPiPS6_N6thrust23THRUST_200600_302600_NS18transform_iteratorIN6dUtils5isOneIiEES9_NSC_11use_defaultESH_EENS0_5tupleIJS9_S6_EEENSJ_IJSA_SA_EEES6_PlJS6_EEE10hipError_tPvRmT3_T4_T5_T6_T7_T9_mT8_P12ihipStream_tbDpT10_ENKUlT_T0_E_clISt17integral_constantIbLb0EES15_IbLb1EEEEDaS11_S12_EUlS11_E_NS1_11comp_targetILNS1_3genE4ELNS1_11target_archE910ELNS1_3gpuE8ELNS1_3repE0EEENS1_30default_config_static_selectorELNS0_4arch9wavefront6targetE1EEEvT1_.kd
    .uniform_work_group_size: 1
    .uses_dynamic_stack: false
    .vgpr_count:     58
    .vgpr_spill_count: 0
    .wavefront_size: 64
  - .agpr_count:     0
    .args:
      - .offset:         0
        .size:           136
        .value_kind:     by_value
    .group_segment_fixed_size: 0
    .kernarg_segment_align: 8
    .kernarg_segment_size: 136
    .language:       OpenCL C
    .language_version:
      - 2
      - 0
    .max_flat_workgroup_size: 512
    .name:           _ZN7rocprim17ROCPRIM_400000_NS6detail17trampoline_kernelINS0_14default_configENS1_25partition_config_selectorILNS1_17partition_subalgoE5EiNS0_10empty_typeEbEEZZNS1_14partition_implILS5_5ELb0ES3_mPiPS6_N6thrust23THRUST_200600_302600_NS18transform_iteratorIN6dUtils5isOneIiEES9_NSC_11use_defaultESH_EENS0_5tupleIJS9_S6_EEENSJ_IJSA_SA_EEES6_PlJS6_EEE10hipError_tPvRmT3_T4_T5_T6_T7_T9_mT8_P12ihipStream_tbDpT10_ENKUlT_T0_E_clISt17integral_constantIbLb0EES15_IbLb1EEEEDaS11_S12_EUlS11_E_NS1_11comp_targetILNS1_3genE3ELNS1_11target_archE908ELNS1_3gpuE7ELNS1_3repE0EEENS1_30default_config_static_selectorELNS0_4arch9wavefront6targetE1EEEvT1_
    .private_segment_fixed_size: 0
    .sgpr_count:     4
    .sgpr_spill_count: 0
    .symbol:         _ZN7rocprim17ROCPRIM_400000_NS6detail17trampoline_kernelINS0_14default_configENS1_25partition_config_selectorILNS1_17partition_subalgoE5EiNS0_10empty_typeEbEEZZNS1_14partition_implILS5_5ELb0ES3_mPiPS6_N6thrust23THRUST_200600_302600_NS18transform_iteratorIN6dUtils5isOneIiEES9_NSC_11use_defaultESH_EENS0_5tupleIJS9_S6_EEENSJ_IJSA_SA_EEES6_PlJS6_EEE10hipError_tPvRmT3_T4_T5_T6_T7_T9_mT8_P12ihipStream_tbDpT10_ENKUlT_T0_E_clISt17integral_constantIbLb0EES15_IbLb1EEEEDaS11_S12_EUlS11_E_NS1_11comp_targetILNS1_3genE3ELNS1_11target_archE908ELNS1_3gpuE7ELNS1_3repE0EEENS1_30default_config_static_selectorELNS0_4arch9wavefront6targetE1EEEvT1_.kd
    .uniform_work_group_size: 1
    .uses_dynamic_stack: false
    .vgpr_count:     0
    .vgpr_spill_count: 0
    .wavefront_size: 64
  - .agpr_count:     0
    .args:
      - .offset:         0
        .size:           136
        .value_kind:     by_value
    .group_segment_fixed_size: 0
    .kernarg_segment_align: 8
    .kernarg_segment_size: 136
    .language:       OpenCL C
    .language_version:
      - 2
      - 0
    .max_flat_workgroup_size: 256
    .name:           _ZN7rocprim17ROCPRIM_400000_NS6detail17trampoline_kernelINS0_14default_configENS1_25partition_config_selectorILNS1_17partition_subalgoE5EiNS0_10empty_typeEbEEZZNS1_14partition_implILS5_5ELb0ES3_mPiPS6_N6thrust23THRUST_200600_302600_NS18transform_iteratorIN6dUtils5isOneIiEES9_NSC_11use_defaultESH_EENS0_5tupleIJS9_S6_EEENSJ_IJSA_SA_EEES6_PlJS6_EEE10hipError_tPvRmT3_T4_T5_T6_T7_T9_mT8_P12ihipStream_tbDpT10_ENKUlT_T0_E_clISt17integral_constantIbLb0EES15_IbLb1EEEEDaS11_S12_EUlS11_E_NS1_11comp_targetILNS1_3genE2ELNS1_11target_archE906ELNS1_3gpuE6ELNS1_3repE0EEENS1_30default_config_static_selectorELNS0_4arch9wavefront6targetE1EEEvT1_
    .private_segment_fixed_size: 0
    .sgpr_count:     4
    .sgpr_spill_count: 0
    .symbol:         _ZN7rocprim17ROCPRIM_400000_NS6detail17trampoline_kernelINS0_14default_configENS1_25partition_config_selectorILNS1_17partition_subalgoE5EiNS0_10empty_typeEbEEZZNS1_14partition_implILS5_5ELb0ES3_mPiPS6_N6thrust23THRUST_200600_302600_NS18transform_iteratorIN6dUtils5isOneIiEES9_NSC_11use_defaultESH_EENS0_5tupleIJS9_S6_EEENSJ_IJSA_SA_EEES6_PlJS6_EEE10hipError_tPvRmT3_T4_T5_T6_T7_T9_mT8_P12ihipStream_tbDpT10_ENKUlT_T0_E_clISt17integral_constantIbLb0EES15_IbLb1EEEEDaS11_S12_EUlS11_E_NS1_11comp_targetILNS1_3genE2ELNS1_11target_archE906ELNS1_3gpuE6ELNS1_3repE0EEENS1_30default_config_static_selectorELNS0_4arch9wavefront6targetE1EEEvT1_.kd
    .uniform_work_group_size: 1
    .uses_dynamic_stack: false
    .vgpr_count:     0
    .vgpr_spill_count: 0
    .wavefront_size: 64
  - .agpr_count:     0
    .args:
      - .offset:         0
        .size:           136
        .value_kind:     by_value
    .group_segment_fixed_size: 0
    .kernarg_segment_align: 8
    .kernarg_segment_size: 136
    .language:       OpenCL C
    .language_version:
      - 2
      - 0
    .max_flat_workgroup_size: 192
    .name:           _ZN7rocprim17ROCPRIM_400000_NS6detail17trampoline_kernelINS0_14default_configENS1_25partition_config_selectorILNS1_17partition_subalgoE5EiNS0_10empty_typeEbEEZZNS1_14partition_implILS5_5ELb0ES3_mPiPS6_N6thrust23THRUST_200600_302600_NS18transform_iteratorIN6dUtils5isOneIiEES9_NSC_11use_defaultESH_EENS0_5tupleIJS9_S6_EEENSJ_IJSA_SA_EEES6_PlJS6_EEE10hipError_tPvRmT3_T4_T5_T6_T7_T9_mT8_P12ihipStream_tbDpT10_ENKUlT_T0_E_clISt17integral_constantIbLb0EES15_IbLb1EEEEDaS11_S12_EUlS11_E_NS1_11comp_targetILNS1_3genE10ELNS1_11target_archE1200ELNS1_3gpuE4ELNS1_3repE0EEENS1_30default_config_static_selectorELNS0_4arch9wavefront6targetE1EEEvT1_
    .private_segment_fixed_size: 0
    .sgpr_count:     4
    .sgpr_spill_count: 0
    .symbol:         _ZN7rocprim17ROCPRIM_400000_NS6detail17trampoline_kernelINS0_14default_configENS1_25partition_config_selectorILNS1_17partition_subalgoE5EiNS0_10empty_typeEbEEZZNS1_14partition_implILS5_5ELb0ES3_mPiPS6_N6thrust23THRUST_200600_302600_NS18transform_iteratorIN6dUtils5isOneIiEES9_NSC_11use_defaultESH_EENS0_5tupleIJS9_S6_EEENSJ_IJSA_SA_EEES6_PlJS6_EEE10hipError_tPvRmT3_T4_T5_T6_T7_T9_mT8_P12ihipStream_tbDpT10_ENKUlT_T0_E_clISt17integral_constantIbLb0EES15_IbLb1EEEEDaS11_S12_EUlS11_E_NS1_11comp_targetILNS1_3genE10ELNS1_11target_archE1200ELNS1_3gpuE4ELNS1_3repE0EEENS1_30default_config_static_selectorELNS0_4arch9wavefront6targetE1EEEvT1_.kd
    .uniform_work_group_size: 1
    .uses_dynamic_stack: false
    .vgpr_count:     0
    .vgpr_spill_count: 0
    .wavefront_size: 64
  - .agpr_count:     0
    .args:
      - .offset:         0
        .size:           136
        .value_kind:     by_value
    .group_segment_fixed_size: 0
    .kernarg_segment_align: 8
    .kernarg_segment_size: 136
    .language:       OpenCL C
    .language_version:
      - 2
      - 0
    .max_flat_workgroup_size: 128
    .name:           _ZN7rocprim17ROCPRIM_400000_NS6detail17trampoline_kernelINS0_14default_configENS1_25partition_config_selectorILNS1_17partition_subalgoE5EiNS0_10empty_typeEbEEZZNS1_14partition_implILS5_5ELb0ES3_mPiPS6_N6thrust23THRUST_200600_302600_NS18transform_iteratorIN6dUtils5isOneIiEES9_NSC_11use_defaultESH_EENS0_5tupleIJS9_S6_EEENSJ_IJSA_SA_EEES6_PlJS6_EEE10hipError_tPvRmT3_T4_T5_T6_T7_T9_mT8_P12ihipStream_tbDpT10_ENKUlT_T0_E_clISt17integral_constantIbLb0EES15_IbLb1EEEEDaS11_S12_EUlS11_E_NS1_11comp_targetILNS1_3genE9ELNS1_11target_archE1100ELNS1_3gpuE3ELNS1_3repE0EEENS1_30default_config_static_selectorELNS0_4arch9wavefront6targetE1EEEvT1_
    .private_segment_fixed_size: 0
    .sgpr_count:     4
    .sgpr_spill_count: 0
    .symbol:         _ZN7rocprim17ROCPRIM_400000_NS6detail17trampoline_kernelINS0_14default_configENS1_25partition_config_selectorILNS1_17partition_subalgoE5EiNS0_10empty_typeEbEEZZNS1_14partition_implILS5_5ELb0ES3_mPiPS6_N6thrust23THRUST_200600_302600_NS18transform_iteratorIN6dUtils5isOneIiEES9_NSC_11use_defaultESH_EENS0_5tupleIJS9_S6_EEENSJ_IJSA_SA_EEES6_PlJS6_EEE10hipError_tPvRmT3_T4_T5_T6_T7_T9_mT8_P12ihipStream_tbDpT10_ENKUlT_T0_E_clISt17integral_constantIbLb0EES15_IbLb1EEEEDaS11_S12_EUlS11_E_NS1_11comp_targetILNS1_3genE9ELNS1_11target_archE1100ELNS1_3gpuE3ELNS1_3repE0EEENS1_30default_config_static_selectorELNS0_4arch9wavefront6targetE1EEEvT1_.kd
    .uniform_work_group_size: 1
    .uses_dynamic_stack: false
    .vgpr_count:     0
    .vgpr_spill_count: 0
    .wavefront_size: 64
  - .agpr_count:     0
    .args:
      - .offset:         0
        .size:           136
        .value_kind:     by_value
    .group_segment_fixed_size: 0
    .kernarg_segment_align: 8
    .kernarg_segment_size: 136
    .language:       OpenCL C
    .language_version:
      - 2
      - 0
    .max_flat_workgroup_size: 512
    .name:           _ZN7rocprim17ROCPRIM_400000_NS6detail17trampoline_kernelINS0_14default_configENS1_25partition_config_selectorILNS1_17partition_subalgoE5EiNS0_10empty_typeEbEEZZNS1_14partition_implILS5_5ELb0ES3_mPiPS6_N6thrust23THRUST_200600_302600_NS18transform_iteratorIN6dUtils5isOneIiEES9_NSC_11use_defaultESH_EENS0_5tupleIJS9_S6_EEENSJ_IJSA_SA_EEES6_PlJS6_EEE10hipError_tPvRmT3_T4_T5_T6_T7_T9_mT8_P12ihipStream_tbDpT10_ENKUlT_T0_E_clISt17integral_constantIbLb0EES15_IbLb1EEEEDaS11_S12_EUlS11_E_NS1_11comp_targetILNS1_3genE8ELNS1_11target_archE1030ELNS1_3gpuE2ELNS1_3repE0EEENS1_30default_config_static_selectorELNS0_4arch9wavefront6targetE1EEEvT1_
    .private_segment_fixed_size: 0
    .sgpr_count:     4
    .sgpr_spill_count: 0
    .symbol:         _ZN7rocprim17ROCPRIM_400000_NS6detail17trampoline_kernelINS0_14default_configENS1_25partition_config_selectorILNS1_17partition_subalgoE5EiNS0_10empty_typeEbEEZZNS1_14partition_implILS5_5ELb0ES3_mPiPS6_N6thrust23THRUST_200600_302600_NS18transform_iteratorIN6dUtils5isOneIiEES9_NSC_11use_defaultESH_EENS0_5tupleIJS9_S6_EEENSJ_IJSA_SA_EEES6_PlJS6_EEE10hipError_tPvRmT3_T4_T5_T6_T7_T9_mT8_P12ihipStream_tbDpT10_ENKUlT_T0_E_clISt17integral_constantIbLb0EES15_IbLb1EEEEDaS11_S12_EUlS11_E_NS1_11comp_targetILNS1_3genE8ELNS1_11target_archE1030ELNS1_3gpuE2ELNS1_3repE0EEENS1_30default_config_static_selectorELNS0_4arch9wavefront6targetE1EEEvT1_.kd
    .uniform_work_group_size: 1
    .uses_dynamic_stack: false
    .vgpr_count:     0
    .vgpr_spill_count: 0
    .wavefront_size: 64
  - .agpr_count:     0
    .args:
      - .offset:         0
        .size:           72
        .value_kind:     by_value
    .group_segment_fixed_size: 0
    .kernarg_segment_align: 8
    .kernarg_segment_size: 72
    .language:       OpenCL C
    .language_version:
      - 2
      - 0
    .max_flat_workgroup_size: 128
    .name:           _ZN7rocprim17ROCPRIM_400000_NS6detail17trampoline_kernelINS0_14default_configENS1_22reduce_config_selectorIN6thrust23THRUST_200600_302600_NS5tupleIilNS6_9null_typeES8_S8_S8_S8_S8_S8_S8_EEEEZNS1_11reduce_implILb0ES3_PS9_SC_S9_NS6_11hip_rocprim9__extrema9arg_max_fIilNS6_4lessIiEEEEEE10hipError_tPvRmT1_T2_T3_mT4_P12ihipStream_tbEUlT_E0_NS1_11comp_targetILNS1_3genE0ELNS1_11target_archE4294967295ELNS1_3gpuE0ELNS1_3repE0EEENS1_30default_config_static_selectorELNS0_4arch9wavefront6targetE1EEEvSM_
    .private_segment_fixed_size: 0
    .sgpr_count:     4
    .sgpr_spill_count: 0
    .symbol:         _ZN7rocprim17ROCPRIM_400000_NS6detail17trampoline_kernelINS0_14default_configENS1_22reduce_config_selectorIN6thrust23THRUST_200600_302600_NS5tupleIilNS6_9null_typeES8_S8_S8_S8_S8_S8_S8_EEEEZNS1_11reduce_implILb0ES3_PS9_SC_S9_NS6_11hip_rocprim9__extrema9arg_max_fIilNS6_4lessIiEEEEEE10hipError_tPvRmT1_T2_T3_mT4_P12ihipStream_tbEUlT_E0_NS1_11comp_targetILNS1_3genE0ELNS1_11target_archE4294967295ELNS1_3gpuE0ELNS1_3repE0EEENS1_30default_config_static_selectorELNS0_4arch9wavefront6targetE1EEEvSM_.kd
    .uniform_work_group_size: 1
    .uses_dynamic_stack: false
    .vgpr_count:     0
    .vgpr_spill_count: 0
    .wavefront_size: 64
  - .agpr_count:     0
    .args:
      - .offset:         0
        .size:           72
        .value_kind:     by_value
    .group_segment_fixed_size: 0
    .kernarg_segment_align: 8
    .kernarg_segment_size: 72
    .language:       OpenCL C
    .language_version:
      - 2
      - 0
    .max_flat_workgroup_size: 256
    .name:           _ZN7rocprim17ROCPRIM_400000_NS6detail17trampoline_kernelINS0_14default_configENS1_22reduce_config_selectorIN6thrust23THRUST_200600_302600_NS5tupleIilNS6_9null_typeES8_S8_S8_S8_S8_S8_S8_EEEEZNS1_11reduce_implILb0ES3_PS9_SC_S9_NS6_11hip_rocprim9__extrema9arg_max_fIilNS6_4lessIiEEEEEE10hipError_tPvRmT1_T2_T3_mT4_P12ihipStream_tbEUlT_E0_NS1_11comp_targetILNS1_3genE5ELNS1_11target_archE942ELNS1_3gpuE9ELNS1_3repE0EEENS1_30default_config_static_selectorELNS0_4arch9wavefront6targetE1EEEvSM_
    .private_segment_fixed_size: 0
    .sgpr_count:     4
    .sgpr_spill_count: 0
    .symbol:         _ZN7rocprim17ROCPRIM_400000_NS6detail17trampoline_kernelINS0_14default_configENS1_22reduce_config_selectorIN6thrust23THRUST_200600_302600_NS5tupleIilNS6_9null_typeES8_S8_S8_S8_S8_S8_S8_EEEEZNS1_11reduce_implILb0ES3_PS9_SC_S9_NS6_11hip_rocprim9__extrema9arg_max_fIilNS6_4lessIiEEEEEE10hipError_tPvRmT1_T2_T3_mT4_P12ihipStream_tbEUlT_E0_NS1_11comp_targetILNS1_3genE5ELNS1_11target_archE942ELNS1_3gpuE9ELNS1_3repE0EEENS1_30default_config_static_selectorELNS0_4arch9wavefront6targetE1EEEvSM_.kd
    .uniform_work_group_size: 1
    .uses_dynamic_stack: false
    .vgpr_count:     0
    .vgpr_spill_count: 0
    .wavefront_size: 64
  - .agpr_count:     0
    .args:
      - .offset:         0
        .size:           72
        .value_kind:     by_value
    .group_segment_fixed_size: 128
    .kernarg_segment_align: 8
    .kernarg_segment_size: 72
    .language:       OpenCL C
    .language_version:
      - 2
      - 0
    .max_flat_workgroup_size: 256
    .name:           _ZN7rocprim17ROCPRIM_400000_NS6detail17trampoline_kernelINS0_14default_configENS1_22reduce_config_selectorIN6thrust23THRUST_200600_302600_NS5tupleIilNS6_9null_typeES8_S8_S8_S8_S8_S8_S8_EEEEZNS1_11reduce_implILb0ES3_PS9_SC_S9_NS6_11hip_rocprim9__extrema9arg_max_fIilNS6_4lessIiEEEEEE10hipError_tPvRmT1_T2_T3_mT4_P12ihipStream_tbEUlT_E0_NS1_11comp_targetILNS1_3genE4ELNS1_11target_archE910ELNS1_3gpuE8ELNS1_3repE0EEENS1_30default_config_static_selectorELNS0_4arch9wavefront6targetE1EEEvSM_
    .private_segment_fixed_size: 0
    .sgpr_count:     24
    .sgpr_spill_count: 0
    .symbol:         _ZN7rocprim17ROCPRIM_400000_NS6detail17trampoline_kernelINS0_14default_configENS1_22reduce_config_selectorIN6thrust23THRUST_200600_302600_NS5tupleIilNS6_9null_typeES8_S8_S8_S8_S8_S8_S8_EEEEZNS1_11reduce_implILb0ES3_PS9_SC_S9_NS6_11hip_rocprim9__extrema9arg_max_fIilNS6_4lessIiEEEEEE10hipError_tPvRmT1_T2_T3_mT4_P12ihipStream_tbEUlT_E0_NS1_11comp_targetILNS1_3genE4ELNS1_11target_archE910ELNS1_3gpuE8ELNS1_3repE0EEENS1_30default_config_static_selectorELNS0_4arch9wavefront6targetE1EEEvSM_.kd
    .uniform_work_group_size: 1
    .uses_dynamic_stack: false
    .vgpr_count:     11
    .vgpr_spill_count: 0
    .wavefront_size: 64
  - .agpr_count:     0
    .args:
      - .offset:         0
        .size:           72
        .value_kind:     by_value
    .group_segment_fixed_size: 0
    .kernarg_segment_align: 8
    .kernarg_segment_size: 72
    .language:       OpenCL C
    .language_version:
      - 2
      - 0
    .max_flat_workgroup_size: 128
    .name:           _ZN7rocprim17ROCPRIM_400000_NS6detail17trampoline_kernelINS0_14default_configENS1_22reduce_config_selectorIN6thrust23THRUST_200600_302600_NS5tupleIilNS6_9null_typeES8_S8_S8_S8_S8_S8_S8_EEEEZNS1_11reduce_implILb0ES3_PS9_SC_S9_NS6_11hip_rocprim9__extrema9arg_max_fIilNS6_4lessIiEEEEEE10hipError_tPvRmT1_T2_T3_mT4_P12ihipStream_tbEUlT_E0_NS1_11comp_targetILNS1_3genE3ELNS1_11target_archE908ELNS1_3gpuE7ELNS1_3repE0EEENS1_30default_config_static_selectorELNS0_4arch9wavefront6targetE1EEEvSM_
    .private_segment_fixed_size: 0
    .sgpr_count:     4
    .sgpr_spill_count: 0
    .symbol:         _ZN7rocprim17ROCPRIM_400000_NS6detail17trampoline_kernelINS0_14default_configENS1_22reduce_config_selectorIN6thrust23THRUST_200600_302600_NS5tupleIilNS6_9null_typeES8_S8_S8_S8_S8_S8_S8_EEEEZNS1_11reduce_implILb0ES3_PS9_SC_S9_NS6_11hip_rocprim9__extrema9arg_max_fIilNS6_4lessIiEEEEEE10hipError_tPvRmT1_T2_T3_mT4_P12ihipStream_tbEUlT_E0_NS1_11comp_targetILNS1_3genE3ELNS1_11target_archE908ELNS1_3gpuE7ELNS1_3repE0EEENS1_30default_config_static_selectorELNS0_4arch9wavefront6targetE1EEEvSM_.kd
    .uniform_work_group_size: 1
    .uses_dynamic_stack: false
    .vgpr_count:     0
    .vgpr_spill_count: 0
    .wavefront_size: 64
  - .agpr_count:     0
    .args:
      - .offset:         0
        .size:           72
        .value_kind:     by_value
    .group_segment_fixed_size: 0
    .kernarg_segment_align: 8
    .kernarg_segment_size: 72
    .language:       OpenCL C
    .language_version:
      - 2
      - 0
    .max_flat_workgroup_size: 128
    .name:           _ZN7rocprim17ROCPRIM_400000_NS6detail17trampoline_kernelINS0_14default_configENS1_22reduce_config_selectorIN6thrust23THRUST_200600_302600_NS5tupleIilNS6_9null_typeES8_S8_S8_S8_S8_S8_S8_EEEEZNS1_11reduce_implILb0ES3_PS9_SC_S9_NS6_11hip_rocprim9__extrema9arg_max_fIilNS6_4lessIiEEEEEE10hipError_tPvRmT1_T2_T3_mT4_P12ihipStream_tbEUlT_E0_NS1_11comp_targetILNS1_3genE2ELNS1_11target_archE906ELNS1_3gpuE6ELNS1_3repE0EEENS1_30default_config_static_selectorELNS0_4arch9wavefront6targetE1EEEvSM_
    .private_segment_fixed_size: 0
    .sgpr_count:     4
    .sgpr_spill_count: 0
    .symbol:         _ZN7rocprim17ROCPRIM_400000_NS6detail17trampoline_kernelINS0_14default_configENS1_22reduce_config_selectorIN6thrust23THRUST_200600_302600_NS5tupleIilNS6_9null_typeES8_S8_S8_S8_S8_S8_S8_EEEEZNS1_11reduce_implILb0ES3_PS9_SC_S9_NS6_11hip_rocprim9__extrema9arg_max_fIilNS6_4lessIiEEEEEE10hipError_tPvRmT1_T2_T3_mT4_P12ihipStream_tbEUlT_E0_NS1_11comp_targetILNS1_3genE2ELNS1_11target_archE906ELNS1_3gpuE6ELNS1_3repE0EEENS1_30default_config_static_selectorELNS0_4arch9wavefront6targetE1EEEvSM_.kd
    .uniform_work_group_size: 1
    .uses_dynamic_stack: false
    .vgpr_count:     0
    .vgpr_spill_count: 0
    .wavefront_size: 64
  - .agpr_count:     0
    .args:
      - .offset:         0
        .size:           72
        .value_kind:     by_value
    .group_segment_fixed_size: 0
    .kernarg_segment_align: 8
    .kernarg_segment_size: 72
    .language:       OpenCL C
    .language_version:
      - 2
      - 0
    .max_flat_workgroup_size: 256
    .name:           _ZN7rocprim17ROCPRIM_400000_NS6detail17trampoline_kernelINS0_14default_configENS1_22reduce_config_selectorIN6thrust23THRUST_200600_302600_NS5tupleIilNS6_9null_typeES8_S8_S8_S8_S8_S8_S8_EEEEZNS1_11reduce_implILb0ES3_PS9_SC_S9_NS6_11hip_rocprim9__extrema9arg_max_fIilNS6_4lessIiEEEEEE10hipError_tPvRmT1_T2_T3_mT4_P12ihipStream_tbEUlT_E0_NS1_11comp_targetILNS1_3genE10ELNS1_11target_archE1201ELNS1_3gpuE5ELNS1_3repE0EEENS1_30default_config_static_selectorELNS0_4arch9wavefront6targetE1EEEvSM_
    .private_segment_fixed_size: 0
    .sgpr_count:     4
    .sgpr_spill_count: 0
    .symbol:         _ZN7rocprim17ROCPRIM_400000_NS6detail17trampoline_kernelINS0_14default_configENS1_22reduce_config_selectorIN6thrust23THRUST_200600_302600_NS5tupleIilNS6_9null_typeES8_S8_S8_S8_S8_S8_S8_EEEEZNS1_11reduce_implILb0ES3_PS9_SC_S9_NS6_11hip_rocprim9__extrema9arg_max_fIilNS6_4lessIiEEEEEE10hipError_tPvRmT1_T2_T3_mT4_P12ihipStream_tbEUlT_E0_NS1_11comp_targetILNS1_3genE10ELNS1_11target_archE1201ELNS1_3gpuE5ELNS1_3repE0EEENS1_30default_config_static_selectorELNS0_4arch9wavefront6targetE1EEEvSM_.kd
    .uniform_work_group_size: 1
    .uses_dynamic_stack: false
    .vgpr_count:     0
    .vgpr_spill_count: 0
    .wavefront_size: 64
  - .agpr_count:     0
    .args:
      - .offset:         0
        .size:           72
        .value_kind:     by_value
    .group_segment_fixed_size: 0
    .kernarg_segment_align: 8
    .kernarg_segment_size: 72
    .language:       OpenCL C
    .language_version:
      - 2
      - 0
    .max_flat_workgroup_size: 256
    .name:           _ZN7rocprim17ROCPRIM_400000_NS6detail17trampoline_kernelINS0_14default_configENS1_22reduce_config_selectorIN6thrust23THRUST_200600_302600_NS5tupleIilNS6_9null_typeES8_S8_S8_S8_S8_S8_S8_EEEEZNS1_11reduce_implILb0ES3_PS9_SC_S9_NS6_11hip_rocprim9__extrema9arg_max_fIilNS6_4lessIiEEEEEE10hipError_tPvRmT1_T2_T3_mT4_P12ihipStream_tbEUlT_E0_NS1_11comp_targetILNS1_3genE10ELNS1_11target_archE1200ELNS1_3gpuE4ELNS1_3repE0EEENS1_30default_config_static_selectorELNS0_4arch9wavefront6targetE1EEEvSM_
    .private_segment_fixed_size: 0
    .sgpr_count:     4
    .sgpr_spill_count: 0
    .symbol:         _ZN7rocprim17ROCPRIM_400000_NS6detail17trampoline_kernelINS0_14default_configENS1_22reduce_config_selectorIN6thrust23THRUST_200600_302600_NS5tupleIilNS6_9null_typeES8_S8_S8_S8_S8_S8_S8_EEEEZNS1_11reduce_implILb0ES3_PS9_SC_S9_NS6_11hip_rocprim9__extrema9arg_max_fIilNS6_4lessIiEEEEEE10hipError_tPvRmT1_T2_T3_mT4_P12ihipStream_tbEUlT_E0_NS1_11comp_targetILNS1_3genE10ELNS1_11target_archE1200ELNS1_3gpuE4ELNS1_3repE0EEENS1_30default_config_static_selectorELNS0_4arch9wavefront6targetE1EEEvSM_.kd
    .uniform_work_group_size: 1
    .uses_dynamic_stack: false
    .vgpr_count:     0
    .vgpr_spill_count: 0
    .wavefront_size: 64
  - .agpr_count:     0
    .args:
      - .offset:         0
        .size:           72
        .value_kind:     by_value
    .group_segment_fixed_size: 0
    .kernarg_segment_align: 8
    .kernarg_segment_size: 72
    .language:       OpenCL C
    .language_version:
      - 2
      - 0
    .max_flat_workgroup_size: 256
    .name:           _ZN7rocprim17ROCPRIM_400000_NS6detail17trampoline_kernelINS0_14default_configENS1_22reduce_config_selectorIN6thrust23THRUST_200600_302600_NS5tupleIilNS6_9null_typeES8_S8_S8_S8_S8_S8_S8_EEEEZNS1_11reduce_implILb0ES3_PS9_SC_S9_NS6_11hip_rocprim9__extrema9arg_max_fIilNS6_4lessIiEEEEEE10hipError_tPvRmT1_T2_T3_mT4_P12ihipStream_tbEUlT_E0_NS1_11comp_targetILNS1_3genE9ELNS1_11target_archE1100ELNS1_3gpuE3ELNS1_3repE0EEENS1_30default_config_static_selectorELNS0_4arch9wavefront6targetE1EEEvSM_
    .private_segment_fixed_size: 0
    .sgpr_count:     4
    .sgpr_spill_count: 0
    .symbol:         _ZN7rocprim17ROCPRIM_400000_NS6detail17trampoline_kernelINS0_14default_configENS1_22reduce_config_selectorIN6thrust23THRUST_200600_302600_NS5tupleIilNS6_9null_typeES8_S8_S8_S8_S8_S8_S8_EEEEZNS1_11reduce_implILb0ES3_PS9_SC_S9_NS6_11hip_rocprim9__extrema9arg_max_fIilNS6_4lessIiEEEEEE10hipError_tPvRmT1_T2_T3_mT4_P12ihipStream_tbEUlT_E0_NS1_11comp_targetILNS1_3genE9ELNS1_11target_archE1100ELNS1_3gpuE3ELNS1_3repE0EEENS1_30default_config_static_selectorELNS0_4arch9wavefront6targetE1EEEvSM_.kd
    .uniform_work_group_size: 1
    .uses_dynamic_stack: false
    .vgpr_count:     0
    .vgpr_spill_count: 0
    .wavefront_size: 64
  - .agpr_count:     0
    .args:
      - .offset:         0
        .size:           72
        .value_kind:     by_value
    .group_segment_fixed_size: 0
    .kernarg_segment_align: 8
    .kernarg_segment_size: 72
    .language:       OpenCL C
    .language_version:
      - 2
      - 0
    .max_flat_workgroup_size: 256
    .name:           _ZN7rocprim17ROCPRIM_400000_NS6detail17trampoline_kernelINS0_14default_configENS1_22reduce_config_selectorIN6thrust23THRUST_200600_302600_NS5tupleIilNS6_9null_typeES8_S8_S8_S8_S8_S8_S8_EEEEZNS1_11reduce_implILb0ES3_PS9_SC_S9_NS6_11hip_rocprim9__extrema9arg_max_fIilNS6_4lessIiEEEEEE10hipError_tPvRmT1_T2_T3_mT4_P12ihipStream_tbEUlT_E0_NS1_11comp_targetILNS1_3genE8ELNS1_11target_archE1030ELNS1_3gpuE2ELNS1_3repE0EEENS1_30default_config_static_selectorELNS0_4arch9wavefront6targetE1EEEvSM_
    .private_segment_fixed_size: 0
    .sgpr_count:     4
    .sgpr_spill_count: 0
    .symbol:         _ZN7rocprim17ROCPRIM_400000_NS6detail17trampoline_kernelINS0_14default_configENS1_22reduce_config_selectorIN6thrust23THRUST_200600_302600_NS5tupleIilNS6_9null_typeES8_S8_S8_S8_S8_S8_S8_EEEEZNS1_11reduce_implILb0ES3_PS9_SC_S9_NS6_11hip_rocprim9__extrema9arg_max_fIilNS6_4lessIiEEEEEE10hipError_tPvRmT1_T2_T3_mT4_P12ihipStream_tbEUlT_E0_NS1_11comp_targetILNS1_3genE8ELNS1_11target_archE1030ELNS1_3gpuE2ELNS1_3repE0EEENS1_30default_config_static_selectorELNS0_4arch9wavefront6targetE1EEEvSM_.kd
    .uniform_work_group_size: 1
    .uses_dynamic_stack: false
    .vgpr_count:     0
    .vgpr_spill_count: 0
    .wavefront_size: 64
  - .agpr_count:     0
    .args:
      - .offset:         0
        .size:           56
        .value_kind:     by_value
    .group_segment_fixed_size: 0
    .kernarg_segment_align: 8
    .kernarg_segment_size: 56
    .language:       OpenCL C
    .language_version:
      - 2
      - 0
    .max_flat_workgroup_size: 128
    .name:           _ZN7rocprim17ROCPRIM_400000_NS6detail17trampoline_kernelINS0_14default_configENS1_22reduce_config_selectorIN6thrust23THRUST_200600_302600_NS5tupleIilNS6_9null_typeES8_S8_S8_S8_S8_S8_S8_EEEEZNS1_11reduce_implILb0ES3_PS9_SC_S9_NS6_11hip_rocprim9__extrema9arg_max_fIilNS6_4lessIiEEEEEE10hipError_tPvRmT1_T2_T3_mT4_P12ihipStream_tbEUlT_E1_NS1_11comp_targetILNS1_3genE0ELNS1_11target_archE4294967295ELNS1_3gpuE0ELNS1_3repE0EEENS1_30default_config_static_selectorELNS0_4arch9wavefront6targetE1EEEvSM_
    .private_segment_fixed_size: 0
    .sgpr_count:     4
    .sgpr_spill_count: 0
    .symbol:         _ZN7rocprim17ROCPRIM_400000_NS6detail17trampoline_kernelINS0_14default_configENS1_22reduce_config_selectorIN6thrust23THRUST_200600_302600_NS5tupleIilNS6_9null_typeES8_S8_S8_S8_S8_S8_S8_EEEEZNS1_11reduce_implILb0ES3_PS9_SC_S9_NS6_11hip_rocprim9__extrema9arg_max_fIilNS6_4lessIiEEEEEE10hipError_tPvRmT1_T2_T3_mT4_P12ihipStream_tbEUlT_E1_NS1_11comp_targetILNS1_3genE0ELNS1_11target_archE4294967295ELNS1_3gpuE0ELNS1_3repE0EEENS1_30default_config_static_selectorELNS0_4arch9wavefront6targetE1EEEvSM_.kd
    .uniform_work_group_size: 1
    .uses_dynamic_stack: false
    .vgpr_count:     0
    .vgpr_spill_count: 0
    .wavefront_size: 64
  - .agpr_count:     0
    .args:
      - .offset:         0
        .size:           56
        .value_kind:     by_value
    .group_segment_fixed_size: 0
    .kernarg_segment_align: 8
    .kernarg_segment_size: 56
    .language:       OpenCL C
    .language_version:
      - 2
      - 0
    .max_flat_workgroup_size: 256
    .name:           _ZN7rocprim17ROCPRIM_400000_NS6detail17trampoline_kernelINS0_14default_configENS1_22reduce_config_selectorIN6thrust23THRUST_200600_302600_NS5tupleIilNS6_9null_typeES8_S8_S8_S8_S8_S8_S8_EEEEZNS1_11reduce_implILb0ES3_PS9_SC_S9_NS6_11hip_rocprim9__extrema9arg_max_fIilNS6_4lessIiEEEEEE10hipError_tPvRmT1_T2_T3_mT4_P12ihipStream_tbEUlT_E1_NS1_11comp_targetILNS1_3genE5ELNS1_11target_archE942ELNS1_3gpuE9ELNS1_3repE0EEENS1_30default_config_static_selectorELNS0_4arch9wavefront6targetE1EEEvSM_
    .private_segment_fixed_size: 0
    .sgpr_count:     4
    .sgpr_spill_count: 0
    .symbol:         _ZN7rocprim17ROCPRIM_400000_NS6detail17trampoline_kernelINS0_14default_configENS1_22reduce_config_selectorIN6thrust23THRUST_200600_302600_NS5tupleIilNS6_9null_typeES8_S8_S8_S8_S8_S8_S8_EEEEZNS1_11reduce_implILb0ES3_PS9_SC_S9_NS6_11hip_rocprim9__extrema9arg_max_fIilNS6_4lessIiEEEEEE10hipError_tPvRmT1_T2_T3_mT4_P12ihipStream_tbEUlT_E1_NS1_11comp_targetILNS1_3genE5ELNS1_11target_archE942ELNS1_3gpuE9ELNS1_3repE0EEENS1_30default_config_static_selectorELNS0_4arch9wavefront6targetE1EEEvSM_.kd
    .uniform_work_group_size: 1
    .uses_dynamic_stack: false
    .vgpr_count:     0
    .vgpr_spill_count: 0
    .wavefront_size: 64
  - .agpr_count:     0
    .args:
      - .offset:         0
        .size:           56
        .value_kind:     by_value
    .group_segment_fixed_size: 320
    .kernarg_segment_align: 8
    .kernarg_segment_size: 56
    .language:       OpenCL C
    .language_version:
      - 2
      - 0
    .max_flat_workgroup_size: 256
    .name:           _ZN7rocprim17ROCPRIM_400000_NS6detail17trampoline_kernelINS0_14default_configENS1_22reduce_config_selectorIN6thrust23THRUST_200600_302600_NS5tupleIilNS6_9null_typeES8_S8_S8_S8_S8_S8_S8_EEEEZNS1_11reduce_implILb0ES3_PS9_SC_S9_NS6_11hip_rocprim9__extrema9arg_max_fIilNS6_4lessIiEEEEEE10hipError_tPvRmT1_T2_T3_mT4_P12ihipStream_tbEUlT_E1_NS1_11comp_targetILNS1_3genE4ELNS1_11target_archE910ELNS1_3gpuE8ELNS1_3repE0EEENS1_30default_config_static_selectorELNS0_4arch9wavefront6targetE1EEEvSM_
    .private_segment_fixed_size: 0
    .sgpr_count:     32
    .sgpr_spill_count: 0
    .symbol:         _ZN7rocprim17ROCPRIM_400000_NS6detail17trampoline_kernelINS0_14default_configENS1_22reduce_config_selectorIN6thrust23THRUST_200600_302600_NS5tupleIilNS6_9null_typeES8_S8_S8_S8_S8_S8_S8_EEEEZNS1_11reduce_implILb0ES3_PS9_SC_S9_NS6_11hip_rocprim9__extrema9arg_max_fIilNS6_4lessIiEEEEEE10hipError_tPvRmT1_T2_T3_mT4_P12ihipStream_tbEUlT_E1_NS1_11comp_targetILNS1_3genE4ELNS1_11target_archE910ELNS1_3gpuE8ELNS1_3repE0EEENS1_30default_config_static_selectorELNS0_4arch9wavefront6targetE1EEEvSM_.kd
    .uniform_work_group_size: 1
    .uses_dynamic_stack: false
    .vgpr_count:     28
    .vgpr_spill_count: 0
    .wavefront_size: 64
  - .agpr_count:     0
    .args:
      - .offset:         0
        .size:           56
        .value_kind:     by_value
    .group_segment_fixed_size: 0
    .kernarg_segment_align: 8
    .kernarg_segment_size: 56
    .language:       OpenCL C
    .language_version:
      - 2
      - 0
    .max_flat_workgroup_size: 128
    .name:           _ZN7rocprim17ROCPRIM_400000_NS6detail17trampoline_kernelINS0_14default_configENS1_22reduce_config_selectorIN6thrust23THRUST_200600_302600_NS5tupleIilNS6_9null_typeES8_S8_S8_S8_S8_S8_S8_EEEEZNS1_11reduce_implILb0ES3_PS9_SC_S9_NS6_11hip_rocprim9__extrema9arg_max_fIilNS6_4lessIiEEEEEE10hipError_tPvRmT1_T2_T3_mT4_P12ihipStream_tbEUlT_E1_NS1_11comp_targetILNS1_3genE3ELNS1_11target_archE908ELNS1_3gpuE7ELNS1_3repE0EEENS1_30default_config_static_selectorELNS0_4arch9wavefront6targetE1EEEvSM_
    .private_segment_fixed_size: 0
    .sgpr_count:     4
    .sgpr_spill_count: 0
    .symbol:         _ZN7rocprim17ROCPRIM_400000_NS6detail17trampoline_kernelINS0_14default_configENS1_22reduce_config_selectorIN6thrust23THRUST_200600_302600_NS5tupleIilNS6_9null_typeES8_S8_S8_S8_S8_S8_S8_EEEEZNS1_11reduce_implILb0ES3_PS9_SC_S9_NS6_11hip_rocprim9__extrema9arg_max_fIilNS6_4lessIiEEEEEE10hipError_tPvRmT1_T2_T3_mT4_P12ihipStream_tbEUlT_E1_NS1_11comp_targetILNS1_3genE3ELNS1_11target_archE908ELNS1_3gpuE7ELNS1_3repE0EEENS1_30default_config_static_selectorELNS0_4arch9wavefront6targetE1EEEvSM_.kd
    .uniform_work_group_size: 1
    .uses_dynamic_stack: false
    .vgpr_count:     0
    .vgpr_spill_count: 0
    .wavefront_size: 64
  - .agpr_count:     0
    .args:
      - .offset:         0
        .size:           56
        .value_kind:     by_value
    .group_segment_fixed_size: 0
    .kernarg_segment_align: 8
    .kernarg_segment_size: 56
    .language:       OpenCL C
    .language_version:
      - 2
      - 0
    .max_flat_workgroup_size: 128
    .name:           _ZN7rocprim17ROCPRIM_400000_NS6detail17trampoline_kernelINS0_14default_configENS1_22reduce_config_selectorIN6thrust23THRUST_200600_302600_NS5tupleIilNS6_9null_typeES8_S8_S8_S8_S8_S8_S8_EEEEZNS1_11reduce_implILb0ES3_PS9_SC_S9_NS6_11hip_rocprim9__extrema9arg_max_fIilNS6_4lessIiEEEEEE10hipError_tPvRmT1_T2_T3_mT4_P12ihipStream_tbEUlT_E1_NS1_11comp_targetILNS1_3genE2ELNS1_11target_archE906ELNS1_3gpuE6ELNS1_3repE0EEENS1_30default_config_static_selectorELNS0_4arch9wavefront6targetE1EEEvSM_
    .private_segment_fixed_size: 0
    .sgpr_count:     4
    .sgpr_spill_count: 0
    .symbol:         _ZN7rocprim17ROCPRIM_400000_NS6detail17trampoline_kernelINS0_14default_configENS1_22reduce_config_selectorIN6thrust23THRUST_200600_302600_NS5tupleIilNS6_9null_typeES8_S8_S8_S8_S8_S8_S8_EEEEZNS1_11reduce_implILb0ES3_PS9_SC_S9_NS6_11hip_rocprim9__extrema9arg_max_fIilNS6_4lessIiEEEEEE10hipError_tPvRmT1_T2_T3_mT4_P12ihipStream_tbEUlT_E1_NS1_11comp_targetILNS1_3genE2ELNS1_11target_archE906ELNS1_3gpuE6ELNS1_3repE0EEENS1_30default_config_static_selectorELNS0_4arch9wavefront6targetE1EEEvSM_.kd
    .uniform_work_group_size: 1
    .uses_dynamic_stack: false
    .vgpr_count:     0
    .vgpr_spill_count: 0
    .wavefront_size: 64
  - .agpr_count:     0
    .args:
      - .offset:         0
        .size:           56
        .value_kind:     by_value
    .group_segment_fixed_size: 0
    .kernarg_segment_align: 8
    .kernarg_segment_size: 56
    .language:       OpenCL C
    .language_version:
      - 2
      - 0
    .max_flat_workgroup_size: 256
    .name:           _ZN7rocprim17ROCPRIM_400000_NS6detail17trampoline_kernelINS0_14default_configENS1_22reduce_config_selectorIN6thrust23THRUST_200600_302600_NS5tupleIilNS6_9null_typeES8_S8_S8_S8_S8_S8_S8_EEEEZNS1_11reduce_implILb0ES3_PS9_SC_S9_NS6_11hip_rocprim9__extrema9arg_max_fIilNS6_4lessIiEEEEEE10hipError_tPvRmT1_T2_T3_mT4_P12ihipStream_tbEUlT_E1_NS1_11comp_targetILNS1_3genE10ELNS1_11target_archE1201ELNS1_3gpuE5ELNS1_3repE0EEENS1_30default_config_static_selectorELNS0_4arch9wavefront6targetE1EEEvSM_
    .private_segment_fixed_size: 0
    .sgpr_count:     4
    .sgpr_spill_count: 0
    .symbol:         _ZN7rocprim17ROCPRIM_400000_NS6detail17trampoline_kernelINS0_14default_configENS1_22reduce_config_selectorIN6thrust23THRUST_200600_302600_NS5tupleIilNS6_9null_typeES8_S8_S8_S8_S8_S8_S8_EEEEZNS1_11reduce_implILb0ES3_PS9_SC_S9_NS6_11hip_rocprim9__extrema9arg_max_fIilNS6_4lessIiEEEEEE10hipError_tPvRmT1_T2_T3_mT4_P12ihipStream_tbEUlT_E1_NS1_11comp_targetILNS1_3genE10ELNS1_11target_archE1201ELNS1_3gpuE5ELNS1_3repE0EEENS1_30default_config_static_selectorELNS0_4arch9wavefront6targetE1EEEvSM_.kd
    .uniform_work_group_size: 1
    .uses_dynamic_stack: false
    .vgpr_count:     0
    .vgpr_spill_count: 0
    .wavefront_size: 64
  - .agpr_count:     0
    .args:
      - .offset:         0
        .size:           56
        .value_kind:     by_value
    .group_segment_fixed_size: 0
    .kernarg_segment_align: 8
    .kernarg_segment_size: 56
    .language:       OpenCL C
    .language_version:
      - 2
      - 0
    .max_flat_workgroup_size: 256
    .name:           _ZN7rocprim17ROCPRIM_400000_NS6detail17trampoline_kernelINS0_14default_configENS1_22reduce_config_selectorIN6thrust23THRUST_200600_302600_NS5tupleIilNS6_9null_typeES8_S8_S8_S8_S8_S8_S8_EEEEZNS1_11reduce_implILb0ES3_PS9_SC_S9_NS6_11hip_rocprim9__extrema9arg_max_fIilNS6_4lessIiEEEEEE10hipError_tPvRmT1_T2_T3_mT4_P12ihipStream_tbEUlT_E1_NS1_11comp_targetILNS1_3genE10ELNS1_11target_archE1200ELNS1_3gpuE4ELNS1_3repE0EEENS1_30default_config_static_selectorELNS0_4arch9wavefront6targetE1EEEvSM_
    .private_segment_fixed_size: 0
    .sgpr_count:     4
    .sgpr_spill_count: 0
    .symbol:         _ZN7rocprim17ROCPRIM_400000_NS6detail17trampoline_kernelINS0_14default_configENS1_22reduce_config_selectorIN6thrust23THRUST_200600_302600_NS5tupleIilNS6_9null_typeES8_S8_S8_S8_S8_S8_S8_EEEEZNS1_11reduce_implILb0ES3_PS9_SC_S9_NS6_11hip_rocprim9__extrema9arg_max_fIilNS6_4lessIiEEEEEE10hipError_tPvRmT1_T2_T3_mT4_P12ihipStream_tbEUlT_E1_NS1_11comp_targetILNS1_3genE10ELNS1_11target_archE1200ELNS1_3gpuE4ELNS1_3repE0EEENS1_30default_config_static_selectorELNS0_4arch9wavefront6targetE1EEEvSM_.kd
    .uniform_work_group_size: 1
    .uses_dynamic_stack: false
    .vgpr_count:     0
    .vgpr_spill_count: 0
    .wavefront_size: 64
  - .agpr_count:     0
    .args:
      - .offset:         0
        .size:           56
        .value_kind:     by_value
    .group_segment_fixed_size: 0
    .kernarg_segment_align: 8
    .kernarg_segment_size: 56
    .language:       OpenCL C
    .language_version:
      - 2
      - 0
    .max_flat_workgroup_size: 256
    .name:           _ZN7rocprim17ROCPRIM_400000_NS6detail17trampoline_kernelINS0_14default_configENS1_22reduce_config_selectorIN6thrust23THRUST_200600_302600_NS5tupleIilNS6_9null_typeES8_S8_S8_S8_S8_S8_S8_EEEEZNS1_11reduce_implILb0ES3_PS9_SC_S9_NS6_11hip_rocprim9__extrema9arg_max_fIilNS6_4lessIiEEEEEE10hipError_tPvRmT1_T2_T3_mT4_P12ihipStream_tbEUlT_E1_NS1_11comp_targetILNS1_3genE9ELNS1_11target_archE1100ELNS1_3gpuE3ELNS1_3repE0EEENS1_30default_config_static_selectorELNS0_4arch9wavefront6targetE1EEEvSM_
    .private_segment_fixed_size: 0
    .sgpr_count:     4
    .sgpr_spill_count: 0
    .symbol:         _ZN7rocprim17ROCPRIM_400000_NS6detail17trampoline_kernelINS0_14default_configENS1_22reduce_config_selectorIN6thrust23THRUST_200600_302600_NS5tupleIilNS6_9null_typeES8_S8_S8_S8_S8_S8_S8_EEEEZNS1_11reduce_implILb0ES3_PS9_SC_S9_NS6_11hip_rocprim9__extrema9arg_max_fIilNS6_4lessIiEEEEEE10hipError_tPvRmT1_T2_T3_mT4_P12ihipStream_tbEUlT_E1_NS1_11comp_targetILNS1_3genE9ELNS1_11target_archE1100ELNS1_3gpuE3ELNS1_3repE0EEENS1_30default_config_static_selectorELNS0_4arch9wavefront6targetE1EEEvSM_.kd
    .uniform_work_group_size: 1
    .uses_dynamic_stack: false
    .vgpr_count:     0
    .vgpr_spill_count: 0
    .wavefront_size: 64
  - .agpr_count:     0
    .args:
      - .offset:         0
        .size:           56
        .value_kind:     by_value
    .group_segment_fixed_size: 0
    .kernarg_segment_align: 8
    .kernarg_segment_size: 56
    .language:       OpenCL C
    .language_version:
      - 2
      - 0
    .max_flat_workgroup_size: 256
    .name:           _ZN7rocprim17ROCPRIM_400000_NS6detail17trampoline_kernelINS0_14default_configENS1_22reduce_config_selectorIN6thrust23THRUST_200600_302600_NS5tupleIilNS6_9null_typeES8_S8_S8_S8_S8_S8_S8_EEEEZNS1_11reduce_implILb0ES3_PS9_SC_S9_NS6_11hip_rocprim9__extrema9arg_max_fIilNS6_4lessIiEEEEEE10hipError_tPvRmT1_T2_T3_mT4_P12ihipStream_tbEUlT_E1_NS1_11comp_targetILNS1_3genE8ELNS1_11target_archE1030ELNS1_3gpuE2ELNS1_3repE0EEENS1_30default_config_static_selectorELNS0_4arch9wavefront6targetE1EEEvSM_
    .private_segment_fixed_size: 0
    .sgpr_count:     4
    .sgpr_spill_count: 0
    .symbol:         _ZN7rocprim17ROCPRIM_400000_NS6detail17trampoline_kernelINS0_14default_configENS1_22reduce_config_selectorIN6thrust23THRUST_200600_302600_NS5tupleIilNS6_9null_typeES8_S8_S8_S8_S8_S8_S8_EEEEZNS1_11reduce_implILb0ES3_PS9_SC_S9_NS6_11hip_rocprim9__extrema9arg_max_fIilNS6_4lessIiEEEEEE10hipError_tPvRmT1_T2_T3_mT4_P12ihipStream_tbEUlT_E1_NS1_11comp_targetILNS1_3genE8ELNS1_11target_archE1030ELNS1_3gpuE2ELNS1_3repE0EEENS1_30default_config_static_selectorELNS0_4arch9wavefront6targetE1EEEvSM_.kd
    .uniform_work_group_size: 1
    .uses_dynamic_stack: false
    .vgpr_count:     0
    .vgpr_spill_count: 0
    .wavefront_size: 64
  - .agpr_count:     0
    .args:
      - .offset:         0
        .size:           80
        .value_kind:     by_value
    .group_segment_fixed_size: 0
    .kernarg_segment_align: 8
    .kernarg_segment_size: 80
    .language:       OpenCL C
    .language_version:
      - 2
      - 0
    .max_flat_workgroup_size: 128
    .name:           _ZN7rocprim17ROCPRIM_400000_NS6detail17trampoline_kernelINS0_14default_configENS1_22reduce_config_selectorIN6thrust23THRUST_200600_302600_NS5tupleIilNS6_9null_typeES8_S8_S8_S8_S8_S8_S8_EEEEZNS1_11reduce_implILb0ES3_NS6_12zip_iteratorINS7_IPiNS6_11hip_rocprim19counting_iterator_tIlEES8_S8_S8_S8_S8_S8_S8_S8_EEEEPS9_S9_NSE_9__extrema9arg_max_fIilNS6_4lessIiEEEEEE10hipError_tPvRmT1_T2_T3_mT4_P12ihipStream_tbEUlT_E0_NS1_11comp_targetILNS1_3genE0ELNS1_11target_archE4294967295ELNS1_3gpuE0ELNS1_3repE0EEENS1_30default_config_static_selectorELNS0_4arch9wavefront6targetE1EEEvSS_
    .private_segment_fixed_size: 0
    .sgpr_count:     4
    .sgpr_spill_count: 0
    .symbol:         _ZN7rocprim17ROCPRIM_400000_NS6detail17trampoline_kernelINS0_14default_configENS1_22reduce_config_selectorIN6thrust23THRUST_200600_302600_NS5tupleIilNS6_9null_typeES8_S8_S8_S8_S8_S8_S8_EEEEZNS1_11reduce_implILb0ES3_NS6_12zip_iteratorINS7_IPiNS6_11hip_rocprim19counting_iterator_tIlEES8_S8_S8_S8_S8_S8_S8_S8_EEEEPS9_S9_NSE_9__extrema9arg_max_fIilNS6_4lessIiEEEEEE10hipError_tPvRmT1_T2_T3_mT4_P12ihipStream_tbEUlT_E0_NS1_11comp_targetILNS1_3genE0ELNS1_11target_archE4294967295ELNS1_3gpuE0ELNS1_3repE0EEENS1_30default_config_static_selectorELNS0_4arch9wavefront6targetE1EEEvSS_.kd
    .uniform_work_group_size: 1
    .uses_dynamic_stack: false
    .vgpr_count:     0
    .vgpr_spill_count: 0
    .wavefront_size: 64
  - .agpr_count:     0
    .args:
      - .offset:         0
        .size:           80
        .value_kind:     by_value
    .group_segment_fixed_size: 0
    .kernarg_segment_align: 8
    .kernarg_segment_size: 80
    .language:       OpenCL C
    .language_version:
      - 2
      - 0
    .max_flat_workgroup_size: 256
    .name:           _ZN7rocprim17ROCPRIM_400000_NS6detail17trampoline_kernelINS0_14default_configENS1_22reduce_config_selectorIN6thrust23THRUST_200600_302600_NS5tupleIilNS6_9null_typeES8_S8_S8_S8_S8_S8_S8_EEEEZNS1_11reduce_implILb0ES3_NS6_12zip_iteratorINS7_IPiNS6_11hip_rocprim19counting_iterator_tIlEES8_S8_S8_S8_S8_S8_S8_S8_EEEEPS9_S9_NSE_9__extrema9arg_max_fIilNS6_4lessIiEEEEEE10hipError_tPvRmT1_T2_T3_mT4_P12ihipStream_tbEUlT_E0_NS1_11comp_targetILNS1_3genE5ELNS1_11target_archE942ELNS1_3gpuE9ELNS1_3repE0EEENS1_30default_config_static_selectorELNS0_4arch9wavefront6targetE1EEEvSS_
    .private_segment_fixed_size: 0
    .sgpr_count:     4
    .sgpr_spill_count: 0
    .symbol:         _ZN7rocprim17ROCPRIM_400000_NS6detail17trampoline_kernelINS0_14default_configENS1_22reduce_config_selectorIN6thrust23THRUST_200600_302600_NS5tupleIilNS6_9null_typeES8_S8_S8_S8_S8_S8_S8_EEEEZNS1_11reduce_implILb0ES3_NS6_12zip_iteratorINS7_IPiNS6_11hip_rocprim19counting_iterator_tIlEES8_S8_S8_S8_S8_S8_S8_S8_EEEEPS9_S9_NSE_9__extrema9arg_max_fIilNS6_4lessIiEEEEEE10hipError_tPvRmT1_T2_T3_mT4_P12ihipStream_tbEUlT_E0_NS1_11comp_targetILNS1_3genE5ELNS1_11target_archE942ELNS1_3gpuE9ELNS1_3repE0EEENS1_30default_config_static_selectorELNS0_4arch9wavefront6targetE1EEEvSS_.kd
    .uniform_work_group_size: 1
    .uses_dynamic_stack: false
    .vgpr_count:     0
    .vgpr_spill_count: 0
    .wavefront_size: 64
  - .agpr_count:     0
    .args:
      - .offset:         0
        .size:           80
        .value_kind:     by_value
    .group_segment_fixed_size: 128
    .kernarg_segment_align: 8
    .kernarg_segment_size: 80
    .language:       OpenCL C
    .language_version:
      - 2
      - 0
    .max_flat_workgroup_size: 256
    .name:           _ZN7rocprim17ROCPRIM_400000_NS6detail17trampoline_kernelINS0_14default_configENS1_22reduce_config_selectorIN6thrust23THRUST_200600_302600_NS5tupleIilNS6_9null_typeES8_S8_S8_S8_S8_S8_S8_EEEEZNS1_11reduce_implILb0ES3_NS6_12zip_iteratorINS7_IPiNS6_11hip_rocprim19counting_iterator_tIlEES8_S8_S8_S8_S8_S8_S8_S8_EEEEPS9_S9_NSE_9__extrema9arg_max_fIilNS6_4lessIiEEEEEE10hipError_tPvRmT1_T2_T3_mT4_P12ihipStream_tbEUlT_E0_NS1_11comp_targetILNS1_3genE4ELNS1_11target_archE910ELNS1_3gpuE8ELNS1_3repE0EEENS1_30default_config_static_selectorELNS0_4arch9wavefront6targetE1EEEvSS_
    .private_segment_fixed_size: 0
    .sgpr_count:     28
    .sgpr_spill_count: 0
    .symbol:         _ZN7rocprim17ROCPRIM_400000_NS6detail17trampoline_kernelINS0_14default_configENS1_22reduce_config_selectorIN6thrust23THRUST_200600_302600_NS5tupleIilNS6_9null_typeES8_S8_S8_S8_S8_S8_S8_EEEEZNS1_11reduce_implILb0ES3_NS6_12zip_iteratorINS7_IPiNS6_11hip_rocprim19counting_iterator_tIlEES8_S8_S8_S8_S8_S8_S8_S8_EEEEPS9_S9_NSE_9__extrema9arg_max_fIilNS6_4lessIiEEEEEE10hipError_tPvRmT1_T2_T3_mT4_P12ihipStream_tbEUlT_E0_NS1_11comp_targetILNS1_3genE4ELNS1_11target_archE910ELNS1_3gpuE8ELNS1_3repE0EEENS1_30default_config_static_selectorELNS0_4arch9wavefront6targetE1EEEvSS_.kd
    .uniform_work_group_size: 1
    .uses_dynamic_stack: false
    .vgpr_count:     11
    .vgpr_spill_count: 0
    .wavefront_size: 64
  - .agpr_count:     0
    .args:
      - .offset:         0
        .size:           80
        .value_kind:     by_value
    .group_segment_fixed_size: 0
    .kernarg_segment_align: 8
    .kernarg_segment_size: 80
    .language:       OpenCL C
    .language_version:
      - 2
      - 0
    .max_flat_workgroup_size: 128
    .name:           _ZN7rocprim17ROCPRIM_400000_NS6detail17trampoline_kernelINS0_14default_configENS1_22reduce_config_selectorIN6thrust23THRUST_200600_302600_NS5tupleIilNS6_9null_typeES8_S8_S8_S8_S8_S8_S8_EEEEZNS1_11reduce_implILb0ES3_NS6_12zip_iteratorINS7_IPiNS6_11hip_rocprim19counting_iterator_tIlEES8_S8_S8_S8_S8_S8_S8_S8_EEEEPS9_S9_NSE_9__extrema9arg_max_fIilNS6_4lessIiEEEEEE10hipError_tPvRmT1_T2_T3_mT4_P12ihipStream_tbEUlT_E0_NS1_11comp_targetILNS1_3genE3ELNS1_11target_archE908ELNS1_3gpuE7ELNS1_3repE0EEENS1_30default_config_static_selectorELNS0_4arch9wavefront6targetE1EEEvSS_
    .private_segment_fixed_size: 0
    .sgpr_count:     4
    .sgpr_spill_count: 0
    .symbol:         _ZN7rocprim17ROCPRIM_400000_NS6detail17trampoline_kernelINS0_14default_configENS1_22reduce_config_selectorIN6thrust23THRUST_200600_302600_NS5tupleIilNS6_9null_typeES8_S8_S8_S8_S8_S8_S8_EEEEZNS1_11reduce_implILb0ES3_NS6_12zip_iteratorINS7_IPiNS6_11hip_rocprim19counting_iterator_tIlEES8_S8_S8_S8_S8_S8_S8_S8_EEEEPS9_S9_NSE_9__extrema9arg_max_fIilNS6_4lessIiEEEEEE10hipError_tPvRmT1_T2_T3_mT4_P12ihipStream_tbEUlT_E0_NS1_11comp_targetILNS1_3genE3ELNS1_11target_archE908ELNS1_3gpuE7ELNS1_3repE0EEENS1_30default_config_static_selectorELNS0_4arch9wavefront6targetE1EEEvSS_.kd
    .uniform_work_group_size: 1
    .uses_dynamic_stack: false
    .vgpr_count:     0
    .vgpr_spill_count: 0
    .wavefront_size: 64
  - .agpr_count:     0
    .args:
      - .offset:         0
        .size:           80
        .value_kind:     by_value
    .group_segment_fixed_size: 0
    .kernarg_segment_align: 8
    .kernarg_segment_size: 80
    .language:       OpenCL C
    .language_version:
      - 2
      - 0
    .max_flat_workgroup_size: 128
    .name:           _ZN7rocprim17ROCPRIM_400000_NS6detail17trampoline_kernelINS0_14default_configENS1_22reduce_config_selectorIN6thrust23THRUST_200600_302600_NS5tupleIilNS6_9null_typeES8_S8_S8_S8_S8_S8_S8_EEEEZNS1_11reduce_implILb0ES3_NS6_12zip_iteratorINS7_IPiNS6_11hip_rocprim19counting_iterator_tIlEES8_S8_S8_S8_S8_S8_S8_S8_EEEEPS9_S9_NSE_9__extrema9arg_max_fIilNS6_4lessIiEEEEEE10hipError_tPvRmT1_T2_T3_mT4_P12ihipStream_tbEUlT_E0_NS1_11comp_targetILNS1_3genE2ELNS1_11target_archE906ELNS1_3gpuE6ELNS1_3repE0EEENS1_30default_config_static_selectorELNS0_4arch9wavefront6targetE1EEEvSS_
    .private_segment_fixed_size: 0
    .sgpr_count:     4
    .sgpr_spill_count: 0
    .symbol:         _ZN7rocprim17ROCPRIM_400000_NS6detail17trampoline_kernelINS0_14default_configENS1_22reduce_config_selectorIN6thrust23THRUST_200600_302600_NS5tupleIilNS6_9null_typeES8_S8_S8_S8_S8_S8_S8_EEEEZNS1_11reduce_implILb0ES3_NS6_12zip_iteratorINS7_IPiNS6_11hip_rocprim19counting_iterator_tIlEES8_S8_S8_S8_S8_S8_S8_S8_EEEEPS9_S9_NSE_9__extrema9arg_max_fIilNS6_4lessIiEEEEEE10hipError_tPvRmT1_T2_T3_mT4_P12ihipStream_tbEUlT_E0_NS1_11comp_targetILNS1_3genE2ELNS1_11target_archE906ELNS1_3gpuE6ELNS1_3repE0EEENS1_30default_config_static_selectorELNS0_4arch9wavefront6targetE1EEEvSS_.kd
    .uniform_work_group_size: 1
    .uses_dynamic_stack: false
    .vgpr_count:     0
    .vgpr_spill_count: 0
    .wavefront_size: 64
  - .agpr_count:     0
    .args:
      - .offset:         0
        .size:           80
        .value_kind:     by_value
    .group_segment_fixed_size: 0
    .kernarg_segment_align: 8
    .kernarg_segment_size: 80
    .language:       OpenCL C
    .language_version:
      - 2
      - 0
    .max_flat_workgroup_size: 256
    .name:           _ZN7rocprim17ROCPRIM_400000_NS6detail17trampoline_kernelINS0_14default_configENS1_22reduce_config_selectorIN6thrust23THRUST_200600_302600_NS5tupleIilNS6_9null_typeES8_S8_S8_S8_S8_S8_S8_EEEEZNS1_11reduce_implILb0ES3_NS6_12zip_iteratorINS7_IPiNS6_11hip_rocprim19counting_iterator_tIlEES8_S8_S8_S8_S8_S8_S8_S8_EEEEPS9_S9_NSE_9__extrema9arg_max_fIilNS6_4lessIiEEEEEE10hipError_tPvRmT1_T2_T3_mT4_P12ihipStream_tbEUlT_E0_NS1_11comp_targetILNS1_3genE10ELNS1_11target_archE1201ELNS1_3gpuE5ELNS1_3repE0EEENS1_30default_config_static_selectorELNS0_4arch9wavefront6targetE1EEEvSS_
    .private_segment_fixed_size: 0
    .sgpr_count:     4
    .sgpr_spill_count: 0
    .symbol:         _ZN7rocprim17ROCPRIM_400000_NS6detail17trampoline_kernelINS0_14default_configENS1_22reduce_config_selectorIN6thrust23THRUST_200600_302600_NS5tupleIilNS6_9null_typeES8_S8_S8_S8_S8_S8_S8_EEEEZNS1_11reduce_implILb0ES3_NS6_12zip_iteratorINS7_IPiNS6_11hip_rocprim19counting_iterator_tIlEES8_S8_S8_S8_S8_S8_S8_S8_EEEEPS9_S9_NSE_9__extrema9arg_max_fIilNS6_4lessIiEEEEEE10hipError_tPvRmT1_T2_T3_mT4_P12ihipStream_tbEUlT_E0_NS1_11comp_targetILNS1_3genE10ELNS1_11target_archE1201ELNS1_3gpuE5ELNS1_3repE0EEENS1_30default_config_static_selectorELNS0_4arch9wavefront6targetE1EEEvSS_.kd
    .uniform_work_group_size: 1
    .uses_dynamic_stack: false
    .vgpr_count:     0
    .vgpr_spill_count: 0
    .wavefront_size: 64
  - .agpr_count:     0
    .args:
      - .offset:         0
        .size:           80
        .value_kind:     by_value
    .group_segment_fixed_size: 0
    .kernarg_segment_align: 8
    .kernarg_segment_size: 80
    .language:       OpenCL C
    .language_version:
      - 2
      - 0
    .max_flat_workgroup_size: 256
    .name:           _ZN7rocprim17ROCPRIM_400000_NS6detail17trampoline_kernelINS0_14default_configENS1_22reduce_config_selectorIN6thrust23THRUST_200600_302600_NS5tupleIilNS6_9null_typeES8_S8_S8_S8_S8_S8_S8_EEEEZNS1_11reduce_implILb0ES3_NS6_12zip_iteratorINS7_IPiNS6_11hip_rocprim19counting_iterator_tIlEES8_S8_S8_S8_S8_S8_S8_S8_EEEEPS9_S9_NSE_9__extrema9arg_max_fIilNS6_4lessIiEEEEEE10hipError_tPvRmT1_T2_T3_mT4_P12ihipStream_tbEUlT_E0_NS1_11comp_targetILNS1_3genE10ELNS1_11target_archE1200ELNS1_3gpuE4ELNS1_3repE0EEENS1_30default_config_static_selectorELNS0_4arch9wavefront6targetE1EEEvSS_
    .private_segment_fixed_size: 0
    .sgpr_count:     4
    .sgpr_spill_count: 0
    .symbol:         _ZN7rocprim17ROCPRIM_400000_NS6detail17trampoline_kernelINS0_14default_configENS1_22reduce_config_selectorIN6thrust23THRUST_200600_302600_NS5tupleIilNS6_9null_typeES8_S8_S8_S8_S8_S8_S8_EEEEZNS1_11reduce_implILb0ES3_NS6_12zip_iteratorINS7_IPiNS6_11hip_rocprim19counting_iterator_tIlEES8_S8_S8_S8_S8_S8_S8_S8_EEEEPS9_S9_NSE_9__extrema9arg_max_fIilNS6_4lessIiEEEEEE10hipError_tPvRmT1_T2_T3_mT4_P12ihipStream_tbEUlT_E0_NS1_11comp_targetILNS1_3genE10ELNS1_11target_archE1200ELNS1_3gpuE4ELNS1_3repE0EEENS1_30default_config_static_selectorELNS0_4arch9wavefront6targetE1EEEvSS_.kd
    .uniform_work_group_size: 1
    .uses_dynamic_stack: false
    .vgpr_count:     0
    .vgpr_spill_count: 0
    .wavefront_size: 64
  - .agpr_count:     0
    .args:
      - .offset:         0
        .size:           80
        .value_kind:     by_value
    .group_segment_fixed_size: 0
    .kernarg_segment_align: 8
    .kernarg_segment_size: 80
    .language:       OpenCL C
    .language_version:
      - 2
      - 0
    .max_flat_workgroup_size: 256
    .name:           _ZN7rocprim17ROCPRIM_400000_NS6detail17trampoline_kernelINS0_14default_configENS1_22reduce_config_selectorIN6thrust23THRUST_200600_302600_NS5tupleIilNS6_9null_typeES8_S8_S8_S8_S8_S8_S8_EEEEZNS1_11reduce_implILb0ES3_NS6_12zip_iteratorINS7_IPiNS6_11hip_rocprim19counting_iterator_tIlEES8_S8_S8_S8_S8_S8_S8_S8_EEEEPS9_S9_NSE_9__extrema9arg_max_fIilNS6_4lessIiEEEEEE10hipError_tPvRmT1_T2_T3_mT4_P12ihipStream_tbEUlT_E0_NS1_11comp_targetILNS1_3genE9ELNS1_11target_archE1100ELNS1_3gpuE3ELNS1_3repE0EEENS1_30default_config_static_selectorELNS0_4arch9wavefront6targetE1EEEvSS_
    .private_segment_fixed_size: 0
    .sgpr_count:     4
    .sgpr_spill_count: 0
    .symbol:         _ZN7rocprim17ROCPRIM_400000_NS6detail17trampoline_kernelINS0_14default_configENS1_22reduce_config_selectorIN6thrust23THRUST_200600_302600_NS5tupleIilNS6_9null_typeES8_S8_S8_S8_S8_S8_S8_EEEEZNS1_11reduce_implILb0ES3_NS6_12zip_iteratorINS7_IPiNS6_11hip_rocprim19counting_iterator_tIlEES8_S8_S8_S8_S8_S8_S8_S8_EEEEPS9_S9_NSE_9__extrema9arg_max_fIilNS6_4lessIiEEEEEE10hipError_tPvRmT1_T2_T3_mT4_P12ihipStream_tbEUlT_E0_NS1_11comp_targetILNS1_3genE9ELNS1_11target_archE1100ELNS1_3gpuE3ELNS1_3repE0EEENS1_30default_config_static_selectorELNS0_4arch9wavefront6targetE1EEEvSS_.kd
    .uniform_work_group_size: 1
    .uses_dynamic_stack: false
    .vgpr_count:     0
    .vgpr_spill_count: 0
    .wavefront_size: 64
  - .agpr_count:     0
    .args:
      - .offset:         0
        .size:           80
        .value_kind:     by_value
    .group_segment_fixed_size: 0
    .kernarg_segment_align: 8
    .kernarg_segment_size: 80
    .language:       OpenCL C
    .language_version:
      - 2
      - 0
    .max_flat_workgroup_size: 256
    .name:           _ZN7rocprim17ROCPRIM_400000_NS6detail17trampoline_kernelINS0_14default_configENS1_22reduce_config_selectorIN6thrust23THRUST_200600_302600_NS5tupleIilNS6_9null_typeES8_S8_S8_S8_S8_S8_S8_EEEEZNS1_11reduce_implILb0ES3_NS6_12zip_iteratorINS7_IPiNS6_11hip_rocprim19counting_iterator_tIlEES8_S8_S8_S8_S8_S8_S8_S8_EEEEPS9_S9_NSE_9__extrema9arg_max_fIilNS6_4lessIiEEEEEE10hipError_tPvRmT1_T2_T3_mT4_P12ihipStream_tbEUlT_E0_NS1_11comp_targetILNS1_3genE8ELNS1_11target_archE1030ELNS1_3gpuE2ELNS1_3repE0EEENS1_30default_config_static_selectorELNS0_4arch9wavefront6targetE1EEEvSS_
    .private_segment_fixed_size: 0
    .sgpr_count:     4
    .sgpr_spill_count: 0
    .symbol:         _ZN7rocprim17ROCPRIM_400000_NS6detail17trampoline_kernelINS0_14default_configENS1_22reduce_config_selectorIN6thrust23THRUST_200600_302600_NS5tupleIilNS6_9null_typeES8_S8_S8_S8_S8_S8_S8_EEEEZNS1_11reduce_implILb0ES3_NS6_12zip_iteratorINS7_IPiNS6_11hip_rocprim19counting_iterator_tIlEES8_S8_S8_S8_S8_S8_S8_S8_EEEEPS9_S9_NSE_9__extrema9arg_max_fIilNS6_4lessIiEEEEEE10hipError_tPvRmT1_T2_T3_mT4_P12ihipStream_tbEUlT_E0_NS1_11comp_targetILNS1_3genE8ELNS1_11target_archE1030ELNS1_3gpuE2ELNS1_3repE0EEENS1_30default_config_static_selectorELNS0_4arch9wavefront6targetE1EEEvSS_.kd
    .uniform_work_group_size: 1
    .uses_dynamic_stack: false
    .vgpr_count:     0
    .vgpr_spill_count: 0
    .wavefront_size: 64
  - .agpr_count:     0
    .args:
      - .offset:         0
        .size:           64
        .value_kind:     by_value
    .group_segment_fixed_size: 0
    .kernarg_segment_align: 8
    .kernarg_segment_size: 64
    .language:       OpenCL C
    .language_version:
      - 2
      - 0
    .max_flat_workgroup_size: 128
    .name:           _ZN7rocprim17ROCPRIM_400000_NS6detail17trampoline_kernelINS0_14default_configENS1_22reduce_config_selectorIN6thrust23THRUST_200600_302600_NS5tupleIilNS6_9null_typeES8_S8_S8_S8_S8_S8_S8_EEEEZNS1_11reduce_implILb0ES3_NS6_12zip_iteratorINS7_IPiNS6_11hip_rocprim19counting_iterator_tIlEES8_S8_S8_S8_S8_S8_S8_S8_EEEEPS9_S9_NSE_9__extrema9arg_max_fIilNS6_4lessIiEEEEEE10hipError_tPvRmT1_T2_T3_mT4_P12ihipStream_tbEUlT_E1_NS1_11comp_targetILNS1_3genE0ELNS1_11target_archE4294967295ELNS1_3gpuE0ELNS1_3repE0EEENS1_30default_config_static_selectorELNS0_4arch9wavefront6targetE1EEEvSS_
    .private_segment_fixed_size: 0
    .sgpr_count:     4
    .sgpr_spill_count: 0
    .symbol:         _ZN7rocprim17ROCPRIM_400000_NS6detail17trampoline_kernelINS0_14default_configENS1_22reduce_config_selectorIN6thrust23THRUST_200600_302600_NS5tupleIilNS6_9null_typeES8_S8_S8_S8_S8_S8_S8_EEEEZNS1_11reduce_implILb0ES3_NS6_12zip_iteratorINS7_IPiNS6_11hip_rocprim19counting_iterator_tIlEES8_S8_S8_S8_S8_S8_S8_S8_EEEEPS9_S9_NSE_9__extrema9arg_max_fIilNS6_4lessIiEEEEEE10hipError_tPvRmT1_T2_T3_mT4_P12ihipStream_tbEUlT_E1_NS1_11comp_targetILNS1_3genE0ELNS1_11target_archE4294967295ELNS1_3gpuE0ELNS1_3repE0EEENS1_30default_config_static_selectorELNS0_4arch9wavefront6targetE1EEEvSS_.kd
    .uniform_work_group_size: 1
    .uses_dynamic_stack: false
    .vgpr_count:     0
    .vgpr_spill_count: 0
    .wavefront_size: 64
  - .agpr_count:     0
    .args:
      - .offset:         0
        .size:           64
        .value_kind:     by_value
    .group_segment_fixed_size: 0
    .kernarg_segment_align: 8
    .kernarg_segment_size: 64
    .language:       OpenCL C
    .language_version:
      - 2
      - 0
    .max_flat_workgroup_size: 256
    .name:           _ZN7rocprim17ROCPRIM_400000_NS6detail17trampoline_kernelINS0_14default_configENS1_22reduce_config_selectorIN6thrust23THRUST_200600_302600_NS5tupleIilNS6_9null_typeES8_S8_S8_S8_S8_S8_S8_EEEEZNS1_11reduce_implILb0ES3_NS6_12zip_iteratorINS7_IPiNS6_11hip_rocprim19counting_iterator_tIlEES8_S8_S8_S8_S8_S8_S8_S8_EEEEPS9_S9_NSE_9__extrema9arg_max_fIilNS6_4lessIiEEEEEE10hipError_tPvRmT1_T2_T3_mT4_P12ihipStream_tbEUlT_E1_NS1_11comp_targetILNS1_3genE5ELNS1_11target_archE942ELNS1_3gpuE9ELNS1_3repE0EEENS1_30default_config_static_selectorELNS0_4arch9wavefront6targetE1EEEvSS_
    .private_segment_fixed_size: 0
    .sgpr_count:     4
    .sgpr_spill_count: 0
    .symbol:         _ZN7rocprim17ROCPRIM_400000_NS6detail17trampoline_kernelINS0_14default_configENS1_22reduce_config_selectorIN6thrust23THRUST_200600_302600_NS5tupleIilNS6_9null_typeES8_S8_S8_S8_S8_S8_S8_EEEEZNS1_11reduce_implILb0ES3_NS6_12zip_iteratorINS7_IPiNS6_11hip_rocprim19counting_iterator_tIlEES8_S8_S8_S8_S8_S8_S8_S8_EEEEPS9_S9_NSE_9__extrema9arg_max_fIilNS6_4lessIiEEEEEE10hipError_tPvRmT1_T2_T3_mT4_P12ihipStream_tbEUlT_E1_NS1_11comp_targetILNS1_3genE5ELNS1_11target_archE942ELNS1_3gpuE9ELNS1_3repE0EEENS1_30default_config_static_selectorELNS0_4arch9wavefront6targetE1EEEvSS_.kd
    .uniform_work_group_size: 1
    .uses_dynamic_stack: false
    .vgpr_count:     0
    .vgpr_spill_count: 0
    .wavefront_size: 64
  - .agpr_count:     0
    .args:
      - .offset:         0
        .size:           64
        .value_kind:     by_value
    .group_segment_fixed_size: 320
    .kernarg_segment_align: 8
    .kernarg_segment_size: 64
    .language:       OpenCL C
    .language_version:
      - 2
      - 0
    .max_flat_workgroup_size: 256
    .name:           _ZN7rocprim17ROCPRIM_400000_NS6detail17trampoline_kernelINS0_14default_configENS1_22reduce_config_selectorIN6thrust23THRUST_200600_302600_NS5tupleIilNS6_9null_typeES8_S8_S8_S8_S8_S8_S8_EEEEZNS1_11reduce_implILb0ES3_NS6_12zip_iteratorINS7_IPiNS6_11hip_rocprim19counting_iterator_tIlEES8_S8_S8_S8_S8_S8_S8_S8_EEEEPS9_S9_NSE_9__extrema9arg_max_fIilNS6_4lessIiEEEEEE10hipError_tPvRmT1_T2_T3_mT4_P12ihipStream_tbEUlT_E1_NS1_11comp_targetILNS1_3genE4ELNS1_11target_archE910ELNS1_3gpuE8ELNS1_3repE0EEENS1_30default_config_static_selectorELNS0_4arch9wavefront6targetE1EEEvSS_
    .private_segment_fixed_size: 0
    .sgpr_count:     39
    .sgpr_spill_count: 0
    .symbol:         _ZN7rocprim17ROCPRIM_400000_NS6detail17trampoline_kernelINS0_14default_configENS1_22reduce_config_selectorIN6thrust23THRUST_200600_302600_NS5tupleIilNS6_9null_typeES8_S8_S8_S8_S8_S8_S8_EEEEZNS1_11reduce_implILb0ES3_NS6_12zip_iteratorINS7_IPiNS6_11hip_rocprim19counting_iterator_tIlEES8_S8_S8_S8_S8_S8_S8_S8_EEEEPS9_S9_NSE_9__extrema9arg_max_fIilNS6_4lessIiEEEEEE10hipError_tPvRmT1_T2_T3_mT4_P12ihipStream_tbEUlT_E1_NS1_11comp_targetILNS1_3genE4ELNS1_11target_archE910ELNS1_3gpuE8ELNS1_3repE0EEENS1_30default_config_static_selectorELNS0_4arch9wavefront6targetE1EEEvSS_.kd
    .uniform_work_group_size: 1
    .uses_dynamic_stack: false
    .vgpr_count:     26
    .vgpr_spill_count: 0
    .wavefront_size: 64
  - .agpr_count:     0
    .args:
      - .offset:         0
        .size:           64
        .value_kind:     by_value
    .group_segment_fixed_size: 0
    .kernarg_segment_align: 8
    .kernarg_segment_size: 64
    .language:       OpenCL C
    .language_version:
      - 2
      - 0
    .max_flat_workgroup_size: 128
    .name:           _ZN7rocprim17ROCPRIM_400000_NS6detail17trampoline_kernelINS0_14default_configENS1_22reduce_config_selectorIN6thrust23THRUST_200600_302600_NS5tupleIilNS6_9null_typeES8_S8_S8_S8_S8_S8_S8_EEEEZNS1_11reduce_implILb0ES3_NS6_12zip_iteratorINS7_IPiNS6_11hip_rocprim19counting_iterator_tIlEES8_S8_S8_S8_S8_S8_S8_S8_EEEEPS9_S9_NSE_9__extrema9arg_max_fIilNS6_4lessIiEEEEEE10hipError_tPvRmT1_T2_T3_mT4_P12ihipStream_tbEUlT_E1_NS1_11comp_targetILNS1_3genE3ELNS1_11target_archE908ELNS1_3gpuE7ELNS1_3repE0EEENS1_30default_config_static_selectorELNS0_4arch9wavefront6targetE1EEEvSS_
    .private_segment_fixed_size: 0
    .sgpr_count:     4
    .sgpr_spill_count: 0
    .symbol:         _ZN7rocprim17ROCPRIM_400000_NS6detail17trampoline_kernelINS0_14default_configENS1_22reduce_config_selectorIN6thrust23THRUST_200600_302600_NS5tupleIilNS6_9null_typeES8_S8_S8_S8_S8_S8_S8_EEEEZNS1_11reduce_implILb0ES3_NS6_12zip_iteratorINS7_IPiNS6_11hip_rocprim19counting_iterator_tIlEES8_S8_S8_S8_S8_S8_S8_S8_EEEEPS9_S9_NSE_9__extrema9arg_max_fIilNS6_4lessIiEEEEEE10hipError_tPvRmT1_T2_T3_mT4_P12ihipStream_tbEUlT_E1_NS1_11comp_targetILNS1_3genE3ELNS1_11target_archE908ELNS1_3gpuE7ELNS1_3repE0EEENS1_30default_config_static_selectorELNS0_4arch9wavefront6targetE1EEEvSS_.kd
    .uniform_work_group_size: 1
    .uses_dynamic_stack: false
    .vgpr_count:     0
    .vgpr_spill_count: 0
    .wavefront_size: 64
  - .agpr_count:     0
    .args:
      - .offset:         0
        .size:           64
        .value_kind:     by_value
    .group_segment_fixed_size: 0
    .kernarg_segment_align: 8
    .kernarg_segment_size: 64
    .language:       OpenCL C
    .language_version:
      - 2
      - 0
    .max_flat_workgroup_size: 128
    .name:           _ZN7rocprim17ROCPRIM_400000_NS6detail17trampoline_kernelINS0_14default_configENS1_22reduce_config_selectorIN6thrust23THRUST_200600_302600_NS5tupleIilNS6_9null_typeES8_S8_S8_S8_S8_S8_S8_EEEEZNS1_11reduce_implILb0ES3_NS6_12zip_iteratorINS7_IPiNS6_11hip_rocprim19counting_iterator_tIlEES8_S8_S8_S8_S8_S8_S8_S8_EEEEPS9_S9_NSE_9__extrema9arg_max_fIilNS6_4lessIiEEEEEE10hipError_tPvRmT1_T2_T3_mT4_P12ihipStream_tbEUlT_E1_NS1_11comp_targetILNS1_3genE2ELNS1_11target_archE906ELNS1_3gpuE6ELNS1_3repE0EEENS1_30default_config_static_selectorELNS0_4arch9wavefront6targetE1EEEvSS_
    .private_segment_fixed_size: 0
    .sgpr_count:     4
    .sgpr_spill_count: 0
    .symbol:         _ZN7rocprim17ROCPRIM_400000_NS6detail17trampoline_kernelINS0_14default_configENS1_22reduce_config_selectorIN6thrust23THRUST_200600_302600_NS5tupleIilNS6_9null_typeES8_S8_S8_S8_S8_S8_S8_EEEEZNS1_11reduce_implILb0ES3_NS6_12zip_iteratorINS7_IPiNS6_11hip_rocprim19counting_iterator_tIlEES8_S8_S8_S8_S8_S8_S8_S8_EEEEPS9_S9_NSE_9__extrema9arg_max_fIilNS6_4lessIiEEEEEE10hipError_tPvRmT1_T2_T3_mT4_P12ihipStream_tbEUlT_E1_NS1_11comp_targetILNS1_3genE2ELNS1_11target_archE906ELNS1_3gpuE6ELNS1_3repE0EEENS1_30default_config_static_selectorELNS0_4arch9wavefront6targetE1EEEvSS_.kd
    .uniform_work_group_size: 1
    .uses_dynamic_stack: false
    .vgpr_count:     0
    .vgpr_spill_count: 0
    .wavefront_size: 64
  - .agpr_count:     0
    .args:
      - .offset:         0
        .size:           64
        .value_kind:     by_value
    .group_segment_fixed_size: 0
    .kernarg_segment_align: 8
    .kernarg_segment_size: 64
    .language:       OpenCL C
    .language_version:
      - 2
      - 0
    .max_flat_workgroup_size: 256
    .name:           _ZN7rocprim17ROCPRIM_400000_NS6detail17trampoline_kernelINS0_14default_configENS1_22reduce_config_selectorIN6thrust23THRUST_200600_302600_NS5tupleIilNS6_9null_typeES8_S8_S8_S8_S8_S8_S8_EEEEZNS1_11reduce_implILb0ES3_NS6_12zip_iteratorINS7_IPiNS6_11hip_rocprim19counting_iterator_tIlEES8_S8_S8_S8_S8_S8_S8_S8_EEEEPS9_S9_NSE_9__extrema9arg_max_fIilNS6_4lessIiEEEEEE10hipError_tPvRmT1_T2_T3_mT4_P12ihipStream_tbEUlT_E1_NS1_11comp_targetILNS1_3genE10ELNS1_11target_archE1201ELNS1_3gpuE5ELNS1_3repE0EEENS1_30default_config_static_selectorELNS0_4arch9wavefront6targetE1EEEvSS_
    .private_segment_fixed_size: 0
    .sgpr_count:     4
    .sgpr_spill_count: 0
    .symbol:         _ZN7rocprim17ROCPRIM_400000_NS6detail17trampoline_kernelINS0_14default_configENS1_22reduce_config_selectorIN6thrust23THRUST_200600_302600_NS5tupleIilNS6_9null_typeES8_S8_S8_S8_S8_S8_S8_EEEEZNS1_11reduce_implILb0ES3_NS6_12zip_iteratorINS7_IPiNS6_11hip_rocprim19counting_iterator_tIlEES8_S8_S8_S8_S8_S8_S8_S8_EEEEPS9_S9_NSE_9__extrema9arg_max_fIilNS6_4lessIiEEEEEE10hipError_tPvRmT1_T2_T3_mT4_P12ihipStream_tbEUlT_E1_NS1_11comp_targetILNS1_3genE10ELNS1_11target_archE1201ELNS1_3gpuE5ELNS1_3repE0EEENS1_30default_config_static_selectorELNS0_4arch9wavefront6targetE1EEEvSS_.kd
    .uniform_work_group_size: 1
    .uses_dynamic_stack: false
    .vgpr_count:     0
    .vgpr_spill_count: 0
    .wavefront_size: 64
  - .agpr_count:     0
    .args:
      - .offset:         0
        .size:           64
        .value_kind:     by_value
    .group_segment_fixed_size: 0
    .kernarg_segment_align: 8
    .kernarg_segment_size: 64
    .language:       OpenCL C
    .language_version:
      - 2
      - 0
    .max_flat_workgroup_size: 256
    .name:           _ZN7rocprim17ROCPRIM_400000_NS6detail17trampoline_kernelINS0_14default_configENS1_22reduce_config_selectorIN6thrust23THRUST_200600_302600_NS5tupleIilNS6_9null_typeES8_S8_S8_S8_S8_S8_S8_EEEEZNS1_11reduce_implILb0ES3_NS6_12zip_iteratorINS7_IPiNS6_11hip_rocprim19counting_iterator_tIlEES8_S8_S8_S8_S8_S8_S8_S8_EEEEPS9_S9_NSE_9__extrema9arg_max_fIilNS6_4lessIiEEEEEE10hipError_tPvRmT1_T2_T3_mT4_P12ihipStream_tbEUlT_E1_NS1_11comp_targetILNS1_3genE10ELNS1_11target_archE1200ELNS1_3gpuE4ELNS1_3repE0EEENS1_30default_config_static_selectorELNS0_4arch9wavefront6targetE1EEEvSS_
    .private_segment_fixed_size: 0
    .sgpr_count:     4
    .sgpr_spill_count: 0
    .symbol:         _ZN7rocprim17ROCPRIM_400000_NS6detail17trampoline_kernelINS0_14default_configENS1_22reduce_config_selectorIN6thrust23THRUST_200600_302600_NS5tupleIilNS6_9null_typeES8_S8_S8_S8_S8_S8_S8_EEEEZNS1_11reduce_implILb0ES3_NS6_12zip_iteratorINS7_IPiNS6_11hip_rocprim19counting_iterator_tIlEES8_S8_S8_S8_S8_S8_S8_S8_EEEEPS9_S9_NSE_9__extrema9arg_max_fIilNS6_4lessIiEEEEEE10hipError_tPvRmT1_T2_T3_mT4_P12ihipStream_tbEUlT_E1_NS1_11comp_targetILNS1_3genE10ELNS1_11target_archE1200ELNS1_3gpuE4ELNS1_3repE0EEENS1_30default_config_static_selectorELNS0_4arch9wavefront6targetE1EEEvSS_.kd
    .uniform_work_group_size: 1
    .uses_dynamic_stack: false
    .vgpr_count:     0
    .vgpr_spill_count: 0
    .wavefront_size: 64
  - .agpr_count:     0
    .args:
      - .offset:         0
        .size:           64
        .value_kind:     by_value
    .group_segment_fixed_size: 0
    .kernarg_segment_align: 8
    .kernarg_segment_size: 64
    .language:       OpenCL C
    .language_version:
      - 2
      - 0
    .max_flat_workgroup_size: 256
    .name:           _ZN7rocprim17ROCPRIM_400000_NS6detail17trampoline_kernelINS0_14default_configENS1_22reduce_config_selectorIN6thrust23THRUST_200600_302600_NS5tupleIilNS6_9null_typeES8_S8_S8_S8_S8_S8_S8_EEEEZNS1_11reduce_implILb0ES3_NS6_12zip_iteratorINS7_IPiNS6_11hip_rocprim19counting_iterator_tIlEES8_S8_S8_S8_S8_S8_S8_S8_EEEEPS9_S9_NSE_9__extrema9arg_max_fIilNS6_4lessIiEEEEEE10hipError_tPvRmT1_T2_T3_mT4_P12ihipStream_tbEUlT_E1_NS1_11comp_targetILNS1_3genE9ELNS1_11target_archE1100ELNS1_3gpuE3ELNS1_3repE0EEENS1_30default_config_static_selectorELNS0_4arch9wavefront6targetE1EEEvSS_
    .private_segment_fixed_size: 0
    .sgpr_count:     4
    .sgpr_spill_count: 0
    .symbol:         _ZN7rocprim17ROCPRIM_400000_NS6detail17trampoline_kernelINS0_14default_configENS1_22reduce_config_selectorIN6thrust23THRUST_200600_302600_NS5tupleIilNS6_9null_typeES8_S8_S8_S8_S8_S8_S8_EEEEZNS1_11reduce_implILb0ES3_NS6_12zip_iteratorINS7_IPiNS6_11hip_rocprim19counting_iterator_tIlEES8_S8_S8_S8_S8_S8_S8_S8_EEEEPS9_S9_NSE_9__extrema9arg_max_fIilNS6_4lessIiEEEEEE10hipError_tPvRmT1_T2_T3_mT4_P12ihipStream_tbEUlT_E1_NS1_11comp_targetILNS1_3genE9ELNS1_11target_archE1100ELNS1_3gpuE3ELNS1_3repE0EEENS1_30default_config_static_selectorELNS0_4arch9wavefront6targetE1EEEvSS_.kd
    .uniform_work_group_size: 1
    .uses_dynamic_stack: false
    .vgpr_count:     0
    .vgpr_spill_count: 0
    .wavefront_size: 64
  - .agpr_count:     0
    .args:
      - .offset:         0
        .size:           64
        .value_kind:     by_value
    .group_segment_fixed_size: 0
    .kernarg_segment_align: 8
    .kernarg_segment_size: 64
    .language:       OpenCL C
    .language_version:
      - 2
      - 0
    .max_flat_workgroup_size: 256
    .name:           _ZN7rocprim17ROCPRIM_400000_NS6detail17trampoline_kernelINS0_14default_configENS1_22reduce_config_selectorIN6thrust23THRUST_200600_302600_NS5tupleIilNS6_9null_typeES8_S8_S8_S8_S8_S8_S8_EEEEZNS1_11reduce_implILb0ES3_NS6_12zip_iteratorINS7_IPiNS6_11hip_rocprim19counting_iterator_tIlEES8_S8_S8_S8_S8_S8_S8_S8_EEEEPS9_S9_NSE_9__extrema9arg_max_fIilNS6_4lessIiEEEEEE10hipError_tPvRmT1_T2_T3_mT4_P12ihipStream_tbEUlT_E1_NS1_11comp_targetILNS1_3genE8ELNS1_11target_archE1030ELNS1_3gpuE2ELNS1_3repE0EEENS1_30default_config_static_selectorELNS0_4arch9wavefront6targetE1EEEvSS_
    .private_segment_fixed_size: 0
    .sgpr_count:     4
    .sgpr_spill_count: 0
    .symbol:         _ZN7rocprim17ROCPRIM_400000_NS6detail17trampoline_kernelINS0_14default_configENS1_22reduce_config_selectorIN6thrust23THRUST_200600_302600_NS5tupleIilNS6_9null_typeES8_S8_S8_S8_S8_S8_S8_EEEEZNS1_11reduce_implILb0ES3_NS6_12zip_iteratorINS7_IPiNS6_11hip_rocprim19counting_iterator_tIlEES8_S8_S8_S8_S8_S8_S8_S8_EEEEPS9_S9_NSE_9__extrema9arg_max_fIilNS6_4lessIiEEEEEE10hipError_tPvRmT1_T2_T3_mT4_P12ihipStream_tbEUlT_E1_NS1_11comp_targetILNS1_3genE8ELNS1_11target_archE1030ELNS1_3gpuE2ELNS1_3repE0EEENS1_30default_config_static_selectorELNS0_4arch9wavefront6targetE1EEEvSS_.kd
    .uniform_work_group_size: 1
    .uses_dynamic_stack: false
    .vgpr_count:     0
    .vgpr_spill_count: 0
    .wavefront_size: 64
  - .agpr_count:     0
    .args:
      - .offset:         0
        .size:           16
        .value_kind:     by_value
      - .offset:         16
        .size:           8
        .value_kind:     by_value
      - .offset:         24
        .size:           8
        .value_kind:     by_value
    .group_segment_fixed_size: 0
    .kernarg_segment_align: 8
    .kernarg_segment_size: 32
    .language:       OpenCL C
    .language_version:
      - 2
      - 0
    .max_flat_workgroup_size: 256
    .name:           _ZN6thrust23THRUST_200600_302600_NS11hip_rocprim14__parallel_for6kernelILj256ENS1_10for_each_fINS0_7pointerINS0_5tupleIilNS0_9null_typeES7_S7_S7_S7_S7_S7_S7_EENS1_5par_tENS0_11use_defaultESA_EENS0_6detail16wrapped_functionINSC_23allocator_traits_detail24construct1_via_allocatorINSC_18no_throw_allocatorINSC_19temporary_allocatorIS8_S9_EEEEEEvEEEEmLj1EEEvT0_T1_SO_
    .private_segment_fixed_size: 0
    .sgpr_count:     16
    .sgpr_spill_count: 0
    .symbol:         _ZN6thrust23THRUST_200600_302600_NS11hip_rocprim14__parallel_for6kernelILj256ENS1_10for_each_fINS0_7pointerINS0_5tupleIilNS0_9null_typeES7_S7_S7_S7_S7_S7_S7_EENS1_5par_tENS0_11use_defaultESA_EENS0_6detail16wrapped_functionINSC_23allocator_traits_detail24construct1_via_allocatorINSC_18no_throw_allocatorINSC_19temporary_allocatorIS8_S9_EEEEEEvEEEEmLj1EEEvT0_T1_SO_.kd
    .uniform_work_group_size: 1
    .uses_dynamic_stack: false
    .vgpr_count:     4
    .vgpr_spill_count: 0
    .wavefront_size: 64
  - .agpr_count:     0
    .args:
      - .offset:         0
        .size:           16
        .value_kind:     by_value
      - .offset:         16
        .size:           8
        .value_kind:     by_value
      - .offset:         24
        .size:           8
        .value_kind:     by_value
    .group_segment_fixed_size: 0
    .kernarg_segment_align: 8
    .kernarg_segment_size: 32
    .language:       OpenCL C
    .language_version:
      - 2
      - 0
    .max_flat_workgroup_size: 256
    .name:           _ZN6thrust23THRUST_200600_302600_NS11hip_rocprim14__parallel_for6kernelILj256ENS1_10for_each_fINS0_7pointerINS0_5tupleIilNS0_9null_typeES7_S7_S7_S7_S7_S7_S7_EENS1_5par_tENS0_11use_defaultESA_EENS0_6detail16wrapped_functionINSC_23allocator_traits_detail5gozerEvEEEElLj1EEEvT0_T1_SJ_
    .private_segment_fixed_size: 0
    .sgpr_count:     4
    .sgpr_spill_count: 0
    .symbol:         _ZN6thrust23THRUST_200600_302600_NS11hip_rocprim14__parallel_for6kernelILj256ENS1_10for_each_fINS0_7pointerINS0_5tupleIilNS0_9null_typeES7_S7_S7_S7_S7_S7_S7_EENS1_5par_tENS0_11use_defaultESA_EENS0_6detail16wrapped_functionINSC_23allocator_traits_detail5gozerEvEEEElLj1EEEvT0_T1_SJ_.kd
    .uniform_work_group_size: 1
    .uses_dynamic_stack: false
    .vgpr_count:     0
    .vgpr_spill_count: 0
    .wavefront_size: 64
  - .agpr_count:     0
    .args:
      - .offset:         0
        .size:           16
        .value_kind:     by_value
      - .offset:         16
        .size:           8
        .value_kind:     by_value
      - .offset:         24
        .size:           8
        .value_kind:     by_value
    .group_segment_fixed_size: 0
    .kernarg_segment_align: 8
    .kernarg_segment_size: 32
    .language:       OpenCL C
    .language_version:
      - 2
      - 0
    .max_flat_workgroup_size: 256
    .name:           _ZN6thrust23THRUST_200600_302600_NS11hip_rocprim14__parallel_for6kernelILj256ENS1_20__uninitialized_copy7functorIPNS0_5tupleIilNS0_9null_typeES7_S7_S7_S7_S7_S7_S7_EENS0_7pointerIS8_NS1_5par_tENS0_11use_defaultESC_EEEEmLj1EEEvT0_T1_SG_
    .private_segment_fixed_size: 0
    .sgpr_count:     20
    .sgpr_spill_count: 0
    .symbol:         _ZN6thrust23THRUST_200600_302600_NS11hip_rocprim14__parallel_for6kernelILj256ENS1_20__uninitialized_copy7functorIPNS0_5tupleIilNS0_9null_typeES7_S7_S7_S7_S7_S7_S7_EENS0_7pointerIS8_NS1_5par_tENS0_11use_defaultESC_EEEEmLj1EEEvT0_T1_SG_.kd
    .uniform_work_group_size: 1
    .uses_dynamic_stack: false
    .vgpr_count:     8
    .vgpr_spill_count: 0
    .wavefront_size: 64
  - .agpr_count:     0
    .args:
      - .offset:         0
        .size:           120
        .value_kind:     by_value
    .group_segment_fixed_size: 0
    .kernarg_segment_align: 8
    .kernarg_segment_size: 120
    .language:       OpenCL C
    .language_version:
      - 2
      - 0
    .max_flat_workgroup_size: 512
    .name:           _ZN7rocprim17ROCPRIM_400000_NS6detail17trampoline_kernelINS0_14default_configENS1_25partition_config_selectorILNS1_17partition_subalgoE5EiNS0_10empty_typeEbEEZZNS1_14partition_implILS5_5ELb0ES3_mPiPS6_N6thrust23THRUST_200600_302600_NS18transform_iteratorINSC_6detail9not_fun_tIN6dUtils10isMinusOneIiEEEES9_NSC_11use_defaultESK_EENS0_5tupleIJS9_S6_EEENSM_IJSA_SA_EEES6_PlJS6_EEE10hipError_tPvRmT3_T4_T5_T6_T7_T9_mT8_P12ihipStream_tbDpT10_ENKUlT_T0_E_clISt17integral_constantIbLb0EES19_EEDaS14_S15_EUlS14_E_NS1_11comp_targetILNS1_3genE0ELNS1_11target_archE4294967295ELNS1_3gpuE0ELNS1_3repE0EEENS1_30default_config_static_selectorELNS0_4arch9wavefront6targetE1EEEvT1_
    .private_segment_fixed_size: 0
    .sgpr_count:     4
    .sgpr_spill_count: 0
    .symbol:         _ZN7rocprim17ROCPRIM_400000_NS6detail17trampoline_kernelINS0_14default_configENS1_25partition_config_selectorILNS1_17partition_subalgoE5EiNS0_10empty_typeEbEEZZNS1_14partition_implILS5_5ELb0ES3_mPiPS6_N6thrust23THRUST_200600_302600_NS18transform_iteratorINSC_6detail9not_fun_tIN6dUtils10isMinusOneIiEEEES9_NSC_11use_defaultESK_EENS0_5tupleIJS9_S6_EEENSM_IJSA_SA_EEES6_PlJS6_EEE10hipError_tPvRmT3_T4_T5_T6_T7_T9_mT8_P12ihipStream_tbDpT10_ENKUlT_T0_E_clISt17integral_constantIbLb0EES19_EEDaS14_S15_EUlS14_E_NS1_11comp_targetILNS1_3genE0ELNS1_11target_archE4294967295ELNS1_3gpuE0ELNS1_3repE0EEENS1_30default_config_static_selectorELNS0_4arch9wavefront6targetE1EEEvT1_.kd
    .uniform_work_group_size: 1
    .uses_dynamic_stack: false
    .vgpr_count:     0
    .vgpr_spill_count: 0
    .wavefront_size: 64
  - .agpr_count:     0
    .args:
      - .offset:         0
        .size:           120
        .value_kind:     by_value
    .group_segment_fixed_size: 0
    .kernarg_segment_align: 8
    .kernarg_segment_size: 120
    .language:       OpenCL C
    .language_version:
      - 2
      - 0
    .max_flat_workgroup_size: 512
    .name:           _ZN7rocprim17ROCPRIM_400000_NS6detail17trampoline_kernelINS0_14default_configENS1_25partition_config_selectorILNS1_17partition_subalgoE5EiNS0_10empty_typeEbEEZZNS1_14partition_implILS5_5ELb0ES3_mPiPS6_N6thrust23THRUST_200600_302600_NS18transform_iteratorINSC_6detail9not_fun_tIN6dUtils10isMinusOneIiEEEES9_NSC_11use_defaultESK_EENS0_5tupleIJS9_S6_EEENSM_IJSA_SA_EEES6_PlJS6_EEE10hipError_tPvRmT3_T4_T5_T6_T7_T9_mT8_P12ihipStream_tbDpT10_ENKUlT_T0_E_clISt17integral_constantIbLb0EES19_EEDaS14_S15_EUlS14_E_NS1_11comp_targetILNS1_3genE5ELNS1_11target_archE942ELNS1_3gpuE9ELNS1_3repE0EEENS1_30default_config_static_selectorELNS0_4arch9wavefront6targetE1EEEvT1_
    .private_segment_fixed_size: 0
    .sgpr_count:     4
    .sgpr_spill_count: 0
    .symbol:         _ZN7rocprim17ROCPRIM_400000_NS6detail17trampoline_kernelINS0_14default_configENS1_25partition_config_selectorILNS1_17partition_subalgoE5EiNS0_10empty_typeEbEEZZNS1_14partition_implILS5_5ELb0ES3_mPiPS6_N6thrust23THRUST_200600_302600_NS18transform_iteratorINSC_6detail9not_fun_tIN6dUtils10isMinusOneIiEEEES9_NSC_11use_defaultESK_EENS0_5tupleIJS9_S6_EEENSM_IJSA_SA_EEES6_PlJS6_EEE10hipError_tPvRmT3_T4_T5_T6_T7_T9_mT8_P12ihipStream_tbDpT10_ENKUlT_T0_E_clISt17integral_constantIbLb0EES19_EEDaS14_S15_EUlS14_E_NS1_11comp_targetILNS1_3genE5ELNS1_11target_archE942ELNS1_3gpuE9ELNS1_3repE0EEENS1_30default_config_static_selectorELNS0_4arch9wavefront6targetE1EEEvT1_.kd
    .uniform_work_group_size: 1
    .uses_dynamic_stack: false
    .vgpr_count:     0
    .vgpr_spill_count: 0
    .wavefront_size: 64
  - .agpr_count:     0
    .args:
      - .offset:         0
        .size:           120
        .value_kind:     by_value
    .group_segment_fixed_size: 7184
    .kernarg_segment_align: 8
    .kernarg_segment_size: 120
    .language:       OpenCL C
    .language_version:
      - 2
      - 0
    .max_flat_workgroup_size: 256
    .name:           _ZN7rocprim17ROCPRIM_400000_NS6detail17trampoline_kernelINS0_14default_configENS1_25partition_config_selectorILNS1_17partition_subalgoE5EiNS0_10empty_typeEbEEZZNS1_14partition_implILS5_5ELb0ES3_mPiPS6_N6thrust23THRUST_200600_302600_NS18transform_iteratorINSC_6detail9not_fun_tIN6dUtils10isMinusOneIiEEEES9_NSC_11use_defaultESK_EENS0_5tupleIJS9_S6_EEENSM_IJSA_SA_EEES6_PlJS6_EEE10hipError_tPvRmT3_T4_T5_T6_T7_T9_mT8_P12ihipStream_tbDpT10_ENKUlT_T0_E_clISt17integral_constantIbLb0EES19_EEDaS14_S15_EUlS14_E_NS1_11comp_targetILNS1_3genE4ELNS1_11target_archE910ELNS1_3gpuE8ELNS1_3repE0EEENS1_30default_config_static_selectorELNS0_4arch9wavefront6targetE1EEEvT1_
    .private_segment_fixed_size: 0
    .sgpr_count:     32
    .sgpr_spill_count: 0
    .symbol:         _ZN7rocprim17ROCPRIM_400000_NS6detail17trampoline_kernelINS0_14default_configENS1_25partition_config_selectorILNS1_17partition_subalgoE5EiNS0_10empty_typeEbEEZZNS1_14partition_implILS5_5ELb0ES3_mPiPS6_N6thrust23THRUST_200600_302600_NS18transform_iteratorINSC_6detail9not_fun_tIN6dUtils10isMinusOneIiEEEES9_NSC_11use_defaultESK_EENS0_5tupleIJS9_S6_EEENSM_IJSA_SA_EEES6_PlJS6_EEE10hipError_tPvRmT3_T4_T5_T6_T7_T9_mT8_P12ihipStream_tbDpT10_ENKUlT_T0_E_clISt17integral_constantIbLb0EES19_EEDaS14_S15_EUlS14_E_NS1_11comp_targetILNS1_3genE4ELNS1_11target_archE910ELNS1_3gpuE8ELNS1_3repE0EEENS1_30default_config_static_selectorELNS0_4arch9wavefront6targetE1EEEvT1_.kd
    .uniform_work_group_size: 1
    .uses_dynamic_stack: false
    .vgpr_count:     56
    .vgpr_spill_count: 0
    .wavefront_size: 64
  - .agpr_count:     0
    .args:
      - .offset:         0
        .size:           120
        .value_kind:     by_value
    .group_segment_fixed_size: 0
    .kernarg_segment_align: 8
    .kernarg_segment_size: 120
    .language:       OpenCL C
    .language_version:
      - 2
      - 0
    .max_flat_workgroup_size: 512
    .name:           _ZN7rocprim17ROCPRIM_400000_NS6detail17trampoline_kernelINS0_14default_configENS1_25partition_config_selectorILNS1_17partition_subalgoE5EiNS0_10empty_typeEbEEZZNS1_14partition_implILS5_5ELb0ES3_mPiPS6_N6thrust23THRUST_200600_302600_NS18transform_iteratorINSC_6detail9not_fun_tIN6dUtils10isMinusOneIiEEEES9_NSC_11use_defaultESK_EENS0_5tupleIJS9_S6_EEENSM_IJSA_SA_EEES6_PlJS6_EEE10hipError_tPvRmT3_T4_T5_T6_T7_T9_mT8_P12ihipStream_tbDpT10_ENKUlT_T0_E_clISt17integral_constantIbLb0EES19_EEDaS14_S15_EUlS14_E_NS1_11comp_targetILNS1_3genE3ELNS1_11target_archE908ELNS1_3gpuE7ELNS1_3repE0EEENS1_30default_config_static_selectorELNS0_4arch9wavefront6targetE1EEEvT1_
    .private_segment_fixed_size: 0
    .sgpr_count:     4
    .sgpr_spill_count: 0
    .symbol:         _ZN7rocprim17ROCPRIM_400000_NS6detail17trampoline_kernelINS0_14default_configENS1_25partition_config_selectorILNS1_17partition_subalgoE5EiNS0_10empty_typeEbEEZZNS1_14partition_implILS5_5ELb0ES3_mPiPS6_N6thrust23THRUST_200600_302600_NS18transform_iteratorINSC_6detail9not_fun_tIN6dUtils10isMinusOneIiEEEES9_NSC_11use_defaultESK_EENS0_5tupleIJS9_S6_EEENSM_IJSA_SA_EEES6_PlJS6_EEE10hipError_tPvRmT3_T4_T5_T6_T7_T9_mT8_P12ihipStream_tbDpT10_ENKUlT_T0_E_clISt17integral_constantIbLb0EES19_EEDaS14_S15_EUlS14_E_NS1_11comp_targetILNS1_3genE3ELNS1_11target_archE908ELNS1_3gpuE7ELNS1_3repE0EEENS1_30default_config_static_selectorELNS0_4arch9wavefront6targetE1EEEvT1_.kd
    .uniform_work_group_size: 1
    .uses_dynamic_stack: false
    .vgpr_count:     0
    .vgpr_spill_count: 0
    .wavefront_size: 64
  - .agpr_count:     0
    .args:
      - .offset:         0
        .size:           120
        .value_kind:     by_value
    .group_segment_fixed_size: 0
    .kernarg_segment_align: 8
    .kernarg_segment_size: 120
    .language:       OpenCL C
    .language_version:
      - 2
      - 0
    .max_flat_workgroup_size: 256
    .name:           _ZN7rocprim17ROCPRIM_400000_NS6detail17trampoline_kernelINS0_14default_configENS1_25partition_config_selectorILNS1_17partition_subalgoE5EiNS0_10empty_typeEbEEZZNS1_14partition_implILS5_5ELb0ES3_mPiPS6_N6thrust23THRUST_200600_302600_NS18transform_iteratorINSC_6detail9not_fun_tIN6dUtils10isMinusOneIiEEEES9_NSC_11use_defaultESK_EENS0_5tupleIJS9_S6_EEENSM_IJSA_SA_EEES6_PlJS6_EEE10hipError_tPvRmT3_T4_T5_T6_T7_T9_mT8_P12ihipStream_tbDpT10_ENKUlT_T0_E_clISt17integral_constantIbLb0EES19_EEDaS14_S15_EUlS14_E_NS1_11comp_targetILNS1_3genE2ELNS1_11target_archE906ELNS1_3gpuE6ELNS1_3repE0EEENS1_30default_config_static_selectorELNS0_4arch9wavefront6targetE1EEEvT1_
    .private_segment_fixed_size: 0
    .sgpr_count:     4
    .sgpr_spill_count: 0
    .symbol:         _ZN7rocprim17ROCPRIM_400000_NS6detail17trampoline_kernelINS0_14default_configENS1_25partition_config_selectorILNS1_17partition_subalgoE5EiNS0_10empty_typeEbEEZZNS1_14partition_implILS5_5ELb0ES3_mPiPS6_N6thrust23THRUST_200600_302600_NS18transform_iteratorINSC_6detail9not_fun_tIN6dUtils10isMinusOneIiEEEES9_NSC_11use_defaultESK_EENS0_5tupleIJS9_S6_EEENSM_IJSA_SA_EEES6_PlJS6_EEE10hipError_tPvRmT3_T4_T5_T6_T7_T9_mT8_P12ihipStream_tbDpT10_ENKUlT_T0_E_clISt17integral_constantIbLb0EES19_EEDaS14_S15_EUlS14_E_NS1_11comp_targetILNS1_3genE2ELNS1_11target_archE906ELNS1_3gpuE6ELNS1_3repE0EEENS1_30default_config_static_selectorELNS0_4arch9wavefront6targetE1EEEvT1_.kd
    .uniform_work_group_size: 1
    .uses_dynamic_stack: false
    .vgpr_count:     0
    .vgpr_spill_count: 0
    .wavefront_size: 64
  - .agpr_count:     0
    .args:
      - .offset:         0
        .size:           120
        .value_kind:     by_value
    .group_segment_fixed_size: 0
    .kernarg_segment_align: 8
    .kernarg_segment_size: 120
    .language:       OpenCL C
    .language_version:
      - 2
      - 0
    .max_flat_workgroup_size: 192
    .name:           _ZN7rocprim17ROCPRIM_400000_NS6detail17trampoline_kernelINS0_14default_configENS1_25partition_config_selectorILNS1_17partition_subalgoE5EiNS0_10empty_typeEbEEZZNS1_14partition_implILS5_5ELb0ES3_mPiPS6_N6thrust23THRUST_200600_302600_NS18transform_iteratorINSC_6detail9not_fun_tIN6dUtils10isMinusOneIiEEEES9_NSC_11use_defaultESK_EENS0_5tupleIJS9_S6_EEENSM_IJSA_SA_EEES6_PlJS6_EEE10hipError_tPvRmT3_T4_T5_T6_T7_T9_mT8_P12ihipStream_tbDpT10_ENKUlT_T0_E_clISt17integral_constantIbLb0EES19_EEDaS14_S15_EUlS14_E_NS1_11comp_targetILNS1_3genE10ELNS1_11target_archE1200ELNS1_3gpuE4ELNS1_3repE0EEENS1_30default_config_static_selectorELNS0_4arch9wavefront6targetE1EEEvT1_
    .private_segment_fixed_size: 0
    .sgpr_count:     4
    .sgpr_spill_count: 0
    .symbol:         _ZN7rocprim17ROCPRIM_400000_NS6detail17trampoline_kernelINS0_14default_configENS1_25partition_config_selectorILNS1_17partition_subalgoE5EiNS0_10empty_typeEbEEZZNS1_14partition_implILS5_5ELb0ES3_mPiPS6_N6thrust23THRUST_200600_302600_NS18transform_iteratorINSC_6detail9not_fun_tIN6dUtils10isMinusOneIiEEEES9_NSC_11use_defaultESK_EENS0_5tupleIJS9_S6_EEENSM_IJSA_SA_EEES6_PlJS6_EEE10hipError_tPvRmT3_T4_T5_T6_T7_T9_mT8_P12ihipStream_tbDpT10_ENKUlT_T0_E_clISt17integral_constantIbLb0EES19_EEDaS14_S15_EUlS14_E_NS1_11comp_targetILNS1_3genE10ELNS1_11target_archE1200ELNS1_3gpuE4ELNS1_3repE0EEENS1_30default_config_static_selectorELNS0_4arch9wavefront6targetE1EEEvT1_.kd
    .uniform_work_group_size: 1
    .uses_dynamic_stack: false
    .vgpr_count:     0
    .vgpr_spill_count: 0
    .wavefront_size: 64
  - .agpr_count:     0
    .args:
      - .offset:         0
        .size:           120
        .value_kind:     by_value
    .group_segment_fixed_size: 0
    .kernarg_segment_align: 8
    .kernarg_segment_size: 120
    .language:       OpenCL C
    .language_version:
      - 2
      - 0
    .max_flat_workgroup_size: 128
    .name:           _ZN7rocprim17ROCPRIM_400000_NS6detail17trampoline_kernelINS0_14default_configENS1_25partition_config_selectorILNS1_17partition_subalgoE5EiNS0_10empty_typeEbEEZZNS1_14partition_implILS5_5ELb0ES3_mPiPS6_N6thrust23THRUST_200600_302600_NS18transform_iteratorINSC_6detail9not_fun_tIN6dUtils10isMinusOneIiEEEES9_NSC_11use_defaultESK_EENS0_5tupleIJS9_S6_EEENSM_IJSA_SA_EEES6_PlJS6_EEE10hipError_tPvRmT3_T4_T5_T6_T7_T9_mT8_P12ihipStream_tbDpT10_ENKUlT_T0_E_clISt17integral_constantIbLb0EES19_EEDaS14_S15_EUlS14_E_NS1_11comp_targetILNS1_3genE9ELNS1_11target_archE1100ELNS1_3gpuE3ELNS1_3repE0EEENS1_30default_config_static_selectorELNS0_4arch9wavefront6targetE1EEEvT1_
    .private_segment_fixed_size: 0
    .sgpr_count:     4
    .sgpr_spill_count: 0
    .symbol:         _ZN7rocprim17ROCPRIM_400000_NS6detail17trampoline_kernelINS0_14default_configENS1_25partition_config_selectorILNS1_17partition_subalgoE5EiNS0_10empty_typeEbEEZZNS1_14partition_implILS5_5ELb0ES3_mPiPS6_N6thrust23THRUST_200600_302600_NS18transform_iteratorINSC_6detail9not_fun_tIN6dUtils10isMinusOneIiEEEES9_NSC_11use_defaultESK_EENS0_5tupleIJS9_S6_EEENSM_IJSA_SA_EEES6_PlJS6_EEE10hipError_tPvRmT3_T4_T5_T6_T7_T9_mT8_P12ihipStream_tbDpT10_ENKUlT_T0_E_clISt17integral_constantIbLb0EES19_EEDaS14_S15_EUlS14_E_NS1_11comp_targetILNS1_3genE9ELNS1_11target_archE1100ELNS1_3gpuE3ELNS1_3repE0EEENS1_30default_config_static_selectorELNS0_4arch9wavefront6targetE1EEEvT1_.kd
    .uniform_work_group_size: 1
    .uses_dynamic_stack: false
    .vgpr_count:     0
    .vgpr_spill_count: 0
    .wavefront_size: 64
  - .agpr_count:     0
    .args:
      - .offset:         0
        .size:           120
        .value_kind:     by_value
    .group_segment_fixed_size: 0
    .kernarg_segment_align: 8
    .kernarg_segment_size: 120
    .language:       OpenCL C
    .language_version:
      - 2
      - 0
    .max_flat_workgroup_size: 512
    .name:           _ZN7rocprim17ROCPRIM_400000_NS6detail17trampoline_kernelINS0_14default_configENS1_25partition_config_selectorILNS1_17partition_subalgoE5EiNS0_10empty_typeEbEEZZNS1_14partition_implILS5_5ELb0ES3_mPiPS6_N6thrust23THRUST_200600_302600_NS18transform_iteratorINSC_6detail9not_fun_tIN6dUtils10isMinusOneIiEEEES9_NSC_11use_defaultESK_EENS0_5tupleIJS9_S6_EEENSM_IJSA_SA_EEES6_PlJS6_EEE10hipError_tPvRmT3_T4_T5_T6_T7_T9_mT8_P12ihipStream_tbDpT10_ENKUlT_T0_E_clISt17integral_constantIbLb0EES19_EEDaS14_S15_EUlS14_E_NS1_11comp_targetILNS1_3genE8ELNS1_11target_archE1030ELNS1_3gpuE2ELNS1_3repE0EEENS1_30default_config_static_selectorELNS0_4arch9wavefront6targetE1EEEvT1_
    .private_segment_fixed_size: 0
    .sgpr_count:     4
    .sgpr_spill_count: 0
    .symbol:         _ZN7rocprim17ROCPRIM_400000_NS6detail17trampoline_kernelINS0_14default_configENS1_25partition_config_selectorILNS1_17partition_subalgoE5EiNS0_10empty_typeEbEEZZNS1_14partition_implILS5_5ELb0ES3_mPiPS6_N6thrust23THRUST_200600_302600_NS18transform_iteratorINSC_6detail9not_fun_tIN6dUtils10isMinusOneIiEEEES9_NSC_11use_defaultESK_EENS0_5tupleIJS9_S6_EEENSM_IJSA_SA_EEES6_PlJS6_EEE10hipError_tPvRmT3_T4_T5_T6_T7_T9_mT8_P12ihipStream_tbDpT10_ENKUlT_T0_E_clISt17integral_constantIbLb0EES19_EEDaS14_S15_EUlS14_E_NS1_11comp_targetILNS1_3genE8ELNS1_11target_archE1030ELNS1_3gpuE2ELNS1_3repE0EEENS1_30default_config_static_selectorELNS0_4arch9wavefront6targetE1EEEvT1_.kd
    .uniform_work_group_size: 1
    .uses_dynamic_stack: false
    .vgpr_count:     0
    .vgpr_spill_count: 0
    .wavefront_size: 64
  - .agpr_count:     0
    .args:
      - .offset:         0
        .size:           136
        .value_kind:     by_value
    .group_segment_fixed_size: 0
    .kernarg_segment_align: 8
    .kernarg_segment_size: 136
    .language:       OpenCL C
    .language_version:
      - 2
      - 0
    .max_flat_workgroup_size: 512
    .name:           _ZN7rocprim17ROCPRIM_400000_NS6detail17trampoline_kernelINS0_14default_configENS1_25partition_config_selectorILNS1_17partition_subalgoE5EiNS0_10empty_typeEbEEZZNS1_14partition_implILS5_5ELb0ES3_mPiPS6_N6thrust23THRUST_200600_302600_NS18transform_iteratorINSC_6detail9not_fun_tIN6dUtils10isMinusOneIiEEEES9_NSC_11use_defaultESK_EENS0_5tupleIJS9_S6_EEENSM_IJSA_SA_EEES6_PlJS6_EEE10hipError_tPvRmT3_T4_T5_T6_T7_T9_mT8_P12ihipStream_tbDpT10_ENKUlT_T0_E_clISt17integral_constantIbLb1EES19_EEDaS14_S15_EUlS14_E_NS1_11comp_targetILNS1_3genE0ELNS1_11target_archE4294967295ELNS1_3gpuE0ELNS1_3repE0EEENS1_30default_config_static_selectorELNS0_4arch9wavefront6targetE1EEEvT1_
    .private_segment_fixed_size: 0
    .sgpr_count:     4
    .sgpr_spill_count: 0
    .symbol:         _ZN7rocprim17ROCPRIM_400000_NS6detail17trampoline_kernelINS0_14default_configENS1_25partition_config_selectorILNS1_17partition_subalgoE5EiNS0_10empty_typeEbEEZZNS1_14partition_implILS5_5ELb0ES3_mPiPS6_N6thrust23THRUST_200600_302600_NS18transform_iteratorINSC_6detail9not_fun_tIN6dUtils10isMinusOneIiEEEES9_NSC_11use_defaultESK_EENS0_5tupleIJS9_S6_EEENSM_IJSA_SA_EEES6_PlJS6_EEE10hipError_tPvRmT3_T4_T5_T6_T7_T9_mT8_P12ihipStream_tbDpT10_ENKUlT_T0_E_clISt17integral_constantIbLb1EES19_EEDaS14_S15_EUlS14_E_NS1_11comp_targetILNS1_3genE0ELNS1_11target_archE4294967295ELNS1_3gpuE0ELNS1_3repE0EEENS1_30default_config_static_selectorELNS0_4arch9wavefront6targetE1EEEvT1_.kd
    .uniform_work_group_size: 1
    .uses_dynamic_stack: false
    .vgpr_count:     0
    .vgpr_spill_count: 0
    .wavefront_size: 64
  - .agpr_count:     0
    .args:
      - .offset:         0
        .size:           136
        .value_kind:     by_value
    .group_segment_fixed_size: 0
    .kernarg_segment_align: 8
    .kernarg_segment_size: 136
    .language:       OpenCL C
    .language_version:
      - 2
      - 0
    .max_flat_workgroup_size: 512
    .name:           _ZN7rocprim17ROCPRIM_400000_NS6detail17trampoline_kernelINS0_14default_configENS1_25partition_config_selectorILNS1_17partition_subalgoE5EiNS0_10empty_typeEbEEZZNS1_14partition_implILS5_5ELb0ES3_mPiPS6_N6thrust23THRUST_200600_302600_NS18transform_iteratorINSC_6detail9not_fun_tIN6dUtils10isMinusOneIiEEEES9_NSC_11use_defaultESK_EENS0_5tupleIJS9_S6_EEENSM_IJSA_SA_EEES6_PlJS6_EEE10hipError_tPvRmT3_T4_T5_T6_T7_T9_mT8_P12ihipStream_tbDpT10_ENKUlT_T0_E_clISt17integral_constantIbLb1EES19_EEDaS14_S15_EUlS14_E_NS1_11comp_targetILNS1_3genE5ELNS1_11target_archE942ELNS1_3gpuE9ELNS1_3repE0EEENS1_30default_config_static_selectorELNS0_4arch9wavefront6targetE1EEEvT1_
    .private_segment_fixed_size: 0
    .sgpr_count:     4
    .sgpr_spill_count: 0
    .symbol:         _ZN7rocprim17ROCPRIM_400000_NS6detail17trampoline_kernelINS0_14default_configENS1_25partition_config_selectorILNS1_17partition_subalgoE5EiNS0_10empty_typeEbEEZZNS1_14partition_implILS5_5ELb0ES3_mPiPS6_N6thrust23THRUST_200600_302600_NS18transform_iteratorINSC_6detail9not_fun_tIN6dUtils10isMinusOneIiEEEES9_NSC_11use_defaultESK_EENS0_5tupleIJS9_S6_EEENSM_IJSA_SA_EEES6_PlJS6_EEE10hipError_tPvRmT3_T4_T5_T6_T7_T9_mT8_P12ihipStream_tbDpT10_ENKUlT_T0_E_clISt17integral_constantIbLb1EES19_EEDaS14_S15_EUlS14_E_NS1_11comp_targetILNS1_3genE5ELNS1_11target_archE942ELNS1_3gpuE9ELNS1_3repE0EEENS1_30default_config_static_selectorELNS0_4arch9wavefront6targetE1EEEvT1_.kd
    .uniform_work_group_size: 1
    .uses_dynamic_stack: false
    .vgpr_count:     0
    .vgpr_spill_count: 0
    .wavefront_size: 64
  - .agpr_count:     0
    .args:
      - .offset:         0
        .size:           136
        .value_kind:     by_value
    .group_segment_fixed_size: 7184
    .kernarg_segment_align: 8
    .kernarg_segment_size: 136
    .language:       OpenCL C
    .language_version:
      - 2
      - 0
    .max_flat_workgroup_size: 256
    .name:           _ZN7rocprim17ROCPRIM_400000_NS6detail17trampoline_kernelINS0_14default_configENS1_25partition_config_selectorILNS1_17partition_subalgoE5EiNS0_10empty_typeEbEEZZNS1_14partition_implILS5_5ELb0ES3_mPiPS6_N6thrust23THRUST_200600_302600_NS18transform_iteratorINSC_6detail9not_fun_tIN6dUtils10isMinusOneIiEEEES9_NSC_11use_defaultESK_EENS0_5tupleIJS9_S6_EEENSM_IJSA_SA_EEES6_PlJS6_EEE10hipError_tPvRmT3_T4_T5_T6_T7_T9_mT8_P12ihipStream_tbDpT10_ENKUlT_T0_E_clISt17integral_constantIbLb1EES19_EEDaS14_S15_EUlS14_E_NS1_11comp_targetILNS1_3genE4ELNS1_11target_archE910ELNS1_3gpuE8ELNS1_3repE0EEENS1_30default_config_static_selectorELNS0_4arch9wavefront6targetE1EEEvT1_
    .private_segment_fixed_size: 0
    .sgpr_count:     32
    .sgpr_spill_count: 0
    .symbol:         _ZN7rocprim17ROCPRIM_400000_NS6detail17trampoline_kernelINS0_14default_configENS1_25partition_config_selectorILNS1_17partition_subalgoE5EiNS0_10empty_typeEbEEZZNS1_14partition_implILS5_5ELb0ES3_mPiPS6_N6thrust23THRUST_200600_302600_NS18transform_iteratorINSC_6detail9not_fun_tIN6dUtils10isMinusOneIiEEEES9_NSC_11use_defaultESK_EENS0_5tupleIJS9_S6_EEENSM_IJSA_SA_EEES6_PlJS6_EEE10hipError_tPvRmT3_T4_T5_T6_T7_T9_mT8_P12ihipStream_tbDpT10_ENKUlT_T0_E_clISt17integral_constantIbLb1EES19_EEDaS14_S15_EUlS14_E_NS1_11comp_targetILNS1_3genE4ELNS1_11target_archE910ELNS1_3gpuE8ELNS1_3repE0EEENS1_30default_config_static_selectorELNS0_4arch9wavefront6targetE1EEEvT1_.kd
    .uniform_work_group_size: 1
    .uses_dynamic_stack: false
    .vgpr_count:     58
    .vgpr_spill_count: 0
    .wavefront_size: 64
  - .agpr_count:     0
    .args:
      - .offset:         0
        .size:           136
        .value_kind:     by_value
    .group_segment_fixed_size: 0
    .kernarg_segment_align: 8
    .kernarg_segment_size: 136
    .language:       OpenCL C
    .language_version:
      - 2
      - 0
    .max_flat_workgroup_size: 512
    .name:           _ZN7rocprim17ROCPRIM_400000_NS6detail17trampoline_kernelINS0_14default_configENS1_25partition_config_selectorILNS1_17partition_subalgoE5EiNS0_10empty_typeEbEEZZNS1_14partition_implILS5_5ELb0ES3_mPiPS6_N6thrust23THRUST_200600_302600_NS18transform_iteratorINSC_6detail9not_fun_tIN6dUtils10isMinusOneIiEEEES9_NSC_11use_defaultESK_EENS0_5tupleIJS9_S6_EEENSM_IJSA_SA_EEES6_PlJS6_EEE10hipError_tPvRmT3_T4_T5_T6_T7_T9_mT8_P12ihipStream_tbDpT10_ENKUlT_T0_E_clISt17integral_constantIbLb1EES19_EEDaS14_S15_EUlS14_E_NS1_11comp_targetILNS1_3genE3ELNS1_11target_archE908ELNS1_3gpuE7ELNS1_3repE0EEENS1_30default_config_static_selectorELNS0_4arch9wavefront6targetE1EEEvT1_
    .private_segment_fixed_size: 0
    .sgpr_count:     4
    .sgpr_spill_count: 0
    .symbol:         _ZN7rocprim17ROCPRIM_400000_NS6detail17trampoline_kernelINS0_14default_configENS1_25partition_config_selectorILNS1_17partition_subalgoE5EiNS0_10empty_typeEbEEZZNS1_14partition_implILS5_5ELb0ES3_mPiPS6_N6thrust23THRUST_200600_302600_NS18transform_iteratorINSC_6detail9not_fun_tIN6dUtils10isMinusOneIiEEEES9_NSC_11use_defaultESK_EENS0_5tupleIJS9_S6_EEENSM_IJSA_SA_EEES6_PlJS6_EEE10hipError_tPvRmT3_T4_T5_T6_T7_T9_mT8_P12ihipStream_tbDpT10_ENKUlT_T0_E_clISt17integral_constantIbLb1EES19_EEDaS14_S15_EUlS14_E_NS1_11comp_targetILNS1_3genE3ELNS1_11target_archE908ELNS1_3gpuE7ELNS1_3repE0EEENS1_30default_config_static_selectorELNS0_4arch9wavefront6targetE1EEEvT1_.kd
    .uniform_work_group_size: 1
    .uses_dynamic_stack: false
    .vgpr_count:     0
    .vgpr_spill_count: 0
    .wavefront_size: 64
  - .agpr_count:     0
    .args:
      - .offset:         0
        .size:           136
        .value_kind:     by_value
    .group_segment_fixed_size: 0
    .kernarg_segment_align: 8
    .kernarg_segment_size: 136
    .language:       OpenCL C
    .language_version:
      - 2
      - 0
    .max_flat_workgroup_size: 256
    .name:           _ZN7rocprim17ROCPRIM_400000_NS6detail17trampoline_kernelINS0_14default_configENS1_25partition_config_selectorILNS1_17partition_subalgoE5EiNS0_10empty_typeEbEEZZNS1_14partition_implILS5_5ELb0ES3_mPiPS6_N6thrust23THRUST_200600_302600_NS18transform_iteratorINSC_6detail9not_fun_tIN6dUtils10isMinusOneIiEEEES9_NSC_11use_defaultESK_EENS0_5tupleIJS9_S6_EEENSM_IJSA_SA_EEES6_PlJS6_EEE10hipError_tPvRmT3_T4_T5_T6_T7_T9_mT8_P12ihipStream_tbDpT10_ENKUlT_T0_E_clISt17integral_constantIbLb1EES19_EEDaS14_S15_EUlS14_E_NS1_11comp_targetILNS1_3genE2ELNS1_11target_archE906ELNS1_3gpuE6ELNS1_3repE0EEENS1_30default_config_static_selectorELNS0_4arch9wavefront6targetE1EEEvT1_
    .private_segment_fixed_size: 0
    .sgpr_count:     4
    .sgpr_spill_count: 0
    .symbol:         _ZN7rocprim17ROCPRIM_400000_NS6detail17trampoline_kernelINS0_14default_configENS1_25partition_config_selectorILNS1_17partition_subalgoE5EiNS0_10empty_typeEbEEZZNS1_14partition_implILS5_5ELb0ES3_mPiPS6_N6thrust23THRUST_200600_302600_NS18transform_iteratorINSC_6detail9not_fun_tIN6dUtils10isMinusOneIiEEEES9_NSC_11use_defaultESK_EENS0_5tupleIJS9_S6_EEENSM_IJSA_SA_EEES6_PlJS6_EEE10hipError_tPvRmT3_T4_T5_T6_T7_T9_mT8_P12ihipStream_tbDpT10_ENKUlT_T0_E_clISt17integral_constantIbLb1EES19_EEDaS14_S15_EUlS14_E_NS1_11comp_targetILNS1_3genE2ELNS1_11target_archE906ELNS1_3gpuE6ELNS1_3repE0EEENS1_30default_config_static_selectorELNS0_4arch9wavefront6targetE1EEEvT1_.kd
    .uniform_work_group_size: 1
    .uses_dynamic_stack: false
    .vgpr_count:     0
    .vgpr_spill_count: 0
    .wavefront_size: 64
  - .agpr_count:     0
    .args:
      - .offset:         0
        .size:           136
        .value_kind:     by_value
    .group_segment_fixed_size: 0
    .kernarg_segment_align: 8
    .kernarg_segment_size: 136
    .language:       OpenCL C
    .language_version:
      - 2
      - 0
    .max_flat_workgroup_size: 192
    .name:           _ZN7rocprim17ROCPRIM_400000_NS6detail17trampoline_kernelINS0_14default_configENS1_25partition_config_selectorILNS1_17partition_subalgoE5EiNS0_10empty_typeEbEEZZNS1_14partition_implILS5_5ELb0ES3_mPiPS6_N6thrust23THRUST_200600_302600_NS18transform_iteratorINSC_6detail9not_fun_tIN6dUtils10isMinusOneIiEEEES9_NSC_11use_defaultESK_EENS0_5tupleIJS9_S6_EEENSM_IJSA_SA_EEES6_PlJS6_EEE10hipError_tPvRmT3_T4_T5_T6_T7_T9_mT8_P12ihipStream_tbDpT10_ENKUlT_T0_E_clISt17integral_constantIbLb1EES19_EEDaS14_S15_EUlS14_E_NS1_11comp_targetILNS1_3genE10ELNS1_11target_archE1200ELNS1_3gpuE4ELNS1_3repE0EEENS1_30default_config_static_selectorELNS0_4arch9wavefront6targetE1EEEvT1_
    .private_segment_fixed_size: 0
    .sgpr_count:     4
    .sgpr_spill_count: 0
    .symbol:         _ZN7rocprim17ROCPRIM_400000_NS6detail17trampoline_kernelINS0_14default_configENS1_25partition_config_selectorILNS1_17partition_subalgoE5EiNS0_10empty_typeEbEEZZNS1_14partition_implILS5_5ELb0ES3_mPiPS6_N6thrust23THRUST_200600_302600_NS18transform_iteratorINSC_6detail9not_fun_tIN6dUtils10isMinusOneIiEEEES9_NSC_11use_defaultESK_EENS0_5tupleIJS9_S6_EEENSM_IJSA_SA_EEES6_PlJS6_EEE10hipError_tPvRmT3_T4_T5_T6_T7_T9_mT8_P12ihipStream_tbDpT10_ENKUlT_T0_E_clISt17integral_constantIbLb1EES19_EEDaS14_S15_EUlS14_E_NS1_11comp_targetILNS1_3genE10ELNS1_11target_archE1200ELNS1_3gpuE4ELNS1_3repE0EEENS1_30default_config_static_selectorELNS0_4arch9wavefront6targetE1EEEvT1_.kd
    .uniform_work_group_size: 1
    .uses_dynamic_stack: false
    .vgpr_count:     0
    .vgpr_spill_count: 0
    .wavefront_size: 64
  - .agpr_count:     0
    .args:
      - .offset:         0
        .size:           136
        .value_kind:     by_value
    .group_segment_fixed_size: 0
    .kernarg_segment_align: 8
    .kernarg_segment_size: 136
    .language:       OpenCL C
    .language_version:
      - 2
      - 0
    .max_flat_workgroup_size: 128
    .name:           _ZN7rocprim17ROCPRIM_400000_NS6detail17trampoline_kernelINS0_14default_configENS1_25partition_config_selectorILNS1_17partition_subalgoE5EiNS0_10empty_typeEbEEZZNS1_14partition_implILS5_5ELb0ES3_mPiPS6_N6thrust23THRUST_200600_302600_NS18transform_iteratorINSC_6detail9not_fun_tIN6dUtils10isMinusOneIiEEEES9_NSC_11use_defaultESK_EENS0_5tupleIJS9_S6_EEENSM_IJSA_SA_EEES6_PlJS6_EEE10hipError_tPvRmT3_T4_T5_T6_T7_T9_mT8_P12ihipStream_tbDpT10_ENKUlT_T0_E_clISt17integral_constantIbLb1EES19_EEDaS14_S15_EUlS14_E_NS1_11comp_targetILNS1_3genE9ELNS1_11target_archE1100ELNS1_3gpuE3ELNS1_3repE0EEENS1_30default_config_static_selectorELNS0_4arch9wavefront6targetE1EEEvT1_
    .private_segment_fixed_size: 0
    .sgpr_count:     4
    .sgpr_spill_count: 0
    .symbol:         _ZN7rocprim17ROCPRIM_400000_NS6detail17trampoline_kernelINS0_14default_configENS1_25partition_config_selectorILNS1_17partition_subalgoE5EiNS0_10empty_typeEbEEZZNS1_14partition_implILS5_5ELb0ES3_mPiPS6_N6thrust23THRUST_200600_302600_NS18transform_iteratorINSC_6detail9not_fun_tIN6dUtils10isMinusOneIiEEEES9_NSC_11use_defaultESK_EENS0_5tupleIJS9_S6_EEENSM_IJSA_SA_EEES6_PlJS6_EEE10hipError_tPvRmT3_T4_T5_T6_T7_T9_mT8_P12ihipStream_tbDpT10_ENKUlT_T0_E_clISt17integral_constantIbLb1EES19_EEDaS14_S15_EUlS14_E_NS1_11comp_targetILNS1_3genE9ELNS1_11target_archE1100ELNS1_3gpuE3ELNS1_3repE0EEENS1_30default_config_static_selectorELNS0_4arch9wavefront6targetE1EEEvT1_.kd
    .uniform_work_group_size: 1
    .uses_dynamic_stack: false
    .vgpr_count:     0
    .vgpr_spill_count: 0
    .wavefront_size: 64
  - .agpr_count:     0
    .args:
      - .offset:         0
        .size:           136
        .value_kind:     by_value
    .group_segment_fixed_size: 0
    .kernarg_segment_align: 8
    .kernarg_segment_size: 136
    .language:       OpenCL C
    .language_version:
      - 2
      - 0
    .max_flat_workgroup_size: 512
    .name:           _ZN7rocprim17ROCPRIM_400000_NS6detail17trampoline_kernelINS0_14default_configENS1_25partition_config_selectorILNS1_17partition_subalgoE5EiNS0_10empty_typeEbEEZZNS1_14partition_implILS5_5ELb0ES3_mPiPS6_N6thrust23THRUST_200600_302600_NS18transform_iteratorINSC_6detail9not_fun_tIN6dUtils10isMinusOneIiEEEES9_NSC_11use_defaultESK_EENS0_5tupleIJS9_S6_EEENSM_IJSA_SA_EEES6_PlJS6_EEE10hipError_tPvRmT3_T4_T5_T6_T7_T9_mT8_P12ihipStream_tbDpT10_ENKUlT_T0_E_clISt17integral_constantIbLb1EES19_EEDaS14_S15_EUlS14_E_NS1_11comp_targetILNS1_3genE8ELNS1_11target_archE1030ELNS1_3gpuE2ELNS1_3repE0EEENS1_30default_config_static_selectorELNS0_4arch9wavefront6targetE1EEEvT1_
    .private_segment_fixed_size: 0
    .sgpr_count:     4
    .sgpr_spill_count: 0
    .symbol:         _ZN7rocprim17ROCPRIM_400000_NS6detail17trampoline_kernelINS0_14default_configENS1_25partition_config_selectorILNS1_17partition_subalgoE5EiNS0_10empty_typeEbEEZZNS1_14partition_implILS5_5ELb0ES3_mPiPS6_N6thrust23THRUST_200600_302600_NS18transform_iteratorINSC_6detail9not_fun_tIN6dUtils10isMinusOneIiEEEES9_NSC_11use_defaultESK_EENS0_5tupleIJS9_S6_EEENSM_IJSA_SA_EEES6_PlJS6_EEE10hipError_tPvRmT3_T4_T5_T6_T7_T9_mT8_P12ihipStream_tbDpT10_ENKUlT_T0_E_clISt17integral_constantIbLb1EES19_EEDaS14_S15_EUlS14_E_NS1_11comp_targetILNS1_3genE8ELNS1_11target_archE1030ELNS1_3gpuE2ELNS1_3repE0EEENS1_30default_config_static_selectorELNS0_4arch9wavefront6targetE1EEEvT1_.kd
    .uniform_work_group_size: 1
    .uses_dynamic_stack: false
    .vgpr_count:     0
    .vgpr_spill_count: 0
    .wavefront_size: 64
  - .agpr_count:     0
    .args:
      - .offset:         0
        .size:           120
        .value_kind:     by_value
    .group_segment_fixed_size: 0
    .kernarg_segment_align: 8
    .kernarg_segment_size: 120
    .language:       OpenCL C
    .language_version:
      - 2
      - 0
    .max_flat_workgroup_size: 512
    .name:           _ZN7rocprim17ROCPRIM_400000_NS6detail17trampoline_kernelINS0_14default_configENS1_25partition_config_selectorILNS1_17partition_subalgoE5EiNS0_10empty_typeEbEEZZNS1_14partition_implILS5_5ELb0ES3_mPiPS6_N6thrust23THRUST_200600_302600_NS18transform_iteratorINSC_6detail9not_fun_tIN6dUtils10isMinusOneIiEEEES9_NSC_11use_defaultESK_EENS0_5tupleIJS9_S6_EEENSM_IJSA_SA_EEES6_PlJS6_EEE10hipError_tPvRmT3_T4_T5_T6_T7_T9_mT8_P12ihipStream_tbDpT10_ENKUlT_T0_E_clISt17integral_constantIbLb1EES18_IbLb0EEEEDaS14_S15_EUlS14_E_NS1_11comp_targetILNS1_3genE0ELNS1_11target_archE4294967295ELNS1_3gpuE0ELNS1_3repE0EEENS1_30default_config_static_selectorELNS0_4arch9wavefront6targetE1EEEvT1_
    .private_segment_fixed_size: 0
    .sgpr_count:     4
    .sgpr_spill_count: 0
    .symbol:         _ZN7rocprim17ROCPRIM_400000_NS6detail17trampoline_kernelINS0_14default_configENS1_25partition_config_selectorILNS1_17partition_subalgoE5EiNS0_10empty_typeEbEEZZNS1_14partition_implILS5_5ELb0ES3_mPiPS6_N6thrust23THRUST_200600_302600_NS18transform_iteratorINSC_6detail9not_fun_tIN6dUtils10isMinusOneIiEEEES9_NSC_11use_defaultESK_EENS0_5tupleIJS9_S6_EEENSM_IJSA_SA_EEES6_PlJS6_EEE10hipError_tPvRmT3_T4_T5_T6_T7_T9_mT8_P12ihipStream_tbDpT10_ENKUlT_T0_E_clISt17integral_constantIbLb1EES18_IbLb0EEEEDaS14_S15_EUlS14_E_NS1_11comp_targetILNS1_3genE0ELNS1_11target_archE4294967295ELNS1_3gpuE0ELNS1_3repE0EEENS1_30default_config_static_selectorELNS0_4arch9wavefront6targetE1EEEvT1_.kd
    .uniform_work_group_size: 1
    .uses_dynamic_stack: false
    .vgpr_count:     0
    .vgpr_spill_count: 0
    .wavefront_size: 64
  - .agpr_count:     0
    .args:
      - .offset:         0
        .size:           120
        .value_kind:     by_value
    .group_segment_fixed_size: 0
    .kernarg_segment_align: 8
    .kernarg_segment_size: 120
    .language:       OpenCL C
    .language_version:
      - 2
      - 0
    .max_flat_workgroup_size: 512
    .name:           _ZN7rocprim17ROCPRIM_400000_NS6detail17trampoline_kernelINS0_14default_configENS1_25partition_config_selectorILNS1_17partition_subalgoE5EiNS0_10empty_typeEbEEZZNS1_14partition_implILS5_5ELb0ES3_mPiPS6_N6thrust23THRUST_200600_302600_NS18transform_iteratorINSC_6detail9not_fun_tIN6dUtils10isMinusOneIiEEEES9_NSC_11use_defaultESK_EENS0_5tupleIJS9_S6_EEENSM_IJSA_SA_EEES6_PlJS6_EEE10hipError_tPvRmT3_T4_T5_T6_T7_T9_mT8_P12ihipStream_tbDpT10_ENKUlT_T0_E_clISt17integral_constantIbLb1EES18_IbLb0EEEEDaS14_S15_EUlS14_E_NS1_11comp_targetILNS1_3genE5ELNS1_11target_archE942ELNS1_3gpuE9ELNS1_3repE0EEENS1_30default_config_static_selectorELNS0_4arch9wavefront6targetE1EEEvT1_
    .private_segment_fixed_size: 0
    .sgpr_count:     4
    .sgpr_spill_count: 0
    .symbol:         _ZN7rocprim17ROCPRIM_400000_NS6detail17trampoline_kernelINS0_14default_configENS1_25partition_config_selectorILNS1_17partition_subalgoE5EiNS0_10empty_typeEbEEZZNS1_14partition_implILS5_5ELb0ES3_mPiPS6_N6thrust23THRUST_200600_302600_NS18transform_iteratorINSC_6detail9not_fun_tIN6dUtils10isMinusOneIiEEEES9_NSC_11use_defaultESK_EENS0_5tupleIJS9_S6_EEENSM_IJSA_SA_EEES6_PlJS6_EEE10hipError_tPvRmT3_T4_T5_T6_T7_T9_mT8_P12ihipStream_tbDpT10_ENKUlT_T0_E_clISt17integral_constantIbLb1EES18_IbLb0EEEEDaS14_S15_EUlS14_E_NS1_11comp_targetILNS1_3genE5ELNS1_11target_archE942ELNS1_3gpuE9ELNS1_3repE0EEENS1_30default_config_static_selectorELNS0_4arch9wavefront6targetE1EEEvT1_.kd
    .uniform_work_group_size: 1
    .uses_dynamic_stack: false
    .vgpr_count:     0
    .vgpr_spill_count: 0
    .wavefront_size: 64
  - .agpr_count:     0
    .args:
      - .offset:         0
        .size:           120
        .value_kind:     by_value
    .group_segment_fixed_size: 7184
    .kernarg_segment_align: 8
    .kernarg_segment_size: 120
    .language:       OpenCL C
    .language_version:
      - 2
      - 0
    .max_flat_workgroup_size: 256
    .name:           _ZN7rocprim17ROCPRIM_400000_NS6detail17trampoline_kernelINS0_14default_configENS1_25partition_config_selectorILNS1_17partition_subalgoE5EiNS0_10empty_typeEbEEZZNS1_14partition_implILS5_5ELb0ES3_mPiPS6_N6thrust23THRUST_200600_302600_NS18transform_iteratorINSC_6detail9not_fun_tIN6dUtils10isMinusOneIiEEEES9_NSC_11use_defaultESK_EENS0_5tupleIJS9_S6_EEENSM_IJSA_SA_EEES6_PlJS6_EEE10hipError_tPvRmT3_T4_T5_T6_T7_T9_mT8_P12ihipStream_tbDpT10_ENKUlT_T0_E_clISt17integral_constantIbLb1EES18_IbLb0EEEEDaS14_S15_EUlS14_E_NS1_11comp_targetILNS1_3genE4ELNS1_11target_archE910ELNS1_3gpuE8ELNS1_3repE0EEENS1_30default_config_static_selectorELNS0_4arch9wavefront6targetE1EEEvT1_
    .private_segment_fixed_size: 0
    .sgpr_count:     32
    .sgpr_spill_count: 0
    .symbol:         _ZN7rocprim17ROCPRIM_400000_NS6detail17trampoline_kernelINS0_14default_configENS1_25partition_config_selectorILNS1_17partition_subalgoE5EiNS0_10empty_typeEbEEZZNS1_14partition_implILS5_5ELb0ES3_mPiPS6_N6thrust23THRUST_200600_302600_NS18transform_iteratorINSC_6detail9not_fun_tIN6dUtils10isMinusOneIiEEEES9_NSC_11use_defaultESK_EENS0_5tupleIJS9_S6_EEENSM_IJSA_SA_EEES6_PlJS6_EEE10hipError_tPvRmT3_T4_T5_T6_T7_T9_mT8_P12ihipStream_tbDpT10_ENKUlT_T0_E_clISt17integral_constantIbLb1EES18_IbLb0EEEEDaS14_S15_EUlS14_E_NS1_11comp_targetILNS1_3genE4ELNS1_11target_archE910ELNS1_3gpuE8ELNS1_3repE0EEENS1_30default_config_static_selectorELNS0_4arch9wavefront6targetE1EEEvT1_.kd
    .uniform_work_group_size: 1
    .uses_dynamic_stack: false
    .vgpr_count:     56
    .vgpr_spill_count: 0
    .wavefront_size: 64
  - .agpr_count:     0
    .args:
      - .offset:         0
        .size:           120
        .value_kind:     by_value
    .group_segment_fixed_size: 0
    .kernarg_segment_align: 8
    .kernarg_segment_size: 120
    .language:       OpenCL C
    .language_version:
      - 2
      - 0
    .max_flat_workgroup_size: 512
    .name:           _ZN7rocprim17ROCPRIM_400000_NS6detail17trampoline_kernelINS0_14default_configENS1_25partition_config_selectorILNS1_17partition_subalgoE5EiNS0_10empty_typeEbEEZZNS1_14partition_implILS5_5ELb0ES3_mPiPS6_N6thrust23THRUST_200600_302600_NS18transform_iteratorINSC_6detail9not_fun_tIN6dUtils10isMinusOneIiEEEES9_NSC_11use_defaultESK_EENS0_5tupleIJS9_S6_EEENSM_IJSA_SA_EEES6_PlJS6_EEE10hipError_tPvRmT3_T4_T5_T6_T7_T9_mT8_P12ihipStream_tbDpT10_ENKUlT_T0_E_clISt17integral_constantIbLb1EES18_IbLb0EEEEDaS14_S15_EUlS14_E_NS1_11comp_targetILNS1_3genE3ELNS1_11target_archE908ELNS1_3gpuE7ELNS1_3repE0EEENS1_30default_config_static_selectorELNS0_4arch9wavefront6targetE1EEEvT1_
    .private_segment_fixed_size: 0
    .sgpr_count:     4
    .sgpr_spill_count: 0
    .symbol:         _ZN7rocprim17ROCPRIM_400000_NS6detail17trampoline_kernelINS0_14default_configENS1_25partition_config_selectorILNS1_17partition_subalgoE5EiNS0_10empty_typeEbEEZZNS1_14partition_implILS5_5ELb0ES3_mPiPS6_N6thrust23THRUST_200600_302600_NS18transform_iteratorINSC_6detail9not_fun_tIN6dUtils10isMinusOneIiEEEES9_NSC_11use_defaultESK_EENS0_5tupleIJS9_S6_EEENSM_IJSA_SA_EEES6_PlJS6_EEE10hipError_tPvRmT3_T4_T5_T6_T7_T9_mT8_P12ihipStream_tbDpT10_ENKUlT_T0_E_clISt17integral_constantIbLb1EES18_IbLb0EEEEDaS14_S15_EUlS14_E_NS1_11comp_targetILNS1_3genE3ELNS1_11target_archE908ELNS1_3gpuE7ELNS1_3repE0EEENS1_30default_config_static_selectorELNS0_4arch9wavefront6targetE1EEEvT1_.kd
    .uniform_work_group_size: 1
    .uses_dynamic_stack: false
    .vgpr_count:     0
    .vgpr_spill_count: 0
    .wavefront_size: 64
  - .agpr_count:     0
    .args:
      - .offset:         0
        .size:           120
        .value_kind:     by_value
    .group_segment_fixed_size: 0
    .kernarg_segment_align: 8
    .kernarg_segment_size: 120
    .language:       OpenCL C
    .language_version:
      - 2
      - 0
    .max_flat_workgroup_size: 256
    .name:           _ZN7rocprim17ROCPRIM_400000_NS6detail17trampoline_kernelINS0_14default_configENS1_25partition_config_selectorILNS1_17partition_subalgoE5EiNS0_10empty_typeEbEEZZNS1_14partition_implILS5_5ELb0ES3_mPiPS6_N6thrust23THRUST_200600_302600_NS18transform_iteratorINSC_6detail9not_fun_tIN6dUtils10isMinusOneIiEEEES9_NSC_11use_defaultESK_EENS0_5tupleIJS9_S6_EEENSM_IJSA_SA_EEES6_PlJS6_EEE10hipError_tPvRmT3_T4_T5_T6_T7_T9_mT8_P12ihipStream_tbDpT10_ENKUlT_T0_E_clISt17integral_constantIbLb1EES18_IbLb0EEEEDaS14_S15_EUlS14_E_NS1_11comp_targetILNS1_3genE2ELNS1_11target_archE906ELNS1_3gpuE6ELNS1_3repE0EEENS1_30default_config_static_selectorELNS0_4arch9wavefront6targetE1EEEvT1_
    .private_segment_fixed_size: 0
    .sgpr_count:     4
    .sgpr_spill_count: 0
    .symbol:         _ZN7rocprim17ROCPRIM_400000_NS6detail17trampoline_kernelINS0_14default_configENS1_25partition_config_selectorILNS1_17partition_subalgoE5EiNS0_10empty_typeEbEEZZNS1_14partition_implILS5_5ELb0ES3_mPiPS6_N6thrust23THRUST_200600_302600_NS18transform_iteratorINSC_6detail9not_fun_tIN6dUtils10isMinusOneIiEEEES9_NSC_11use_defaultESK_EENS0_5tupleIJS9_S6_EEENSM_IJSA_SA_EEES6_PlJS6_EEE10hipError_tPvRmT3_T4_T5_T6_T7_T9_mT8_P12ihipStream_tbDpT10_ENKUlT_T0_E_clISt17integral_constantIbLb1EES18_IbLb0EEEEDaS14_S15_EUlS14_E_NS1_11comp_targetILNS1_3genE2ELNS1_11target_archE906ELNS1_3gpuE6ELNS1_3repE0EEENS1_30default_config_static_selectorELNS0_4arch9wavefront6targetE1EEEvT1_.kd
    .uniform_work_group_size: 1
    .uses_dynamic_stack: false
    .vgpr_count:     0
    .vgpr_spill_count: 0
    .wavefront_size: 64
  - .agpr_count:     0
    .args:
      - .offset:         0
        .size:           120
        .value_kind:     by_value
    .group_segment_fixed_size: 0
    .kernarg_segment_align: 8
    .kernarg_segment_size: 120
    .language:       OpenCL C
    .language_version:
      - 2
      - 0
    .max_flat_workgroup_size: 192
    .name:           _ZN7rocprim17ROCPRIM_400000_NS6detail17trampoline_kernelINS0_14default_configENS1_25partition_config_selectorILNS1_17partition_subalgoE5EiNS0_10empty_typeEbEEZZNS1_14partition_implILS5_5ELb0ES3_mPiPS6_N6thrust23THRUST_200600_302600_NS18transform_iteratorINSC_6detail9not_fun_tIN6dUtils10isMinusOneIiEEEES9_NSC_11use_defaultESK_EENS0_5tupleIJS9_S6_EEENSM_IJSA_SA_EEES6_PlJS6_EEE10hipError_tPvRmT3_T4_T5_T6_T7_T9_mT8_P12ihipStream_tbDpT10_ENKUlT_T0_E_clISt17integral_constantIbLb1EES18_IbLb0EEEEDaS14_S15_EUlS14_E_NS1_11comp_targetILNS1_3genE10ELNS1_11target_archE1200ELNS1_3gpuE4ELNS1_3repE0EEENS1_30default_config_static_selectorELNS0_4arch9wavefront6targetE1EEEvT1_
    .private_segment_fixed_size: 0
    .sgpr_count:     4
    .sgpr_spill_count: 0
    .symbol:         _ZN7rocprim17ROCPRIM_400000_NS6detail17trampoline_kernelINS0_14default_configENS1_25partition_config_selectorILNS1_17partition_subalgoE5EiNS0_10empty_typeEbEEZZNS1_14partition_implILS5_5ELb0ES3_mPiPS6_N6thrust23THRUST_200600_302600_NS18transform_iteratorINSC_6detail9not_fun_tIN6dUtils10isMinusOneIiEEEES9_NSC_11use_defaultESK_EENS0_5tupleIJS9_S6_EEENSM_IJSA_SA_EEES6_PlJS6_EEE10hipError_tPvRmT3_T4_T5_T6_T7_T9_mT8_P12ihipStream_tbDpT10_ENKUlT_T0_E_clISt17integral_constantIbLb1EES18_IbLb0EEEEDaS14_S15_EUlS14_E_NS1_11comp_targetILNS1_3genE10ELNS1_11target_archE1200ELNS1_3gpuE4ELNS1_3repE0EEENS1_30default_config_static_selectorELNS0_4arch9wavefront6targetE1EEEvT1_.kd
    .uniform_work_group_size: 1
    .uses_dynamic_stack: false
    .vgpr_count:     0
    .vgpr_spill_count: 0
    .wavefront_size: 64
  - .agpr_count:     0
    .args:
      - .offset:         0
        .size:           120
        .value_kind:     by_value
    .group_segment_fixed_size: 0
    .kernarg_segment_align: 8
    .kernarg_segment_size: 120
    .language:       OpenCL C
    .language_version:
      - 2
      - 0
    .max_flat_workgroup_size: 128
    .name:           _ZN7rocprim17ROCPRIM_400000_NS6detail17trampoline_kernelINS0_14default_configENS1_25partition_config_selectorILNS1_17partition_subalgoE5EiNS0_10empty_typeEbEEZZNS1_14partition_implILS5_5ELb0ES3_mPiPS6_N6thrust23THRUST_200600_302600_NS18transform_iteratorINSC_6detail9not_fun_tIN6dUtils10isMinusOneIiEEEES9_NSC_11use_defaultESK_EENS0_5tupleIJS9_S6_EEENSM_IJSA_SA_EEES6_PlJS6_EEE10hipError_tPvRmT3_T4_T5_T6_T7_T9_mT8_P12ihipStream_tbDpT10_ENKUlT_T0_E_clISt17integral_constantIbLb1EES18_IbLb0EEEEDaS14_S15_EUlS14_E_NS1_11comp_targetILNS1_3genE9ELNS1_11target_archE1100ELNS1_3gpuE3ELNS1_3repE0EEENS1_30default_config_static_selectorELNS0_4arch9wavefront6targetE1EEEvT1_
    .private_segment_fixed_size: 0
    .sgpr_count:     4
    .sgpr_spill_count: 0
    .symbol:         _ZN7rocprim17ROCPRIM_400000_NS6detail17trampoline_kernelINS0_14default_configENS1_25partition_config_selectorILNS1_17partition_subalgoE5EiNS0_10empty_typeEbEEZZNS1_14partition_implILS5_5ELb0ES3_mPiPS6_N6thrust23THRUST_200600_302600_NS18transform_iteratorINSC_6detail9not_fun_tIN6dUtils10isMinusOneIiEEEES9_NSC_11use_defaultESK_EENS0_5tupleIJS9_S6_EEENSM_IJSA_SA_EEES6_PlJS6_EEE10hipError_tPvRmT3_T4_T5_T6_T7_T9_mT8_P12ihipStream_tbDpT10_ENKUlT_T0_E_clISt17integral_constantIbLb1EES18_IbLb0EEEEDaS14_S15_EUlS14_E_NS1_11comp_targetILNS1_3genE9ELNS1_11target_archE1100ELNS1_3gpuE3ELNS1_3repE0EEENS1_30default_config_static_selectorELNS0_4arch9wavefront6targetE1EEEvT1_.kd
    .uniform_work_group_size: 1
    .uses_dynamic_stack: false
    .vgpr_count:     0
    .vgpr_spill_count: 0
    .wavefront_size: 64
  - .agpr_count:     0
    .args:
      - .offset:         0
        .size:           120
        .value_kind:     by_value
    .group_segment_fixed_size: 0
    .kernarg_segment_align: 8
    .kernarg_segment_size: 120
    .language:       OpenCL C
    .language_version:
      - 2
      - 0
    .max_flat_workgroup_size: 512
    .name:           _ZN7rocprim17ROCPRIM_400000_NS6detail17trampoline_kernelINS0_14default_configENS1_25partition_config_selectorILNS1_17partition_subalgoE5EiNS0_10empty_typeEbEEZZNS1_14partition_implILS5_5ELb0ES3_mPiPS6_N6thrust23THRUST_200600_302600_NS18transform_iteratorINSC_6detail9not_fun_tIN6dUtils10isMinusOneIiEEEES9_NSC_11use_defaultESK_EENS0_5tupleIJS9_S6_EEENSM_IJSA_SA_EEES6_PlJS6_EEE10hipError_tPvRmT3_T4_T5_T6_T7_T9_mT8_P12ihipStream_tbDpT10_ENKUlT_T0_E_clISt17integral_constantIbLb1EES18_IbLb0EEEEDaS14_S15_EUlS14_E_NS1_11comp_targetILNS1_3genE8ELNS1_11target_archE1030ELNS1_3gpuE2ELNS1_3repE0EEENS1_30default_config_static_selectorELNS0_4arch9wavefront6targetE1EEEvT1_
    .private_segment_fixed_size: 0
    .sgpr_count:     4
    .sgpr_spill_count: 0
    .symbol:         _ZN7rocprim17ROCPRIM_400000_NS6detail17trampoline_kernelINS0_14default_configENS1_25partition_config_selectorILNS1_17partition_subalgoE5EiNS0_10empty_typeEbEEZZNS1_14partition_implILS5_5ELb0ES3_mPiPS6_N6thrust23THRUST_200600_302600_NS18transform_iteratorINSC_6detail9not_fun_tIN6dUtils10isMinusOneIiEEEES9_NSC_11use_defaultESK_EENS0_5tupleIJS9_S6_EEENSM_IJSA_SA_EEES6_PlJS6_EEE10hipError_tPvRmT3_T4_T5_T6_T7_T9_mT8_P12ihipStream_tbDpT10_ENKUlT_T0_E_clISt17integral_constantIbLb1EES18_IbLb0EEEEDaS14_S15_EUlS14_E_NS1_11comp_targetILNS1_3genE8ELNS1_11target_archE1030ELNS1_3gpuE2ELNS1_3repE0EEENS1_30default_config_static_selectorELNS0_4arch9wavefront6targetE1EEEvT1_.kd
    .uniform_work_group_size: 1
    .uses_dynamic_stack: false
    .vgpr_count:     0
    .vgpr_spill_count: 0
    .wavefront_size: 64
  - .agpr_count:     0
    .args:
      - .offset:         0
        .size:           136
        .value_kind:     by_value
    .group_segment_fixed_size: 0
    .kernarg_segment_align: 8
    .kernarg_segment_size: 136
    .language:       OpenCL C
    .language_version:
      - 2
      - 0
    .max_flat_workgroup_size: 512
    .name:           _ZN7rocprim17ROCPRIM_400000_NS6detail17trampoline_kernelINS0_14default_configENS1_25partition_config_selectorILNS1_17partition_subalgoE5EiNS0_10empty_typeEbEEZZNS1_14partition_implILS5_5ELb0ES3_mPiPS6_N6thrust23THRUST_200600_302600_NS18transform_iteratorINSC_6detail9not_fun_tIN6dUtils10isMinusOneIiEEEES9_NSC_11use_defaultESK_EENS0_5tupleIJS9_S6_EEENSM_IJSA_SA_EEES6_PlJS6_EEE10hipError_tPvRmT3_T4_T5_T6_T7_T9_mT8_P12ihipStream_tbDpT10_ENKUlT_T0_E_clISt17integral_constantIbLb0EES18_IbLb1EEEEDaS14_S15_EUlS14_E_NS1_11comp_targetILNS1_3genE0ELNS1_11target_archE4294967295ELNS1_3gpuE0ELNS1_3repE0EEENS1_30default_config_static_selectorELNS0_4arch9wavefront6targetE1EEEvT1_
    .private_segment_fixed_size: 0
    .sgpr_count:     4
    .sgpr_spill_count: 0
    .symbol:         _ZN7rocprim17ROCPRIM_400000_NS6detail17trampoline_kernelINS0_14default_configENS1_25partition_config_selectorILNS1_17partition_subalgoE5EiNS0_10empty_typeEbEEZZNS1_14partition_implILS5_5ELb0ES3_mPiPS6_N6thrust23THRUST_200600_302600_NS18transform_iteratorINSC_6detail9not_fun_tIN6dUtils10isMinusOneIiEEEES9_NSC_11use_defaultESK_EENS0_5tupleIJS9_S6_EEENSM_IJSA_SA_EEES6_PlJS6_EEE10hipError_tPvRmT3_T4_T5_T6_T7_T9_mT8_P12ihipStream_tbDpT10_ENKUlT_T0_E_clISt17integral_constantIbLb0EES18_IbLb1EEEEDaS14_S15_EUlS14_E_NS1_11comp_targetILNS1_3genE0ELNS1_11target_archE4294967295ELNS1_3gpuE0ELNS1_3repE0EEENS1_30default_config_static_selectorELNS0_4arch9wavefront6targetE1EEEvT1_.kd
    .uniform_work_group_size: 1
    .uses_dynamic_stack: false
    .vgpr_count:     0
    .vgpr_spill_count: 0
    .wavefront_size: 64
  - .agpr_count:     0
    .args:
      - .offset:         0
        .size:           136
        .value_kind:     by_value
    .group_segment_fixed_size: 0
    .kernarg_segment_align: 8
    .kernarg_segment_size: 136
    .language:       OpenCL C
    .language_version:
      - 2
      - 0
    .max_flat_workgroup_size: 512
    .name:           _ZN7rocprim17ROCPRIM_400000_NS6detail17trampoline_kernelINS0_14default_configENS1_25partition_config_selectorILNS1_17partition_subalgoE5EiNS0_10empty_typeEbEEZZNS1_14partition_implILS5_5ELb0ES3_mPiPS6_N6thrust23THRUST_200600_302600_NS18transform_iteratorINSC_6detail9not_fun_tIN6dUtils10isMinusOneIiEEEES9_NSC_11use_defaultESK_EENS0_5tupleIJS9_S6_EEENSM_IJSA_SA_EEES6_PlJS6_EEE10hipError_tPvRmT3_T4_T5_T6_T7_T9_mT8_P12ihipStream_tbDpT10_ENKUlT_T0_E_clISt17integral_constantIbLb0EES18_IbLb1EEEEDaS14_S15_EUlS14_E_NS1_11comp_targetILNS1_3genE5ELNS1_11target_archE942ELNS1_3gpuE9ELNS1_3repE0EEENS1_30default_config_static_selectorELNS0_4arch9wavefront6targetE1EEEvT1_
    .private_segment_fixed_size: 0
    .sgpr_count:     4
    .sgpr_spill_count: 0
    .symbol:         _ZN7rocprim17ROCPRIM_400000_NS6detail17trampoline_kernelINS0_14default_configENS1_25partition_config_selectorILNS1_17partition_subalgoE5EiNS0_10empty_typeEbEEZZNS1_14partition_implILS5_5ELb0ES3_mPiPS6_N6thrust23THRUST_200600_302600_NS18transform_iteratorINSC_6detail9not_fun_tIN6dUtils10isMinusOneIiEEEES9_NSC_11use_defaultESK_EENS0_5tupleIJS9_S6_EEENSM_IJSA_SA_EEES6_PlJS6_EEE10hipError_tPvRmT3_T4_T5_T6_T7_T9_mT8_P12ihipStream_tbDpT10_ENKUlT_T0_E_clISt17integral_constantIbLb0EES18_IbLb1EEEEDaS14_S15_EUlS14_E_NS1_11comp_targetILNS1_3genE5ELNS1_11target_archE942ELNS1_3gpuE9ELNS1_3repE0EEENS1_30default_config_static_selectorELNS0_4arch9wavefront6targetE1EEEvT1_.kd
    .uniform_work_group_size: 1
    .uses_dynamic_stack: false
    .vgpr_count:     0
    .vgpr_spill_count: 0
    .wavefront_size: 64
  - .agpr_count:     0
    .args:
      - .offset:         0
        .size:           136
        .value_kind:     by_value
    .group_segment_fixed_size: 7184
    .kernarg_segment_align: 8
    .kernarg_segment_size: 136
    .language:       OpenCL C
    .language_version:
      - 2
      - 0
    .max_flat_workgroup_size: 256
    .name:           _ZN7rocprim17ROCPRIM_400000_NS6detail17trampoline_kernelINS0_14default_configENS1_25partition_config_selectorILNS1_17partition_subalgoE5EiNS0_10empty_typeEbEEZZNS1_14partition_implILS5_5ELb0ES3_mPiPS6_N6thrust23THRUST_200600_302600_NS18transform_iteratorINSC_6detail9not_fun_tIN6dUtils10isMinusOneIiEEEES9_NSC_11use_defaultESK_EENS0_5tupleIJS9_S6_EEENSM_IJSA_SA_EEES6_PlJS6_EEE10hipError_tPvRmT3_T4_T5_T6_T7_T9_mT8_P12ihipStream_tbDpT10_ENKUlT_T0_E_clISt17integral_constantIbLb0EES18_IbLb1EEEEDaS14_S15_EUlS14_E_NS1_11comp_targetILNS1_3genE4ELNS1_11target_archE910ELNS1_3gpuE8ELNS1_3repE0EEENS1_30default_config_static_selectorELNS0_4arch9wavefront6targetE1EEEvT1_
    .private_segment_fixed_size: 0
    .sgpr_count:     32
    .sgpr_spill_count: 0
    .symbol:         _ZN7rocprim17ROCPRIM_400000_NS6detail17trampoline_kernelINS0_14default_configENS1_25partition_config_selectorILNS1_17partition_subalgoE5EiNS0_10empty_typeEbEEZZNS1_14partition_implILS5_5ELb0ES3_mPiPS6_N6thrust23THRUST_200600_302600_NS18transform_iteratorINSC_6detail9not_fun_tIN6dUtils10isMinusOneIiEEEES9_NSC_11use_defaultESK_EENS0_5tupleIJS9_S6_EEENSM_IJSA_SA_EEES6_PlJS6_EEE10hipError_tPvRmT3_T4_T5_T6_T7_T9_mT8_P12ihipStream_tbDpT10_ENKUlT_T0_E_clISt17integral_constantIbLb0EES18_IbLb1EEEEDaS14_S15_EUlS14_E_NS1_11comp_targetILNS1_3genE4ELNS1_11target_archE910ELNS1_3gpuE8ELNS1_3repE0EEENS1_30default_config_static_selectorELNS0_4arch9wavefront6targetE1EEEvT1_.kd
    .uniform_work_group_size: 1
    .uses_dynamic_stack: false
    .vgpr_count:     58
    .vgpr_spill_count: 0
    .wavefront_size: 64
  - .agpr_count:     0
    .args:
      - .offset:         0
        .size:           136
        .value_kind:     by_value
    .group_segment_fixed_size: 0
    .kernarg_segment_align: 8
    .kernarg_segment_size: 136
    .language:       OpenCL C
    .language_version:
      - 2
      - 0
    .max_flat_workgroup_size: 512
    .name:           _ZN7rocprim17ROCPRIM_400000_NS6detail17trampoline_kernelINS0_14default_configENS1_25partition_config_selectorILNS1_17partition_subalgoE5EiNS0_10empty_typeEbEEZZNS1_14partition_implILS5_5ELb0ES3_mPiPS6_N6thrust23THRUST_200600_302600_NS18transform_iteratorINSC_6detail9not_fun_tIN6dUtils10isMinusOneIiEEEES9_NSC_11use_defaultESK_EENS0_5tupleIJS9_S6_EEENSM_IJSA_SA_EEES6_PlJS6_EEE10hipError_tPvRmT3_T4_T5_T6_T7_T9_mT8_P12ihipStream_tbDpT10_ENKUlT_T0_E_clISt17integral_constantIbLb0EES18_IbLb1EEEEDaS14_S15_EUlS14_E_NS1_11comp_targetILNS1_3genE3ELNS1_11target_archE908ELNS1_3gpuE7ELNS1_3repE0EEENS1_30default_config_static_selectorELNS0_4arch9wavefront6targetE1EEEvT1_
    .private_segment_fixed_size: 0
    .sgpr_count:     4
    .sgpr_spill_count: 0
    .symbol:         _ZN7rocprim17ROCPRIM_400000_NS6detail17trampoline_kernelINS0_14default_configENS1_25partition_config_selectorILNS1_17partition_subalgoE5EiNS0_10empty_typeEbEEZZNS1_14partition_implILS5_5ELb0ES3_mPiPS6_N6thrust23THRUST_200600_302600_NS18transform_iteratorINSC_6detail9not_fun_tIN6dUtils10isMinusOneIiEEEES9_NSC_11use_defaultESK_EENS0_5tupleIJS9_S6_EEENSM_IJSA_SA_EEES6_PlJS6_EEE10hipError_tPvRmT3_T4_T5_T6_T7_T9_mT8_P12ihipStream_tbDpT10_ENKUlT_T0_E_clISt17integral_constantIbLb0EES18_IbLb1EEEEDaS14_S15_EUlS14_E_NS1_11comp_targetILNS1_3genE3ELNS1_11target_archE908ELNS1_3gpuE7ELNS1_3repE0EEENS1_30default_config_static_selectorELNS0_4arch9wavefront6targetE1EEEvT1_.kd
    .uniform_work_group_size: 1
    .uses_dynamic_stack: false
    .vgpr_count:     0
    .vgpr_spill_count: 0
    .wavefront_size: 64
  - .agpr_count:     0
    .args:
      - .offset:         0
        .size:           136
        .value_kind:     by_value
    .group_segment_fixed_size: 0
    .kernarg_segment_align: 8
    .kernarg_segment_size: 136
    .language:       OpenCL C
    .language_version:
      - 2
      - 0
    .max_flat_workgroup_size: 256
    .name:           _ZN7rocprim17ROCPRIM_400000_NS6detail17trampoline_kernelINS0_14default_configENS1_25partition_config_selectorILNS1_17partition_subalgoE5EiNS0_10empty_typeEbEEZZNS1_14partition_implILS5_5ELb0ES3_mPiPS6_N6thrust23THRUST_200600_302600_NS18transform_iteratorINSC_6detail9not_fun_tIN6dUtils10isMinusOneIiEEEES9_NSC_11use_defaultESK_EENS0_5tupleIJS9_S6_EEENSM_IJSA_SA_EEES6_PlJS6_EEE10hipError_tPvRmT3_T4_T5_T6_T7_T9_mT8_P12ihipStream_tbDpT10_ENKUlT_T0_E_clISt17integral_constantIbLb0EES18_IbLb1EEEEDaS14_S15_EUlS14_E_NS1_11comp_targetILNS1_3genE2ELNS1_11target_archE906ELNS1_3gpuE6ELNS1_3repE0EEENS1_30default_config_static_selectorELNS0_4arch9wavefront6targetE1EEEvT1_
    .private_segment_fixed_size: 0
    .sgpr_count:     4
    .sgpr_spill_count: 0
    .symbol:         _ZN7rocprim17ROCPRIM_400000_NS6detail17trampoline_kernelINS0_14default_configENS1_25partition_config_selectorILNS1_17partition_subalgoE5EiNS0_10empty_typeEbEEZZNS1_14partition_implILS5_5ELb0ES3_mPiPS6_N6thrust23THRUST_200600_302600_NS18transform_iteratorINSC_6detail9not_fun_tIN6dUtils10isMinusOneIiEEEES9_NSC_11use_defaultESK_EENS0_5tupleIJS9_S6_EEENSM_IJSA_SA_EEES6_PlJS6_EEE10hipError_tPvRmT3_T4_T5_T6_T7_T9_mT8_P12ihipStream_tbDpT10_ENKUlT_T0_E_clISt17integral_constantIbLb0EES18_IbLb1EEEEDaS14_S15_EUlS14_E_NS1_11comp_targetILNS1_3genE2ELNS1_11target_archE906ELNS1_3gpuE6ELNS1_3repE0EEENS1_30default_config_static_selectorELNS0_4arch9wavefront6targetE1EEEvT1_.kd
    .uniform_work_group_size: 1
    .uses_dynamic_stack: false
    .vgpr_count:     0
    .vgpr_spill_count: 0
    .wavefront_size: 64
  - .agpr_count:     0
    .args:
      - .offset:         0
        .size:           136
        .value_kind:     by_value
    .group_segment_fixed_size: 0
    .kernarg_segment_align: 8
    .kernarg_segment_size: 136
    .language:       OpenCL C
    .language_version:
      - 2
      - 0
    .max_flat_workgroup_size: 192
    .name:           _ZN7rocprim17ROCPRIM_400000_NS6detail17trampoline_kernelINS0_14default_configENS1_25partition_config_selectorILNS1_17partition_subalgoE5EiNS0_10empty_typeEbEEZZNS1_14partition_implILS5_5ELb0ES3_mPiPS6_N6thrust23THRUST_200600_302600_NS18transform_iteratorINSC_6detail9not_fun_tIN6dUtils10isMinusOneIiEEEES9_NSC_11use_defaultESK_EENS0_5tupleIJS9_S6_EEENSM_IJSA_SA_EEES6_PlJS6_EEE10hipError_tPvRmT3_T4_T5_T6_T7_T9_mT8_P12ihipStream_tbDpT10_ENKUlT_T0_E_clISt17integral_constantIbLb0EES18_IbLb1EEEEDaS14_S15_EUlS14_E_NS1_11comp_targetILNS1_3genE10ELNS1_11target_archE1200ELNS1_3gpuE4ELNS1_3repE0EEENS1_30default_config_static_selectorELNS0_4arch9wavefront6targetE1EEEvT1_
    .private_segment_fixed_size: 0
    .sgpr_count:     4
    .sgpr_spill_count: 0
    .symbol:         _ZN7rocprim17ROCPRIM_400000_NS6detail17trampoline_kernelINS0_14default_configENS1_25partition_config_selectorILNS1_17partition_subalgoE5EiNS0_10empty_typeEbEEZZNS1_14partition_implILS5_5ELb0ES3_mPiPS6_N6thrust23THRUST_200600_302600_NS18transform_iteratorINSC_6detail9not_fun_tIN6dUtils10isMinusOneIiEEEES9_NSC_11use_defaultESK_EENS0_5tupleIJS9_S6_EEENSM_IJSA_SA_EEES6_PlJS6_EEE10hipError_tPvRmT3_T4_T5_T6_T7_T9_mT8_P12ihipStream_tbDpT10_ENKUlT_T0_E_clISt17integral_constantIbLb0EES18_IbLb1EEEEDaS14_S15_EUlS14_E_NS1_11comp_targetILNS1_3genE10ELNS1_11target_archE1200ELNS1_3gpuE4ELNS1_3repE0EEENS1_30default_config_static_selectorELNS0_4arch9wavefront6targetE1EEEvT1_.kd
    .uniform_work_group_size: 1
    .uses_dynamic_stack: false
    .vgpr_count:     0
    .vgpr_spill_count: 0
    .wavefront_size: 64
  - .agpr_count:     0
    .args:
      - .offset:         0
        .size:           136
        .value_kind:     by_value
    .group_segment_fixed_size: 0
    .kernarg_segment_align: 8
    .kernarg_segment_size: 136
    .language:       OpenCL C
    .language_version:
      - 2
      - 0
    .max_flat_workgroup_size: 128
    .name:           _ZN7rocprim17ROCPRIM_400000_NS6detail17trampoline_kernelINS0_14default_configENS1_25partition_config_selectorILNS1_17partition_subalgoE5EiNS0_10empty_typeEbEEZZNS1_14partition_implILS5_5ELb0ES3_mPiPS6_N6thrust23THRUST_200600_302600_NS18transform_iteratorINSC_6detail9not_fun_tIN6dUtils10isMinusOneIiEEEES9_NSC_11use_defaultESK_EENS0_5tupleIJS9_S6_EEENSM_IJSA_SA_EEES6_PlJS6_EEE10hipError_tPvRmT3_T4_T5_T6_T7_T9_mT8_P12ihipStream_tbDpT10_ENKUlT_T0_E_clISt17integral_constantIbLb0EES18_IbLb1EEEEDaS14_S15_EUlS14_E_NS1_11comp_targetILNS1_3genE9ELNS1_11target_archE1100ELNS1_3gpuE3ELNS1_3repE0EEENS1_30default_config_static_selectorELNS0_4arch9wavefront6targetE1EEEvT1_
    .private_segment_fixed_size: 0
    .sgpr_count:     4
    .sgpr_spill_count: 0
    .symbol:         _ZN7rocprim17ROCPRIM_400000_NS6detail17trampoline_kernelINS0_14default_configENS1_25partition_config_selectorILNS1_17partition_subalgoE5EiNS0_10empty_typeEbEEZZNS1_14partition_implILS5_5ELb0ES3_mPiPS6_N6thrust23THRUST_200600_302600_NS18transform_iteratorINSC_6detail9not_fun_tIN6dUtils10isMinusOneIiEEEES9_NSC_11use_defaultESK_EENS0_5tupleIJS9_S6_EEENSM_IJSA_SA_EEES6_PlJS6_EEE10hipError_tPvRmT3_T4_T5_T6_T7_T9_mT8_P12ihipStream_tbDpT10_ENKUlT_T0_E_clISt17integral_constantIbLb0EES18_IbLb1EEEEDaS14_S15_EUlS14_E_NS1_11comp_targetILNS1_3genE9ELNS1_11target_archE1100ELNS1_3gpuE3ELNS1_3repE0EEENS1_30default_config_static_selectorELNS0_4arch9wavefront6targetE1EEEvT1_.kd
    .uniform_work_group_size: 1
    .uses_dynamic_stack: false
    .vgpr_count:     0
    .vgpr_spill_count: 0
    .wavefront_size: 64
  - .agpr_count:     0
    .args:
      - .offset:         0
        .size:           136
        .value_kind:     by_value
    .group_segment_fixed_size: 0
    .kernarg_segment_align: 8
    .kernarg_segment_size: 136
    .language:       OpenCL C
    .language_version:
      - 2
      - 0
    .max_flat_workgroup_size: 512
    .name:           _ZN7rocprim17ROCPRIM_400000_NS6detail17trampoline_kernelINS0_14default_configENS1_25partition_config_selectorILNS1_17partition_subalgoE5EiNS0_10empty_typeEbEEZZNS1_14partition_implILS5_5ELb0ES3_mPiPS6_N6thrust23THRUST_200600_302600_NS18transform_iteratorINSC_6detail9not_fun_tIN6dUtils10isMinusOneIiEEEES9_NSC_11use_defaultESK_EENS0_5tupleIJS9_S6_EEENSM_IJSA_SA_EEES6_PlJS6_EEE10hipError_tPvRmT3_T4_T5_T6_T7_T9_mT8_P12ihipStream_tbDpT10_ENKUlT_T0_E_clISt17integral_constantIbLb0EES18_IbLb1EEEEDaS14_S15_EUlS14_E_NS1_11comp_targetILNS1_3genE8ELNS1_11target_archE1030ELNS1_3gpuE2ELNS1_3repE0EEENS1_30default_config_static_selectorELNS0_4arch9wavefront6targetE1EEEvT1_
    .private_segment_fixed_size: 0
    .sgpr_count:     4
    .sgpr_spill_count: 0
    .symbol:         _ZN7rocprim17ROCPRIM_400000_NS6detail17trampoline_kernelINS0_14default_configENS1_25partition_config_selectorILNS1_17partition_subalgoE5EiNS0_10empty_typeEbEEZZNS1_14partition_implILS5_5ELb0ES3_mPiPS6_N6thrust23THRUST_200600_302600_NS18transform_iteratorINSC_6detail9not_fun_tIN6dUtils10isMinusOneIiEEEES9_NSC_11use_defaultESK_EENS0_5tupleIJS9_S6_EEENSM_IJSA_SA_EEES6_PlJS6_EEE10hipError_tPvRmT3_T4_T5_T6_T7_T9_mT8_P12ihipStream_tbDpT10_ENKUlT_T0_E_clISt17integral_constantIbLb0EES18_IbLb1EEEEDaS14_S15_EUlS14_E_NS1_11comp_targetILNS1_3genE8ELNS1_11target_archE1030ELNS1_3gpuE2ELNS1_3repE0EEENS1_30default_config_static_selectorELNS0_4arch9wavefront6targetE1EEEvT1_.kd
    .uniform_work_group_size: 1
    .uses_dynamic_stack: false
    .vgpr_count:     0
    .vgpr_spill_count: 0
    .wavefront_size: 64
  - .agpr_count:     0
    .args:
      - .offset:         0
        .size:           120
        .value_kind:     by_value
    .group_segment_fixed_size: 0
    .kernarg_segment_align: 8
    .kernarg_segment_size: 120
    .language:       OpenCL C
    .language_version:
      - 2
      - 0
    .max_flat_workgroup_size: 256
    .name:           _ZN7rocprim17ROCPRIM_400000_NS6detail17trampoline_kernelINS0_14default_configENS1_25partition_config_selectorILNS1_17partition_subalgoE6EiNS0_10empty_typeEbEEZZNS1_14partition_implILS5_6ELb0ES3_mPiPS6_SA_NS0_5tupleIJS9_S6_EEENSB_IJSA_SA_EEES6_PlJN6thrust23THRUST_200600_302600_NS6detail9not_fun_tINSH_10functional5actorINSJ_9compositeIJNSJ_27transparent_binary_operatorINSG_8equal_toIvEEEENSK_INSJ_8argumentILj0EEEEENSJ_5valueIiEEEEEEEEEEEE10hipError_tPvRmT3_T4_T5_T6_T7_T9_mT8_P12ihipStream_tbDpT10_ENKUlT_T0_E_clISt17integral_constantIbLb0EES1H_EEDaS1C_S1D_EUlS1C_E_NS1_11comp_targetILNS1_3genE0ELNS1_11target_archE4294967295ELNS1_3gpuE0ELNS1_3repE0EEENS1_30default_config_static_selectorELNS0_4arch9wavefront6targetE1EEEvT1_
    .private_segment_fixed_size: 0
    .sgpr_count:     4
    .sgpr_spill_count: 0
    .symbol:         _ZN7rocprim17ROCPRIM_400000_NS6detail17trampoline_kernelINS0_14default_configENS1_25partition_config_selectorILNS1_17partition_subalgoE6EiNS0_10empty_typeEbEEZZNS1_14partition_implILS5_6ELb0ES3_mPiPS6_SA_NS0_5tupleIJS9_S6_EEENSB_IJSA_SA_EEES6_PlJN6thrust23THRUST_200600_302600_NS6detail9not_fun_tINSH_10functional5actorINSJ_9compositeIJNSJ_27transparent_binary_operatorINSG_8equal_toIvEEEENSK_INSJ_8argumentILj0EEEEENSJ_5valueIiEEEEEEEEEEEE10hipError_tPvRmT3_T4_T5_T6_T7_T9_mT8_P12ihipStream_tbDpT10_ENKUlT_T0_E_clISt17integral_constantIbLb0EES1H_EEDaS1C_S1D_EUlS1C_E_NS1_11comp_targetILNS1_3genE0ELNS1_11target_archE4294967295ELNS1_3gpuE0ELNS1_3repE0EEENS1_30default_config_static_selectorELNS0_4arch9wavefront6targetE1EEEvT1_.kd
    .uniform_work_group_size: 1
    .uses_dynamic_stack: false
    .vgpr_count:     0
    .vgpr_spill_count: 0
    .wavefront_size: 64
  - .agpr_count:     0
    .args:
      - .offset:         0
        .size:           120
        .value_kind:     by_value
    .group_segment_fixed_size: 0
    .kernarg_segment_align: 8
    .kernarg_segment_size: 120
    .language:       OpenCL C
    .language_version:
      - 2
      - 0
    .max_flat_workgroup_size: 512
    .name:           _ZN7rocprim17ROCPRIM_400000_NS6detail17trampoline_kernelINS0_14default_configENS1_25partition_config_selectorILNS1_17partition_subalgoE6EiNS0_10empty_typeEbEEZZNS1_14partition_implILS5_6ELb0ES3_mPiPS6_SA_NS0_5tupleIJS9_S6_EEENSB_IJSA_SA_EEES6_PlJN6thrust23THRUST_200600_302600_NS6detail9not_fun_tINSH_10functional5actorINSJ_9compositeIJNSJ_27transparent_binary_operatorINSG_8equal_toIvEEEENSK_INSJ_8argumentILj0EEEEENSJ_5valueIiEEEEEEEEEEEE10hipError_tPvRmT3_T4_T5_T6_T7_T9_mT8_P12ihipStream_tbDpT10_ENKUlT_T0_E_clISt17integral_constantIbLb0EES1H_EEDaS1C_S1D_EUlS1C_E_NS1_11comp_targetILNS1_3genE5ELNS1_11target_archE942ELNS1_3gpuE9ELNS1_3repE0EEENS1_30default_config_static_selectorELNS0_4arch9wavefront6targetE1EEEvT1_
    .private_segment_fixed_size: 0
    .sgpr_count:     4
    .sgpr_spill_count: 0
    .symbol:         _ZN7rocprim17ROCPRIM_400000_NS6detail17trampoline_kernelINS0_14default_configENS1_25partition_config_selectorILNS1_17partition_subalgoE6EiNS0_10empty_typeEbEEZZNS1_14partition_implILS5_6ELb0ES3_mPiPS6_SA_NS0_5tupleIJS9_S6_EEENSB_IJSA_SA_EEES6_PlJN6thrust23THRUST_200600_302600_NS6detail9not_fun_tINSH_10functional5actorINSJ_9compositeIJNSJ_27transparent_binary_operatorINSG_8equal_toIvEEEENSK_INSJ_8argumentILj0EEEEENSJ_5valueIiEEEEEEEEEEEE10hipError_tPvRmT3_T4_T5_T6_T7_T9_mT8_P12ihipStream_tbDpT10_ENKUlT_T0_E_clISt17integral_constantIbLb0EES1H_EEDaS1C_S1D_EUlS1C_E_NS1_11comp_targetILNS1_3genE5ELNS1_11target_archE942ELNS1_3gpuE9ELNS1_3repE0EEENS1_30default_config_static_selectorELNS0_4arch9wavefront6targetE1EEEvT1_.kd
    .uniform_work_group_size: 1
    .uses_dynamic_stack: false
    .vgpr_count:     0
    .vgpr_spill_count: 0
    .wavefront_size: 64
  - .agpr_count:     0
    .args:
      - .offset:         0
        .size:           120
        .value_kind:     by_value
    .group_segment_fixed_size: 20496
    .kernarg_segment_align: 8
    .kernarg_segment_size: 120
    .language:       OpenCL C
    .language_version:
      - 2
      - 0
    .max_flat_workgroup_size: 512
    .name:           _ZN7rocprim17ROCPRIM_400000_NS6detail17trampoline_kernelINS0_14default_configENS1_25partition_config_selectorILNS1_17partition_subalgoE6EiNS0_10empty_typeEbEEZZNS1_14partition_implILS5_6ELb0ES3_mPiPS6_SA_NS0_5tupleIJS9_S6_EEENSB_IJSA_SA_EEES6_PlJN6thrust23THRUST_200600_302600_NS6detail9not_fun_tINSH_10functional5actorINSJ_9compositeIJNSJ_27transparent_binary_operatorINSG_8equal_toIvEEEENSK_INSJ_8argumentILj0EEEEENSJ_5valueIiEEEEEEEEEEEE10hipError_tPvRmT3_T4_T5_T6_T7_T9_mT8_P12ihipStream_tbDpT10_ENKUlT_T0_E_clISt17integral_constantIbLb0EES1H_EEDaS1C_S1D_EUlS1C_E_NS1_11comp_targetILNS1_3genE4ELNS1_11target_archE910ELNS1_3gpuE8ELNS1_3repE0EEENS1_30default_config_static_selectorELNS0_4arch9wavefront6targetE1EEEvT1_
    .private_segment_fixed_size: 0
    .sgpr_count:     60
    .sgpr_spill_count: 0
    .symbol:         _ZN7rocprim17ROCPRIM_400000_NS6detail17trampoline_kernelINS0_14default_configENS1_25partition_config_selectorILNS1_17partition_subalgoE6EiNS0_10empty_typeEbEEZZNS1_14partition_implILS5_6ELb0ES3_mPiPS6_SA_NS0_5tupleIJS9_S6_EEENSB_IJSA_SA_EEES6_PlJN6thrust23THRUST_200600_302600_NS6detail9not_fun_tINSH_10functional5actorINSJ_9compositeIJNSJ_27transparent_binary_operatorINSG_8equal_toIvEEEENSK_INSJ_8argumentILj0EEEEENSJ_5valueIiEEEEEEEEEEEE10hipError_tPvRmT3_T4_T5_T6_T7_T9_mT8_P12ihipStream_tbDpT10_ENKUlT_T0_E_clISt17integral_constantIbLb0EES1H_EEDaS1C_S1D_EUlS1C_E_NS1_11comp_targetILNS1_3genE4ELNS1_11target_archE910ELNS1_3gpuE8ELNS1_3repE0EEENS1_30default_config_static_selectorELNS0_4arch9wavefront6targetE1EEEvT1_.kd
    .uniform_work_group_size: 1
    .uses_dynamic_stack: false
    .vgpr_count:     61
    .vgpr_spill_count: 0
    .wavefront_size: 64
  - .agpr_count:     0
    .args:
      - .offset:         0
        .size:           120
        .value_kind:     by_value
    .group_segment_fixed_size: 0
    .kernarg_segment_align: 8
    .kernarg_segment_size: 120
    .language:       OpenCL C
    .language_version:
      - 2
      - 0
    .max_flat_workgroup_size: 256
    .name:           _ZN7rocprim17ROCPRIM_400000_NS6detail17trampoline_kernelINS0_14default_configENS1_25partition_config_selectorILNS1_17partition_subalgoE6EiNS0_10empty_typeEbEEZZNS1_14partition_implILS5_6ELb0ES3_mPiPS6_SA_NS0_5tupleIJS9_S6_EEENSB_IJSA_SA_EEES6_PlJN6thrust23THRUST_200600_302600_NS6detail9not_fun_tINSH_10functional5actorINSJ_9compositeIJNSJ_27transparent_binary_operatorINSG_8equal_toIvEEEENSK_INSJ_8argumentILj0EEEEENSJ_5valueIiEEEEEEEEEEEE10hipError_tPvRmT3_T4_T5_T6_T7_T9_mT8_P12ihipStream_tbDpT10_ENKUlT_T0_E_clISt17integral_constantIbLb0EES1H_EEDaS1C_S1D_EUlS1C_E_NS1_11comp_targetILNS1_3genE3ELNS1_11target_archE908ELNS1_3gpuE7ELNS1_3repE0EEENS1_30default_config_static_selectorELNS0_4arch9wavefront6targetE1EEEvT1_
    .private_segment_fixed_size: 0
    .sgpr_count:     4
    .sgpr_spill_count: 0
    .symbol:         _ZN7rocprim17ROCPRIM_400000_NS6detail17trampoline_kernelINS0_14default_configENS1_25partition_config_selectorILNS1_17partition_subalgoE6EiNS0_10empty_typeEbEEZZNS1_14partition_implILS5_6ELb0ES3_mPiPS6_SA_NS0_5tupleIJS9_S6_EEENSB_IJSA_SA_EEES6_PlJN6thrust23THRUST_200600_302600_NS6detail9not_fun_tINSH_10functional5actorINSJ_9compositeIJNSJ_27transparent_binary_operatorINSG_8equal_toIvEEEENSK_INSJ_8argumentILj0EEEEENSJ_5valueIiEEEEEEEEEEEE10hipError_tPvRmT3_T4_T5_T6_T7_T9_mT8_P12ihipStream_tbDpT10_ENKUlT_T0_E_clISt17integral_constantIbLb0EES1H_EEDaS1C_S1D_EUlS1C_E_NS1_11comp_targetILNS1_3genE3ELNS1_11target_archE908ELNS1_3gpuE7ELNS1_3repE0EEENS1_30default_config_static_selectorELNS0_4arch9wavefront6targetE1EEEvT1_.kd
    .uniform_work_group_size: 1
    .uses_dynamic_stack: false
    .vgpr_count:     0
    .vgpr_spill_count: 0
    .wavefront_size: 64
  - .agpr_count:     0
    .args:
      - .offset:         0
        .size:           120
        .value_kind:     by_value
    .group_segment_fixed_size: 0
    .kernarg_segment_align: 8
    .kernarg_segment_size: 120
    .language:       OpenCL C
    .language_version:
      - 2
      - 0
    .max_flat_workgroup_size: 192
    .name:           _ZN7rocprim17ROCPRIM_400000_NS6detail17trampoline_kernelINS0_14default_configENS1_25partition_config_selectorILNS1_17partition_subalgoE6EiNS0_10empty_typeEbEEZZNS1_14partition_implILS5_6ELb0ES3_mPiPS6_SA_NS0_5tupleIJS9_S6_EEENSB_IJSA_SA_EEES6_PlJN6thrust23THRUST_200600_302600_NS6detail9not_fun_tINSH_10functional5actorINSJ_9compositeIJNSJ_27transparent_binary_operatorINSG_8equal_toIvEEEENSK_INSJ_8argumentILj0EEEEENSJ_5valueIiEEEEEEEEEEEE10hipError_tPvRmT3_T4_T5_T6_T7_T9_mT8_P12ihipStream_tbDpT10_ENKUlT_T0_E_clISt17integral_constantIbLb0EES1H_EEDaS1C_S1D_EUlS1C_E_NS1_11comp_targetILNS1_3genE2ELNS1_11target_archE906ELNS1_3gpuE6ELNS1_3repE0EEENS1_30default_config_static_selectorELNS0_4arch9wavefront6targetE1EEEvT1_
    .private_segment_fixed_size: 0
    .sgpr_count:     4
    .sgpr_spill_count: 0
    .symbol:         _ZN7rocprim17ROCPRIM_400000_NS6detail17trampoline_kernelINS0_14default_configENS1_25partition_config_selectorILNS1_17partition_subalgoE6EiNS0_10empty_typeEbEEZZNS1_14partition_implILS5_6ELb0ES3_mPiPS6_SA_NS0_5tupleIJS9_S6_EEENSB_IJSA_SA_EEES6_PlJN6thrust23THRUST_200600_302600_NS6detail9not_fun_tINSH_10functional5actorINSJ_9compositeIJNSJ_27transparent_binary_operatorINSG_8equal_toIvEEEENSK_INSJ_8argumentILj0EEEEENSJ_5valueIiEEEEEEEEEEEE10hipError_tPvRmT3_T4_T5_T6_T7_T9_mT8_P12ihipStream_tbDpT10_ENKUlT_T0_E_clISt17integral_constantIbLb0EES1H_EEDaS1C_S1D_EUlS1C_E_NS1_11comp_targetILNS1_3genE2ELNS1_11target_archE906ELNS1_3gpuE6ELNS1_3repE0EEENS1_30default_config_static_selectorELNS0_4arch9wavefront6targetE1EEEvT1_.kd
    .uniform_work_group_size: 1
    .uses_dynamic_stack: false
    .vgpr_count:     0
    .vgpr_spill_count: 0
    .wavefront_size: 64
  - .agpr_count:     0
    .args:
      - .offset:         0
        .size:           120
        .value_kind:     by_value
    .group_segment_fixed_size: 0
    .kernarg_segment_align: 8
    .kernarg_segment_size: 120
    .language:       OpenCL C
    .language_version:
      - 2
      - 0
    .max_flat_workgroup_size: 384
    .name:           _ZN7rocprim17ROCPRIM_400000_NS6detail17trampoline_kernelINS0_14default_configENS1_25partition_config_selectorILNS1_17partition_subalgoE6EiNS0_10empty_typeEbEEZZNS1_14partition_implILS5_6ELb0ES3_mPiPS6_SA_NS0_5tupleIJS9_S6_EEENSB_IJSA_SA_EEES6_PlJN6thrust23THRUST_200600_302600_NS6detail9not_fun_tINSH_10functional5actorINSJ_9compositeIJNSJ_27transparent_binary_operatorINSG_8equal_toIvEEEENSK_INSJ_8argumentILj0EEEEENSJ_5valueIiEEEEEEEEEEEE10hipError_tPvRmT3_T4_T5_T6_T7_T9_mT8_P12ihipStream_tbDpT10_ENKUlT_T0_E_clISt17integral_constantIbLb0EES1H_EEDaS1C_S1D_EUlS1C_E_NS1_11comp_targetILNS1_3genE10ELNS1_11target_archE1200ELNS1_3gpuE4ELNS1_3repE0EEENS1_30default_config_static_selectorELNS0_4arch9wavefront6targetE1EEEvT1_
    .private_segment_fixed_size: 0
    .sgpr_count:     4
    .sgpr_spill_count: 0
    .symbol:         _ZN7rocprim17ROCPRIM_400000_NS6detail17trampoline_kernelINS0_14default_configENS1_25partition_config_selectorILNS1_17partition_subalgoE6EiNS0_10empty_typeEbEEZZNS1_14partition_implILS5_6ELb0ES3_mPiPS6_SA_NS0_5tupleIJS9_S6_EEENSB_IJSA_SA_EEES6_PlJN6thrust23THRUST_200600_302600_NS6detail9not_fun_tINSH_10functional5actorINSJ_9compositeIJNSJ_27transparent_binary_operatorINSG_8equal_toIvEEEENSK_INSJ_8argumentILj0EEEEENSJ_5valueIiEEEEEEEEEEEE10hipError_tPvRmT3_T4_T5_T6_T7_T9_mT8_P12ihipStream_tbDpT10_ENKUlT_T0_E_clISt17integral_constantIbLb0EES1H_EEDaS1C_S1D_EUlS1C_E_NS1_11comp_targetILNS1_3genE10ELNS1_11target_archE1200ELNS1_3gpuE4ELNS1_3repE0EEENS1_30default_config_static_selectorELNS0_4arch9wavefront6targetE1EEEvT1_.kd
    .uniform_work_group_size: 1
    .uses_dynamic_stack: false
    .vgpr_count:     0
    .vgpr_spill_count: 0
    .wavefront_size: 64
  - .agpr_count:     0
    .args:
      - .offset:         0
        .size:           120
        .value_kind:     by_value
    .group_segment_fixed_size: 0
    .kernarg_segment_align: 8
    .kernarg_segment_size: 120
    .language:       OpenCL C
    .language_version:
      - 2
      - 0
    .max_flat_workgroup_size: 128
    .name:           _ZN7rocprim17ROCPRIM_400000_NS6detail17trampoline_kernelINS0_14default_configENS1_25partition_config_selectorILNS1_17partition_subalgoE6EiNS0_10empty_typeEbEEZZNS1_14partition_implILS5_6ELb0ES3_mPiPS6_SA_NS0_5tupleIJS9_S6_EEENSB_IJSA_SA_EEES6_PlJN6thrust23THRUST_200600_302600_NS6detail9not_fun_tINSH_10functional5actorINSJ_9compositeIJNSJ_27transparent_binary_operatorINSG_8equal_toIvEEEENSK_INSJ_8argumentILj0EEEEENSJ_5valueIiEEEEEEEEEEEE10hipError_tPvRmT3_T4_T5_T6_T7_T9_mT8_P12ihipStream_tbDpT10_ENKUlT_T0_E_clISt17integral_constantIbLb0EES1H_EEDaS1C_S1D_EUlS1C_E_NS1_11comp_targetILNS1_3genE9ELNS1_11target_archE1100ELNS1_3gpuE3ELNS1_3repE0EEENS1_30default_config_static_selectorELNS0_4arch9wavefront6targetE1EEEvT1_
    .private_segment_fixed_size: 0
    .sgpr_count:     4
    .sgpr_spill_count: 0
    .symbol:         _ZN7rocprim17ROCPRIM_400000_NS6detail17trampoline_kernelINS0_14default_configENS1_25partition_config_selectorILNS1_17partition_subalgoE6EiNS0_10empty_typeEbEEZZNS1_14partition_implILS5_6ELb0ES3_mPiPS6_SA_NS0_5tupleIJS9_S6_EEENSB_IJSA_SA_EEES6_PlJN6thrust23THRUST_200600_302600_NS6detail9not_fun_tINSH_10functional5actorINSJ_9compositeIJNSJ_27transparent_binary_operatorINSG_8equal_toIvEEEENSK_INSJ_8argumentILj0EEEEENSJ_5valueIiEEEEEEEEEEEE10hipError_tPvRmT3_T4_T5_T6_T7_T9_mT8_P12ihipStream_tbDpT10_ENKUlT_T0_E_clISt17integral_constantIbLb0EES1H_EEDaS1C_S1D_EUlS1C_E_NS1_11comp_targetILNS1_3genE9ELNS1_11target_archE1100ELNS1_3gpuE3ELNS1_3repE0EEENS1_30default_config_static_selectorELNS0_4arch9wavefront6targetE1EEEvT1_.kd
    .uniform_work_group_size: 1
    .uses_dynamic_stack: false
    .vgpr_count:     0
    .vgpr_spill_count: 0
    .wavefront_size: 64
  - .agpr_count:     0
    .args:
      - .offset:         0
        .size:           120
        .value_kind:     by_value
    .group_segment_fixed_size: 0
    .kernarg_segment_align: 8
    .kernarg_segment_size: 120
    .language:       OpenCL C
    .language_version:
      - 2
      - 0
    .max_flat_workgroup_size: 512
    .name:           _ZN7rocprim17ROCPRIM_400000_NS6detail17trampoline_kernelINS0_14default_configENS1_25partition_config_selectorILNS1_17partition_subalgoE6EiNS0_10empty_typeEbEEZZNS1_14partition_implILS5_6ELb0ES3_mPiPS6_SA_NS0_5tupleIJS9_S6_EEENSB_IJSA_SA_EEES6_PlJN6thrust23THRUST_200600_302600_NS6detail9not_fun_tINSH_10functional5actorINSJ_9compositeIJNSJ_27transparent_binary_operatorINSG_8equal_toIvEEEENSK_INSJ_8argumentILj0EEEEENSJ_5valueIiEEEEEEEEEEEE10hipError_tPvRmT3_T4_T5_T6_T7_T9_mT8_P12ihipStream_tbDpT10_ENKUlT_T0_E_clISt17integral_constantIbLb0EES1H_EEDaS1C_S1D_EUlS1C_E_NS1_11comp_targetILNS1_3genE8ELNS1_11target_archE1030ELNS1_3gpuE2ELNS1_3repE0EEENS1_30default_config_static_selectorELNS0_4arch9wavefront6targetE1EEEvT1_
    .private_segment_fixed_size: 0
    .sgpr_count:     4
    .sgpr_spill_count: 0
    .symbol:         _ZN7rocprim17ROCPRIM_400000_NS6detail17trampoline_kernelINS0_14default_configENS1_25partition_config_selectorILNS1_17partition_subalgoE6EiNS0_10empty_typeEbEEZZNS1_14partition_implILS5_6ELb0ES3_mPiPS6_SA_NS0_5tupleIJS9_S6_EEENSB_IJSA_SA_EEES6_PlJN6thrust23THRUST_200600_302600_NS6detail9not_fun_tINSH_10functional5actorINSJ_9compositeIJNSJ_27transparent_binary_operatorINSG_8equal_toIvEEEENSK_INSJ_8argumentILj0EEEEENSJ_5valueIiEEEEEEEEEEEE10hipError_tPvRmT3_T4_T5_T6_T7_T9_mT8_P12ihipStream_tbDpT10_ENKUlT_T0_E_clISt17integral_constantIbLb0EES1H_EEDaS1C_S1D_EUlS1C_E_NS1_11comp_targetILNS1_3genE8ELNS1_11target_archE1030ELNS1_3gpuE2ELNS1_3repE0EEENS1_30default_config_static_selectorELNS0_4arch9wavefront6targetE1EEEvT1_.kd
    .uniform_work_group_size: 1
    .uses_dynamic_stack: false
    .vgpr_count:     0
    .vgpr_spill_count: 0
    .wavefront_size: 64
  - .agpr_count:     0
    .args:
      - .offset:         0
        .size:           128
        .value_kind:     by_value
    .group_segment_fixed_size: 0
    .kernarg_segment_align: 8
    .kernarg_segment_size: 128
    .language:       OpenCL C
    .language_version:
      - 2
      - 0
    .max_flat_workgroup_size: 256
    .name:           _ZN7rocprim17ROCPRIM_400000_NS6detail17trampoline_kernelINS0_14default_configENS1_25partition_config_selectorILNS1_17partition_subalgoE6EiNS0_10empty_typeEbEEZZNS1_14partition_implILS5_6ELb0ES3_mPiPS6_SA_NS0_5tupleIJS9_S6_EEENSB_IJSA_SA_EEES6_PlJN6thrust23THRUST_200600_302600_NS6detail9not_fun_tINSH_10functional5actorINSJ_9compositeIJNSJ_27transparent_binary_operatorINSG_8equal_toIvEEEENSK_INSJ_8argumentILj0EEEEENSJ_5valueIiEEEEEEEEEEEE10hipError_tPvRmT3_T4_T5_T6_T7_T9_mT8_P12ihipStream_tbDpT10_ENKUlT_T0_E_clISt17integral_constantIbLb1EES1H_EEDaS1C_S1D_EUlS1C_E_NS1_11comp_targetILNS1_3genE0ELNS1_11target_archE4294967295ELNS1_3gpuE0ELNS1_3repE0EEENS1_30default_config_static_selectorELNS0_4arch9wavefront6targetE1EEEvT1_
    .private_segment_fixed_size: 0
    .sgpr_count:     4
    .sgpr_spill_count: 0
    .symbol:         _ZN7rocprim17ROCPRIM_400000_NS6detail17trampoline_kernelINS0_14default_configENS1_25partition_config_selectorILNS1_17partition_subalgoE6EiNS0_10empty_typeEbEEZZNS1_14partition_implILS5_6ELb0ES3_mPiPS6_SA_NS0_5tupleIJS9_S6_EEENSB_IJSA_SA_EEES6_PlJN6thrust23THRUST_200600_302600_NS6detail9not_fun_tINSH_10functional5actorINSJ_9compositeIJNSJ_27transparent_binary_operatorINSG_8equal_toIvEEEENSK_INSJ_8argumentILj0EEEEENSJ_5valueIiEEEEEEEEEEEE10hipError_tPvRmT3_T4_T5_T6_T7_T9_mT8_P12ihipStream_tbDpT10_ENKUlT_T0_E_clISt17integral_constantIbLb1EES1H_EEDaS1C_S1D_EUlS1C_E_NS1_11comp_targetILNS1_3genE0ELNS1_11target_archE4294967295ELNS1_3gpuE0ELNS1_3repE0EEENS1_30default_config_static_selectorELNS0_4arch9wavefront6targetE1EEEvT1_.kd
    .uniform_work_group_size: 1
    .uses_dynamic_stack: false
    .vgpr_count:     0
    .vgpr_spill_count: 0
    .wavefront_size: 64
  - .agpr_count:     0
    .args:
      - .offset:         0
        .size:           128
        .value_kind:     by_value
    .group_segment_fixed_size: 0
    .kernarg_segment_align: 8
    .kernarg_segment_size: 128
    .language:       OpenCL C
    .language_version:
      - 2
      - 0
    .max_flat_workgroup_size: 512
    .name:           _ZN7rocprim17ROCPRIM_400000_NS6detail17trampoline_kernelINS0_14default_configENS1_25partition_config_selectorILNS1_17partition_subalgoE6EiNS0_10empty_typeEbEEZZNS1_14partition_implILS5_6ELb0ES3_mPiPS6_SA_NS0_5tupleIJS9_S6_EEENSB_IJSA_SA_EEES6_PlJN6thrust23THRUST_200600_302600_NS6detail9not_fun_tINSH_10functional5actorINSJ_9compositeIJNSJ_27transparent_binary_operatorINSG_8equal_toIvEEEENSK_INSJ_8argumentILj0EEEEENSJ_5valueIiEEEEEEEEEEEE10hipError_tPvRmT3_T4_T5_T6_T7_T9_mT8_P12ihipStream_tbDpT10_ENKUlT_T0_E_clISt17integral_constantIbLb1EES1H_EEDaS1C_S1D_EUlS1C_E_NS1_11comp_targetILNS1_3genE5ELNS1_11target_archE942ELNS1_3gpuE9ELNS1_3repE0EEENS1_30default_config_static_selectorELNS0_4arch9wavefront6targetE1EEEvT1_
    .private_segment_fixed_size: 0
    .sgpr_count:     4
    .sgpr_spill_count: 0
    .symbol:         _ZN7rocprim17ROCPRIM_400000_NS6detail17trampoline_kernelINS0_14default_configENS1_25partition_config_selectorILNS1_17partition_subalgoE6EiNS0_10empty_typeEbEEZZNS1_14partition_implILS5_6ELb0ES3_mPiPS6_SA_NS0_5tupleIJS9_S6_EEENSB_IJSA_SA_EEES6_PlJN6thrust23THRUST_200600_302600_NS6detail9not_fun_tINSH_10functional5actorINSJ_9compositeIJNSJ_27transparent_binary_operatorINSG_8equal_toIvEEEENSK_INSJ_8argumentILj0EEEEENSJ_5valueIiEEEEEEEEEEEE10hipError_tPvRmT3_T4_T5_T6_T7_T9_mT8_P12ihipStream_tbDpT10_ENKUlT_T0_E_clISt17integral_constantIbLb1EES1H_EEDaS1C_S1D_EUlS1C_E_NS1_11comp_targetILNS1_3genE5ELNS1_11target_archE942ELNS1_3gpuE9ELNS1_3repE0EEENS1_30default_config_static_selectorELNS0_4arch9wavefront6targetE1EEEvT1_.kd
    .uniform_work_group_size: 1
    .uses_dynamic_stack: false
    .vgpr_count:     0
    .vgpr_spill_count: 0
    .wavefront_size: 64
  - .agpr_count:     0
    .args:
      - .offset:         0
        .size:           128
        .value_kind:     by_value
    .group_segment_fixed_size: 20496
    .kernarg_segment_align: 8
    .kernarg_segment_size: 128
    .language:       OpenCL C
    .language_version:
      - 2
      - 0
    .max_flat_workgroup_size: 512
    .name:           _ZN7rocprim17ROCPRIM_400000_NS6detail17trampoline_kernelINS0_14default_configENS1_25partition_config_selectorILNS1_17partition_subalgoE6EiNS0_10empty_typeEbEEZZNS1_14partition_implILS5_6ELb0ES3_mPiPS6_SA_NS0_5tupleIJS9_S6_EEENSB_IJSA_SA_EEES6_PlJN6thrust23THRUST_200600_302600_NS6detail9not_fun_tINSH_10functional5actorINSJ_9compositeIJNSJ_27transparent_binary_operatorINSG_8equal_toIvEEEENSK_INSJ_8argumentILj0EEEEENSJ_5valueIiEEEEEEEEEEEE10hipError_tPvRmT3_T4_T5_T6_T7_T9_mT8_P12ihipStream_tbDpT10_ENKUlT_T0_E_clISt17integral_constantIbLb1EES1H_EEDaS1C_S1D_EUlS1C_E_NS1_11comp_targetILNS1_3genE4ELNS1_11target_archE910ELNS1_3gpuE8ELNS1_3repE0EEENS1_30default_config_static_selectorELNS0_4arch9wavefront6targetE1EEEvT1_
    .private_segment_fixed_size: 0
    .sgpr_count:     60
    .sgpr_spill_count: 0
    .symbol:         _ZN7rocprim17ROCPRIM_400000_NS6detail17trampoline_kernelINS0_14default_configENS1_25partition_config_selectorILNS1_17partition_subalgoE6EiNS0_10empty_typeEbEEZZNS1_14partition_implILS5_6ELb0ES3_mPiPS6_SA_NS0_5tupleIJS9_S6_EEENSB_IJSA_SA_EEES6_PlJN6thrust23THRUST_200600_302600_NS6detail9not_fun_tINSH_10functional5actorINSJ_9compositeIJNSJ_27transparent_binary_operatorINSG_8equal_toIvEEEENSK_INSJ_8argumentILj0EEEEENSJ_5valueIiEEEEEEEEEEEE10hipError_tPvRmT3_T4_T5_T6_T7_T9_mT8_P12ihipStream_tbDpT10_ENKUlT_T0_E_clISt17integral_constantIbLb1EES1H_EEDaS1C_S1D_EUlS1C_E_NS1_11comp_targetILNS1_3genE4ELNS1_11target_archE910ELNS1_3gpuE8ELNS1_3repE0EEENS1_30default_config_static_selectorELNS0_4arch9wavefront6targetE1EEEvT1_.kd
    .uniform_work_group_size: 1
    .uses_dynamic_stack: false
    .vgpr_count:     63
    .vgpr_spill_count: 0
    .wavefront_size: 64
  - .agpr_count:     0
    .args:
      - .offset:         0
        .size:           128
        .value_kind:     by_value
    .group_segment_fixed_size: 0
    .kernarg_segment_align: 8
    .kernarg_segment_size: 128
    .language:       OpenCL C
    .language_version:
      - 2
      - 0
    .max_flat_workgroup_size: 256
    .name:           _ZN7rocprim17ROCPRIM_400000_NS6detail17trampoline_kernelINS0_14default_configENS1_25partition_config_selectorILNS1_17partition_subalgoE6EiNS0_10empty_typeEbEEZZNS1_14partition_implILS5_6ELb0ES3_mPiPS6_SA_NS0_5tupleIJS9_S6_EEENSB_IJSA_SA_EEES6_PlJN6thrust23THRUST_200600_302600_NS6detail9not_fun_tINSH_10functional5actorINSJ_9compositeIJNSJ_27transparent_binary_operatorINSG_8equal_toIvEEEENSK_INSJ_8argumentILj0EEEEENSJ_5valueIiEEEEEEEEEEEE10hipError_tPvRmT3_T4_T5_T6_T7_T9_mT8_P12ihipStream_tbDpT10_ENKUlT_T0_E_clISt17integral_constantIbLb1EES1H_EEDaS1C_S1D_EUlS1C_E_NS1_11comp_targetILNS1_3genE3ELNS1_11target_archE908ELNS1_3gpuE7ELNS1_3repE0EEENS1_30default_config_static_selectorELNS0_4arch9wavefront6targetE1EEEvT1_
    .private_segment_fixed_size: 0
    .sgpr_count:     4
    .sgpr_spill_count: 0
    .symbol:         _ZN7rocprim17ROCPRIM_400000_NS6detail17trampoline_kernelINS0_14default_configENS1_25partition_config_selectorILNS1_17partition_subalgoE6EiNS0_10empty_typeEbEEZZNS1_14partition_implILS5_6ELb0ES3_mPiPS6_SA_NS0_5tupleIJS9_S6_EEENSB_IJSA_SA_EEES6_PlJN6thrust23THRUST_200600_302600_NS6detail9not_fun_tINSH_10functional5actorINSJ_9compositeIJNSJ_27transparent_binary_operatorINSG_8equal_toIvEEEENSK_INSJ_8argumentILj0EEEEENSJ_5valueIiEEEEEEEEEEEE10hipError_tPvRmT3_T4_T5_T6_T7_T9_mT8_P12ihipStream_tbDpT10_ENKUlT_T0_E_clISt17integral_constantIbLb1EES1H_EEDaS1C_S1D_EUlS1C_E_NS1_11comp_targetILNS1_3genE3ELNS1_11target_archE908ELNS1_3gpuE7ELNS1_3repE0EEENS1_30default_config_static_selectorELNS0_4arch9wavefront6targetE1EEEvT1_.kd
    .uniform_work_group_size: 1
    .uses_dynamic_stack: false
    .vgpr_count:     0
    .vgpr_spill_count: 0
    .wavefront_size: 64
  - .agpr_count:     0
    .args:
      - .offset:         0
        .size:           128
        .value_kind:     by_value
    .group_segment_fixed_size: 0
    .kernarg_segment_align: 8
    .kernarg_segment_size: 128
    .language:       OpenCL C
    .language_version:
      - 2
      - 0
    .max_flat_workgroup_size: 192
    .name:           _ZN7rocprim17ROCPRIM_400000_NS6detail17trampoline_kernelINS0_14default_configENS1_25partition_config_selectorILNS1_17partition_subalgoE6EiNS0_10empty_typeEbEEZZNS1_14partition_implILS5_6ELb0ES3_mPiPS6_SA_NS0_5tupleIJS9_S6_EEENSB_IJSA_SA_EEES6_PlJN6thrust23THRUST_200600_302600_NS6detail9not_fun_tINSH_10functional5actorINSJ_9compositeIJNSJ_27transparent_binary_operatorINSG_8equal_toIvEEEENSK_INSJ_8argumentILj0EEEEENSJ_5valueIiEEEEEEEEEEEE10hipError_tPvRmT3_T4_T5_T6_T7_T9_mT8_P12ihipStream_tbDpT10_ENKUlT_T0_E_clISt17integral_constantIbLb1EES1H_EEDaS1C_S1D_EUlS1C_E_NS1_11comp_targetILNS1_3genE2ELNS1_11target_archE906ELNS1_3gpuE6ELNS1_3repE0EEENS1_30default_config_static_selectorELNS0_4arch9wavefront6targetE1EEEvT1_
    .private_segment_fixed_size: 0
    .sgpr_count:     4
    .sgpr_spill_count: 0
    .symbol:         _ZN7rocprim17ROCPRIM_400000_NS6detail17trampoline_kernelINS0_14default_configENS1_25partition_config_selectorILNS1_17partition_subalgoE6EiNS0_10empty_typeEbEEZZNS1_14partition_implILS5_6ELb0ES3_mPiPS6_SA_NS0_5tupleIJS9_S6_EEENSB_IJSA_SA_EEES6_PlJN6thrust23THRUST_200600_302600_NS6detail9not_fun_tINSH_10functional5actorINSJ_9compositeIJNSJ_27transparent_binary_operatorINSG_8equal_toIvEEEENSK_INSJ_8argumentILj0EEEEENSJ_5valueIiEEEEEEEEEEEE10hipError_tPvRmT3_T4_T5_T6_T7_T9_mT8_P12ihipStream_tbDpT10_ENKUlT_T0_E_clISt17integral_constantIbLb1EES1H_EEDaS1C_S1D_EUlS1C_E_NS1_11comp_targetILNS1_3genE2ELNS1_11target_archE906ELNS1_3gpuE6ELNS1_3repE0EEENS1_30default_config_static_selectorELNS0_4arch9wavefront6targetE1EEEvT1_.kd
    .uniform_work_group_size: 1
    .uses_dynamic_stack: false
    .vgpr_count:     0
    .vgpr_spill_count: 0
    .wavefront_size: 64
  - .agpr_count:     0
    .args:
      - .offset:         0
        .size:           128
        .value_kind:     by_value
    .group_segment_fixed_size: 0
    .kernarg_segment_align: 8
    .kernarg_segment_size: 128
    .language:       OpenCL C
    .language_version:
      - 2
      - 0
    .max_flat_workgroup_size: 384
    .name:           _ZN7rocprim17ROCPRIM_400000_NS6detail17trampoline_kernelINS0_14default_configENS1_25partition_config_selectorILNS1_17partition_subalgoE6EiNS0_10empty_typeEbEEZZNS1_14partition_implILS5_6ELb0ES3_mPiPS6_SA_NS0_5tupleIJS9_S6_EEENSB_IJSA_SA_EEES6_PlJN6thrust23THRUST_200600_302600_NS6detail9not_fun_tINSH_10functional5actorINSJ_9compositeIJNSJ_27transparent_binary_operatorINSG_8equal_toIvEEEENSK_INSJ_8argumentILj0EEEEENSJ_5valueIiEEEEEEEEEEEE10hipError_tPvRmT3_T4_T5_T6_T7_T9_mT8_P12ihipStream_tbDpT10_ENKUlT_T0_E_clISt17integral_constantIbLb1EES1H_EEDaS1C_S1D_EUlS1C_E_NS1_11comp_targetILNS1_3genE10ELNS1_11target_archE1200ELNS1_3gpuE4ELNS1_3repE0EEENS1_30default_config_static_selectorELNS0_4arch9wavefront6targetE1EEEvT1_
    .private_segment_fixed_size: 0
    .sgpr_count:     4
    .sgpr_spill_count: 0
    .symbol:         _ZN7rocprim17ROCPRIM_400000_NS6detail17trampoline_kernelINS0_14default_configENS1_25partition_config_selectorILNS1_17partition_subalgoE6EiNS0_10empty_typeEbEEZZNS1_14partition_implILS5_6ELb0ES3_mPiPS6_SA_NS0_5tupleIJS9_S6_EEENSB_IJSA_SA_EEES6_PlJN6thrust23THRUST_200600_302600_NS6detail9not_fun_tINSH_10functional5actorINSJ_9compositeIJNSJ_27transparent_binary_operatorINSG_8equal_toIvEEEENSK_INSJ_8argumentILj0EEEEENSJ_5valueIiEEEEEEEEEEEE10hipError_tPvRmT3_T4_T5_T6_T7_T9_mT8_P12ihipStream_tbDpT10_ENKUlT_T0_E_clISt17integral_constantIbLb1EES1H_EEDaS1C_S1D_EUlS1C_E_NS1_11comp_targetILNS1_3genE10ELNS1_11target_archE1200ELNS1_3gpuE4ELNS1_3repE0EEENS1_30default_config_static_selectorELNS0_4arch9wavefront6targetE1EEEvT1_.kd
    .uniform_work_group_size: 1
    .uses_dynamic_stack: false
    .vgpr_count:     0
    .vgpr_spill_count: 0
    .wavefront_size: 64
  - .agpr_count:     0
    .args:
      - .offset:         0
        .size:           128
        .value_kind:     by_value
    .group_segment_fixed_size: 0
    .kernarg_segment_align: 8
    .kernarg_segment_size: 128
    .language:       OpenCL C
    .language_version:
      - 2
      - 0
    .max_flat_workgroup_size: 128
    .name:           _ZN7rocprim17ROCPRIM_400000_NS6detail17trampoline_kernelINS0_14default_configENS1_25partition_config_selectorILNS1_17partition_subalgoE6EiNS0_10empty_typeEbEEZZNS1_14partition_implILS5_6ELb0ES3_mPiPS6_SA_NS0_5tupleIJS9_S6_EEENSB_IJSA_SA_EEES6_PlJN6thrust23THRUST_200600_302600_NS6detail9not_fun_tINSH_10functional5actorINSJ_9compositeIJNSJ_27transparent_binary_operatorINSG_8equal_toIvEEEENSK_INSJ_8argumentILj0EEEEENSJ_5valueIiEEEEEEEEEEEE10hipError_tPvRmT3_T4_T5_T6_T7_T9_mT8_P12ihipStream_tbDpT10_ENKUlT_T0_E_clISt17integral_constantIbLb1EES1H_EEDaS1C_S1D_EUlS1C_E_NS1_11comp_targetILNS1_3genE9ELNS1_11target_archE1100ELNS1_3gpuE3ELNS1_3repE0EEENS1_30default_config_static_selectorELNS0_4arch9wavefront6targetE1EEEvT1_
    .private_segment_fixed_size: 0
    .sgpr_count:     4
    .sgpr_spill_count: 0
    .symbol:         _ZN7rocprim17ROCPRIM_400000_NS6detail17trampoline_kernelINS0_14default_configENS1_25partition_config_selectorILNS1_17partition_subalgoE6EiNS0_10empty_typeEbEEZZNS1_14partition_implILS5_6ELb0ES3_mPiPS6_SA_NS0_5tupleIJS9_S6_EEENSB_IJSA_SA_EEES6_PlJN6thrust23THRUST_200600_302600_NS6detail9not_fun_tINSH_10functional5actorINSJ_9compositeIJNSJ_27transparent_binary_operatorINSG_8equal_toIvEEEENSK_INSJ_8argumentILj0EEEEENSJ_5valueIiEEEEEEEEEEEE10hipError_tPvRmT3_T4_T5_T6_T7_T9_mT8_P12ihipStream_tbDpT10_ENKUlT_T0_E_clISt17integral_constantIbLb1EES1H_EEDaS1C_S1D_EUlS1C_E_NS1_11comp_targetILNS1_3genE9ELNS1_11target_archE1100ELNS1_3gpuE3ELNS1_3repE0EEENS1_30default_config_static_selectorELNS0_4arch9wavefront6targetE1EEEvT1_.kd
    .uniform_work_group_size: 1
    .uses_dynamic_stack: false
    .vgpr_count:     0
    .vgpr_spill_count: 0
    .wavefront_size: 64
  - .agpr_count:     0
    .args:
      - .offset:         0
        .size:           128
        .value_kind:     by_value
    .group_segment_fixed_size: 0
    .kernarg_segment_align: 8
    .kernarg_segment_size: 128
    .language:       OpenCL C
    .language_version:
      - 2
      - 0
    .max_flat_workgroup_size: 512
    .name:           _ZN7rocprim17ROCPRIM_400000_NS6detail17trampoline_kernelINS0_14default_configENS1_25partition_config_selectorILNS1_17partition_subalgoE6EiNS0_10empty_typeEbEEZZNS1_14partition_implILS5_6ELb0ES3_mPiPS6_SA_NS0_5tupleIJS9_S6_EEENSB_IJSA_SA_EEES6_PlJN6thrust23THRUST_200600_302600_NS6detail9not_fun_tINSH_10functional5actorINSJ_9compositeIJNSJ_27transparent_binary_operatorINSG_8equal_toIvEEEENSK_INSJ_8argumentILj0EEEEENSJ_5valueIiEEEEEEEEEEEE10hipError_tPvRmT3_T4_T5_T6_T7_T9_mT8_P12ihipStream_tbDpT10_ENKUlT_T0_E_clISt17integral_constantIbLb1EES1H_EEDaS1C_S1D_EUlS1C_E_NS1_11comp_targetILNS1_3genE8ELNS1_11target_archE1030ELNS1_3gpuE2ELNS1_3repE0EEENS1_30default_config_static_selectorELNS0_4arch9wavefront6targetE1EEEvT1_
    .private_segment_fixed_size: 0
    .sgpr_count:     4
    .sgpr_spill_count: 0
    .symbol:         _ZN7rocprim17ROCPRIM_400000_NS6detail17trampoline_kernelINS0_14default_configENS1_25partition_config_selectorILNS1_17partition_subalgoE6EiNS0_10empty_typeEbEEZZNS1_14partition_implILS5_6ELb0ES3_mPiPS6_SA_NS0_5tupleIJS9_S6_EEENSB_IJSA_SA_EEES6_PlJN6thrust23THRUST_200600_302600_NS6detail9not_fun_tINSH_10functional5actorINSJ_9compositeIJNSJ_27transparent_binary_operatorINSG_8equal_toIvEEEENSK_INSJ_8argumentILj0EEEEENSJ_5valueIiEEEEEEEEEEEE10hipError_tPvRmT3_T4_T5_T6_T7_T9_mT8_P12ihipStream_tbDpT10_ENKUlT_T0_E_clISt17integral_constantIbLb1EES1H_EEDaS1C_S1D_EUlS1C_E_NS1_11comp_targetILNS1_3genE8ELNS1_11target_archE1030ELNS1_3gpuE2ELNS1_3repE0EEENS1_30default_config_static_selectorELNS0_4arch9wavefront6targetE1EEEvT1_.kd
    .uniform_work_group_size: 1
    .uses_dynamic_stack: false
    .vgpr_count:     0
    .vgpr_spill_count: 0
    .wavefront_size: 64
  - .agpr_count:     0
    .args:
      - .offset:         0
        .size:           120
        .value_kind:     by_value
    .group_segment_fixed_size: 0
    .kernarg_segment_align: 8
    .kernarg_segment_size: 120
    .language:       OpenCL C
    .language_version:
      - 2
      - 0
    .max_flat_workgroup_size: 256
    .name:           _ZN7rocprim17ROCPRIM_400000_NS6detail17trampoline_kernelINS0_14default_configENS1_25partition_config_selectorILNS1_17partition_subalgoE6EiNS0_10empty_typeEbEEZZNS1_14partition_implILS5_6ELb0ES3_mPiPS6_SA_NS0_5tupleIJS9_S6_EEENSB_IJSA_SA_EEES6_PlJN6thrust23THRUST_200600_302600_NS6detail9not_fun_tINSH_10functional5actorINSJ_9compositeIJNSJ_27transparent_binary_operatorINSG_8equal_toIvEEEENSK_INSJ_8argumentILj0EEEEENSJ_5valueIiEEEEEEEEEEEE10hipError_tPvRmT3_T4_T5_T6_T7_T9_mT8_P12ihipStream_tbDpT10_ENKUlT_T0_E_clISt17integral_constantIbLb1EES1G_IbLb0EEEEDaS1C_S1D_EUlS1C_E_NS1_11comp_targetILNS1_3genE0ELNS1_11target_archE4294967295ELNS1_3gpuE0ELNS1_3repE0EEENS1_30default_config_static_selectorELNS0_4arch9wavefront6targetE1EEEvT1_
    .private_segment_fixed_size: 0
    .sgpr_count:     4
    .sgpr_spill_count: 0
    .symbol:         _ZN7rocprim17ROCPRIM_400000_NS6detail17trampoline_kernelINS0_14default_configENS1_25partition_config_selectorILNS1_17partition_subalgoE6EiNS0_10empty_typeEbEEZZNS1_14partition_implILS5_6ELb0ES3_mPiPS6_SA_NS0_5tupleIJS9_S6_EEENSB_IJSA_SA_EEES6_PlJN6thrust23THRUST_200600_302600_NS6detail9not_fun_tINSH_10functional5actorINSJ_9compositeIJNSJ_27transparent_binary_operatorINSG_8equal_toIvEEEENSK_INSJ_8argumentILj0EEEEENSJ_5valueIiEEEEEEEEEEEE10hipError_tPvRmT3_T4_T5_T6_T7_T9_mT8_P12ihipStream_tbDpT10_ENKUlT_T0_E_clISt17integral_constantIbLb1EES1G_IbLb0EEEEDaS1C_S1D_EUlS1C_E_NS1_11comp_targetILNS1_3genE0ELNS1_11target_archE4294967295ELNS1_3gpuE0ELNS1_3repE0EEENS1_30default_config_static_selectorELNS0_4arch9wavefront6targetE1EEEvT1_.kd
    .uniform_work_group_size: 1
    .uses_dynamic_stack: false
    .vgpr_count:     0
    .vgpr_spill_count: 0
    .wavefront_size: 64
  - .agpr_count:     0
    .args:
      - .offset:         0
        .size:           120
        .value_kind:     by_value
    .group_segment_fixed_size: 0
    .kernarg_segment_align: 8
    .kernarg_segment_size: 120
    .language:       OpenCL C
    .language_version:
      - 2
      - 0
    .max_flat_workgroup_size: 512
    .name:           _ZN7rocprim17ROCPRIM_400000_NS6detail17trampoline_kernelINS0_14default_configENS1_25partition_config_selectorILNS1_17partition_subalgoE6EiNS0_10empty_typeEbEEZZNS1_14partition_implILS5_6ELb0ES3_mPiPS6_SA_NS0_5tupleIJS9_S6_EEENSB_IJSA_SA_EEES6_PlJN6thrust23THRUST_200600_302600_NS6detail9not_fun_tINSH_10functional5actorINSJ_9compositeIJNSJ_27transparent_binary_operatorINSG_8equal_toIvEEEENSK_INSJ_8argumentILj0EEEEENSJ_5valueIiEEEEEEEEEEEE10hipError_tPvRmT3_T4_T5_T6_T7_T9_mT8_P12ihipStream_tbDpT10_ENKUlT_T0_E_clISt17integral_constantIbLb1EES1G_IbLb0EEEEDaS1C_S1D_EUlS1C_E_NS1_11comp_targetILNS1_3genE5ELNS1_11target_archE942ELNS1_3gpuE9ELNS1_3repE0EEENS1_30default_config_static_selectorELNS0_4arch9wavefront6targetE1EEEvT1_
    .private_segment_fixed_size: 0
    .sgpr_count:     4
    .sgpr_spill_count: 0
    .symbol:         _ZN7rocprim17ROCPRIM_400000_NS6detail17trampoline_kernelINS0_14default_configENS1_25partition_config_selectorILNS1_17partition_subalgoE6EiNS0_10empty_typeEbEEZZNS1_14partition_implILS5_6ELb0ES3_mPiPS6_SA_NS0_5tupleIJS9_S6_EEENSB_IJSA_SA_EEES6_PlJN6thrust23THRUST_200600_302600_NS6detail9not_fun_tINSH_10functional5actorINSJ_9compositeIJNSJ_27transparent_binary_operatorINSG_8equal_toIvEEEENSK_INSJ_8argumentILj0EEEEENSJ_5valueIiEEEEEEEEEEEE10hipError_tPvRmT3_T4_T5_T6_T7_T9_mT8_P12ihipStream_tbDpT10_ENKUlT_T0_E_clISt17integral_constantIbLb1EES1G_IbLb0EEEEDaS1C_S1D_EUlS1C_E_NS1_11comp_targetILNS1_3genE5ELNS1_11target_archE942ELNS1_3gpuE9ELNS1_3repE0EEENS1_30default_config_static_selectorELNS0_4arch9wavefront6targetE1EEEvT1_.kd
    .uniform_work_group_size: 1
    .uses_dynamic_stack: false
    .vgpr_count:     0
    .vgpr_spill_count: 0
    .wavefront_size: 64
  - .agpr_count:     0
    .args:
      - .offset:         0
        .size:           120
        .value_kind:     by_value
    .group_segment_fixed_size: 20496
    .kernarg_segment_align: 8
    .kernarg_segment_size: 120
    .language:       OpenCL C
    .language_version:
      - 2
      - 0
    .max_flat_workgroup_size: 512
    .name:           _ZN7rocprim17ROCPRIM_400000_NS6detail17trampoline_kernelINS0_14default_configENS1_25partition_config_selectorILNS1_17partition_subalgoE6EiNS0_10empty_typeEbEEZZNS1_14partition_implILS5_6ELb0ES3_mPiPS6_SA_NS0_5tupleIJS9_S6_EEENSB_IJSA_SA_EEES6_PlJN6thrust23THRUST_200600_302600_NS6detail9not_fun_tINSH_10functional5actorINSJ_9compositeIJNSJ_27transparent_binary_operatorINSG_8equal_toIvEEEENSK_INSJ_8argumentILj0EEEEENSJ_5valueIiEEEEEEEEEEEE10hipError_tPvRmT3_T4_T5_T6_T7_T9_mT8_P12ihipStream_tbDpT10_ENKUlT_T0_E_clISt17integral_constantIbLb1EES1G_IbLb0EEEEDaS1C_S1D_EUlS1C_E_NS1_11comp_targetILNS1_3genE4ELNS1_11target_archE910ELNS1_3gpuE8ELNS1_3repE0EEENS1_30default_config_static_selectorELNS0_4arch9wavefront6targetE1EEEvT1_
    .private_segment_fixed_size: 0
    .sgpr_count:     60
    .sgpr_spill_count: 0
    .symbol:         _ZN7rocprim17ROCPRIM_400000_NS6detail17trampoline_kernelINS0_14default_configENS1_25partition_config_selectorILNS1_17partition_subalgoE6EiNS0_10empty_typeEbEEZZNS1_14partition_implILS5_6ELb0ES3_mPiPS6_SA_NS0_5tupleIJS9_S6_EEENSB_IJSA_SA_EEES6_PlJN6thrust23THRUST_200600_302600_NS6detail9not_fun_tINSH_10functional5actorINSJ_9compositeIJNSJ_27transparent_binary_operatorINSG_8equal_toIvEEEENSK_INSJ_8argumentILj0EEEEENSJ_5valueIiEEEEEEEEEEEE10hipError_tPvRmT3_T4_T5_T6_T7_T9_mT8_P12ihipStream_tbDpT10_ENKUlT_T0_E_clISt17integral_constantIbLb1EES1G_IbLb0EEEEDaS1C_S1D_EUlS1C_E_NS1_11comp_targetILNS1_3genE4ELNS1_11target_archE910ELNS1_3gpuE8ELNS1_3repE0EEENS1_30default_config_static_selectorELNS0_4arch9wavefront6targetE1EEEvT1_.kd
    .uniform_work_group_size: 1
    .uses_dynamic_stack: false
    .vgpr_count:     61
    .vgpr_spill_count: 0
    .wavefront_size: 64
  - .agpr_count:     0
    .args:
      - .offset:         0
        .size:           120
        .value_kind:     by_value
    .group_segment_fixed_size: 0
    .kernarg_segment_align: 8
    .kernarg_segment_size: 120
    .language:       OpenCL C
    .language_version:
      - 2
      - 0
    .max_flat_workgroup_size: 256
    .name:           _ZN7rocprim17ROCPRIM_400000_NS6detail17trampoline_kernelINS0_14default_configENS1_25partition_config_selectorILNS1_17partition_subalgoE6EiNS0_10empty_typeEbEEZZNS1_14partition_implILS5_6ELb0ES3_mPiPS6_SA_NS0_5tupleIJS9_S6_EEENSB_IJSA_SA_EEES6_PlJN6thrust23THRUST_200600_302600_NS6detail9not_fun_tINSH_10functional5actorINSJ_9compositeIJNSJ_27transparent_binary_operatorINSG_8equal_toIvEEEENSK_INSJ_8argumentILj0EEEEENSJ_5valueIiEEEEEEEEEEEE10hipError_tPvRmT3_T4_T5_T6_T7_T9_mT8_P12ihipStream_tbDpT10_ENKUlT_T0_E_clISt17integral_constantIbLb1EES1G_IbLb0EEEEDaS1C_S1D_EUlS1C_E_NS1_11comp_targetILNS1_3genE3ELNS1_11target_archE908ELNS1_3gpuE7ELNS1_3repE0EEENS1_30default_config_static_selectorELNS0_4arch9wavefront6targetE1EEEvT1_
    .private_segment_fixed_size: 0
    .sgpr_count:     4
    .sgpr_spill_count: 0
    .symbol:         _ZN7rocprim17ROCPRIM_400000_NS6detail17trampoline_kernelINS0_14default_configENS1_25partition_config_selectorILNS1_17partition_subalgoE6EiNS0_10empty_typeEbEEZZNS1_14partition_implILS5_6ELb0ES3_mPiPS6_SA_NS0_5tupleIJS9_S6_EEENSB_IJSA_SA_EEES6_PlJN6thrust23THRUST_200600_302600_NS6detail9not_fun_tINSH_10functional5actorINSJ_9compositeIJNSJ_27transparent_binary_operatorINSG_8equal_toIvEEEENSK_INSJ_8argumentILj0EEEEENSJ_5valueIiEEEEEEEEEEEE10hipError_tPvRmT3_T4_T5_T6_T7_T9_mT8_P12ihipStream_tbDpT10_ENKUlT_T0_E_clISt17integral_constantIbLb1EES1G_IbLb0EEEEDaS1C_S1D_EUlS1C_E_NS1_11comp_targetILNS1_3genE3ELNS1_11target_archE908ELNS1_3gpuE7ELNS1_3repE0EEENS1_30default_config_static_selectorELNS0_4arch9wavefront6targetE1EEEvT1_.kd
    .uniform_work_group_size: 1
    .uses_dynamic_stack: false
    .vgpr_count:     0
    .vgpr_spill_count: 0
    .wavefront_size: 64
  - .agpr_count:     0
    .args:
      - .offset:         0
        .size:           120
        .value_kind:     by_value
    .group_segment_fixed_size: 0
    .kernarg_segment_align: 8
    .kernarg_segment_size: 120
    .language:       OpenCL C
    .language_version:
      - 2
      - 0
    .max_flat_workgroup_size: 192
    .name:           _ZN7rocprim17ROCPRIM_400000_NS6detail17trampoline_kernelINS0_14default_configENS1_25partition_config_selectorILNS1_17partition_subalgoE6EiNS0_10empty_typeEbEEZZNS1_14partition_implILS5_6ELb0ES3_mPiPS6_SA_NS0_5tupleIJS9_S6_EEENSB_IJSA_SA_EEES6_PlJN6thrust23THRUST_200600_302600_NS6detail9not_fun_tINSH_10functional5actorINSJ_9compositeIJNSJ_27transparent_binary_operatorINSG_8equal_toIvEEEENSK_INSJ_8argumentILj0EEEEENSJ_5valueIiEEEEEEEEEEEE10hipError_tPvRmT3_T4_T5_T6_T7_T9_mT8_P12ihipStream_tbDpT10_ENKUlT_T0_E_clISt17integral_constantIbLb1EES1G_IbLb0EEEEDaS1C_S1D_EUlS1C_E_NS1_11comp_targetILNS1_3genE2ELNS1_11target_archE906ELNS1_3gpuE6ELNS1_3repE0EEENS1_30default_config_static_selectorELNS0_4arch9wavefront6targetE1EEEvT1_
    .private_segment_fixed_size: 0
    .sgpr_count:     4
    .sgpr_spill_count: 0
    .symbol:         _ZN7rocprim17ROCPRIM_400000_NS6detail17trampoline_kernelINS0_14default_configENS1_25partition_config_selectorILNS1_17partition_subalgoE6EiNS0_10empty_typeEbEEZZNS1_14partition_implILS5_6ELb0ES3_mPiPS6_SA_NS0_5tupleIJS9_S6_EEENSB_IJSA_SA_EEES6_PlJN6thrust23THRUST_200600_302600_NS6detail9not_fun_tINSH_10functional5actorINSJ_9compositeIJNSJ_27transparent_binary_operatorINSG_8equal_toIvEEEENSK_INSJ_8argumentILj0EEEEENSJ_5valueIiEEEEEEEEEEEE10hipError_tPvRmT3_T4_T5_T6_T7_T9_mT8_P12ihipStream_tbDpT10_ENKUlT_T0_E_clISt17integral_constantIbLb1EES1G_IbLb0EEEEDaS1C_S1D_EUlS1C_E_NS1_11comp_targetILNS1_3genE2ELNS1_11target_archE906ELNS1_3gpuE6ELNS1_3repE0EEENS1_30default_config_static_selectorELNS0_4arch9wavefront6targetE1EEEvT1_.kd
    .uniform_work_group_size: 1
    .uses_dynamic_stack: false
    .vgpr_count:     0
    .vgpr_spill_count: 0
    .wavefront_size: 64
  - .agpr_count:     0
    .args:
      - .offset:         0
        .size:           120
        .value_kind:     by_value
    .group_segment_fixed_size: 0
    .kernarg_segment_align: 8
    .kernarg_segment_size: 120
    .language:       OpenCL C
    .language_version:
      - 2
      - 0
    .max_flat_workgroup_size: 384
    .name:           _ZN7rocprim17ROCPRIM_400000_NS6detail17trampoline_kernelINS0_14default_configENS1_25partition_config_selectorILNS1_17partition_subalgoE6EiNS0_10empty_typeEbEEZZNS1_14partition_implILS5_6ELb0ES3_mPiPS6_SA_NS0_5tupleIJS9_S6_EEENSB_IJSA_SA_EEES6_PlJN6thrust23THRUST_200600_302600_NS6detail9not_fun_tINSH_10functional5actorINSJ_9compositeIJNSJ_27transparent_binary_operatorINSG_8equal_toIvEEEENSK_INSJ_8argumentILj0EEEEENSJ_5valueIiEEEEEEEEEEEE10hipError_tPvRmT3_T4_T5_T6_T7_T9_mT8_P12ihipStream_tbDpT10_ENKUlT_T0_E_clISt17integral_constantIbLb1EES1G_IbLb0EEEEDaS1C_S1D_EUlS1C_E_NS1_11comp_targetILNS1_3genE10ELNS1_11target_archE1200ELNS1_3gpuE4ELNS1_3repE0EEENS1_30default_config_static_selectorELNS0_4arch9wavefront6targetE1EEEvT1_
    .private_segment_fixed_size: 0
    .sgpr_count:     4
    .sgpr_spill_count: 0
    .symbol:         _ZN7rocprim17ROCPRIM_400000_NS6detail17trampoline_kernelINS0_14default_configENS1_25partition_config_selectorILNS1_17partition_subalgoE6EiNS0_10empty_typeEbEEZZNS1_14partition_implILS5_6ELb0ES3_mPiPS6_SA_NS0_5tupleIJS9_S6_EEENSB_IJSA_SA_EEES6_PlJN6thrust23THRUST_200600_302600_NS6detail9not_fun_tINSH_10functional5actorINSJ_9compositeIJNSJ_27transparent_binary_operatorINSG_8equal_toIvEEEENSK_INSJ_8argumentILj0EEEEENSJ_5valueIiEEEEEEEEEEEE10hipError_tPvRmT3_T4_T5_T6_T7_T9_mT8_P12ihipStream_tbDpT10_ENKUlT_T0_E_clISt17integral_constantIbLb1EES1G_IbLb0EEEEDaS1C_S1D_EUlS1C_E_NS1_11comp_targetILNS1_3genE10ELNS1_11target_archE1200ELNS1_3gpuE4ELNS1_3repE0EEENS1_30default_config_static_selectorELNS0_4arch9wavefront6targetE1EEEvT1_.kd
    .uniform_work_group_size: 1
    .uses_dynamic_stack: false
    .vgpr_count:     0
    .vgpr_spill_count: 0
    .wavefront_size: 64
  - .agpr_count:     0
    .args:
      - .offset:         0
        .size:           120
        .value_kind:     by_value
    .group_segment_fixed_size: 0
    .kernarg_segment_align: 8
    .kernarg_segment_size: 120
    .language:       OpenCL C
    .language_version:
      - 2
      - 0
    .max_flat_workgroup_size: 128
    .name:           _ZN7rocprim17ROCPRIM_400000_NS6detail17trampoline_kernelINS0_14default_configENS1_25partition_config_selectorILNS1_17partition_subalgoE6EiNS0_10empty_typeEbEEZZNS1_14partition_implILS5_6ELb0ES3_mPiPS6_SA_NS0_5tupleIJS9_S6_EEENSB_IJSA_SA_EEES6_PlJN6thrust23THRUST_200600_302600_NS6detail9not_fun_tINSH_10functional5actorINSJ_9compositeIJNSJ_27transparent_binary_operatorINSG_8equal_toIvEEEENSK_INSJ_8argumentILj0EEEEENSJ_5valueIiEEEEEEEEEEEE10hipError_tPvRmT3_T4_T5_T6_T7_T9_mT8_P12ihipStream_tbDpT10_ENKUlT_T0_E_clISt17integral_constantIbLb1EES1G_IbLb0EEEEDaS1C_S1D_EUlS1C_E_NS1_11comp_targetILNS1_3genE9ELNS1_11target_archE1100ELNS1_3gpuE3ELNS1_3repE0EEENS1_30default_config_static_selectorELNS0_4arch9wavefront6targetE1EEEvT1_
    .private_segment_fixed_size: 0
    .sgpr_count:     4
    .sgpr_spill_count: 0
    .symbol:         _ZN7rocprim17ROCPRIM_400000_NS6detail17trampoline_kernelINS0_14default_configENS1_25partition_config_selectorILNS1_17partition_subalgoE6EiNS0_10empty_typeEbEEZZNS1_14partition_implILS5_6ELb0ES3_mPiPS6_SA_NS0_5tupleIJS9_S6_EEENSB_IJSA_SA_EEES6_PlJN6thrust23THRUST_200600_302600_NS6detail9not_fun_tINSH_10functional5actorINSJ_9compositeIJNSJ_27transparent_binary_operatorINSG_8equal_toIvEEEENSK_INSJ_8argumentILj0EEEEENSJ_5valueIiEEEEEEEEEEEE10hipError_tPvRmT3_T4_T5_T6_T7_T9_mT8_P12ihipStream_tbDpT10_ENKUlT_T0_E_clISt17integral_constantIbLb1EES1G_IbLb0EEEEDaS1C_S1D_EUlS1C_E_NS1_11comp_targetILNS1_3genE9ELNS1_11target_archE1100ELNS1_3gpuE3ELNS1_3repE0EEENS1_30default_config_static_selectorELNS0_4arch9wavefront6targetE1EEEvT1_.kd
    .uniform_work_group_size: 1
    .uses_dynamic_stack: false
    .vgpr_count:     0
    .vgpr_spill_count: 0
    .wavefront_size: 64
  - .agpr_count:     0
    .args:
      - .offset:         0
        .size:           120
        .value_kind:     by_value
    .group_segment_fixed_size: 0
    .kernarg_segment_align: 8
    .kernarg_segment_size: 120
    .language:       OpenCL C
    .language_version:
      - 2
      - 0
    .max_flat_workgroup_size: 512
    .name:           _ZN7rocprim17ROCPRIM_400000_NS6detail17trampoline_kernelINS0_14default_configENS1_25partition_config_selectorILNS1_17partition_subalgoE6EiNS0_10empty_typeEbEEZZNS1_14partition_implILS5_6ELb0ES3_mPiPS6_SA_NS0_5tupleIJS9_S6_EEENSB_IJSA_SA_EEES6_PlJN6thrust23THRUST_200600_302600_NS6detail9not_fun_tINSH_10functional5actorINSJ_9compositeIJNSJ_27transparent_binary_operatorINSG_8equal_toIvEEEENSK_INSJ_8argumentILj0EEEEENSJ_5valueIiEEEEEEEEEEEE10hipError_tPvRmT3_T4_T5_T6_T7_T9_mT8_P12ihipStream_tbDpT10_ENKUlT_T0_E_clISt17integral_constantIbLb1EES1G_IbLb0EEEEDaS1C_S1D_EUlS1C_E_NS1_11comp_targetILNS1_3genE8ELNS1_11target_archE1030ELNS1_3gpuE2ELNS1_3repE0EEENS1_30default_config_static_selectorELNS0_4arch9wavefront6targetE1EEEvT1_
    .private_segment_fixed_size: 0
    .sgpr_count:     4
    .sgpr_spill_count: 0
    .symbol:         _ZN7rocprim17ROCPRIM_400000_NS6detail17trampoline_kernelINS0_14default_configENS1_25partition_config_selectorILNS1_17partition_subalgoE6EiNS0_10empty_typeEbEEZZNS1_14partition_implILS5_6ELb0ES3_mPiPS6_SA_NS0_5tupleIJS9_S6_EEENSB_IJSA_SA_EEES6_PlJN6thrust23THRUST_200600_302600_NS6detail9not_fun_tINSH_10functional5actorINSJ_9compositeIJNSJ_27transparent_binary_operatorINSG_8equal_toIvEEEENSK_INSJ_8argumentILj0EEEEENSJ_5valueIiEEEEEEEEEEEE10hipError_tPvRmT3_T4_T5_T6_T7_T9_mT8_P12ihipStream_tbDpT10_ENKUlT_T0_E_clISt17integral_constantIbLb1EES1G_IbLb0EEEEDaS1C_S1D_EUlS1C_E_NS1_11comp_targetILNS1_3genE8ELNS1_11target_archE1030ELNS1_3gpuE2ELNS1_3repE0EEENS1_30default_config_static_selectorELNS0_4arch9wavefront6targetE1EEEvT1_.kd
    .uniform_work_group_size: 1
    .uses_dynamic_stack: false
    .vgpr_count:     0
    .vgpr_spill_count: 0
    .wavefront_size: 64
  - .agpr_count:     0
    .args:
      - .offset:         0
        .size:           128
        .value_kind:     by_value
    .group_segment_fixed_size: 0
    .kernarg_segment_align: 8
    .kernarg_segment_size: 128
    .language:       OpenCL C
    .language_version:
      - 2
      - 0
    .max_flat_workgroup_size: 256
    .name:           _ZN7rocprim17ROCPRIM_400000_NS6detail17trampoline_kernelINS0_14default_configENS1_25partition_config_selectorILNS1_17partition_subalgoE6EiNS0_10empty_typeEbEEZZNS1_14partition_implILS5_6ELb0ES3_mPiPS6_SA_NS0_5tupleIJS9_S6_EEENSB_IJSA_SA_EEES6_PlJN6thrust23THRUST_200600_302600_NS6detail9not_fun_tINSH_10functional5actorINSJ_9compositeIJNSJ_27transparent_binary_operatorINSG_8equal_toIvEEEENSK_INSJ_8argumentILj0EEEEENSJ_5valueIiEEEEEEEEEEEE10hipError_tPvRmT3_T4_T5_T6_T7_T9_mT8_P12ihipStream_tbDpT10_ENKUlT_T0_E_clISt17integral_constantIbLb0EES1G_IbLb1EEEEDaS1C_S1D_EUlS1C_E_NS1_11comp_targetILNS1_3genE0ELNS1_11target_archE4294967295ELNS1_3gpuE0ELNS1_3repE0EEENS1_30default_config_static_selectorELNS0_4arch9wavefront6targetE1EEEvT1_
    .private_segment_fixed_size: 0
    .sgpr_count:     4
    .sgpr_spill_count: 0
    .symbol:         _ZN7rocprim17ROCPRIM_400000_NS6detail17trampoline_kernelINS0_14default_configENS1_25partition_config_selectorILNS1_17partition_subalgoE6EiNS0_10empty_typeEbEEZZNS1_14partition_implILS5_6ELb0ES3_mPiPS6_SA_NS0_5tupleIJS9_S6_EEENSB_IJSA_SA_EEES6_PlJN6thrust23THRUST_200600_302600_NS6detail9not_fun_tINSH_10functional5actorINSJ_9compositeIJNSJ_27transparent_binary_operatorINSG_8equal_toIvEEEENSK_INSJ_8argumentILj0EEEEENSJ_5valueIiEEEEEEEEEEEE10hipError_tPvRmT3_T4_T5_T6_T7_T9_mT8_P12ihipStream_tbDpT10_ENKUlT_T0_E_clISt17integral_constantIbLb0EES1G_IbLb1EEEEDaS1C_S1D_EUlS1C_E_NS1_11comp_targetILNS1_3genE0ELNS1_11target_archE4294967295ELNS1_3gpuE0ELNS1_3repE0EEENS1_30default_config_static_selectorELNS0_4arch9wavefront6targetE1EEEvT1_.kd
    .uniform_work_group_size: 1
    .uses_dynamic_stack: false
    .vgpr_count:     0
    .vgpr_spill_count: 0
    .wavefront_size: 64
  - .agpr_count:     0
    .args:
      - .offset:         0
        .size:           128
        .value_kind:     by_value
    .group_segment_fixed_size: 0
    .kernarg_segment_align: 8
    .kernarg_segment_size: 128
    .language:       OpenCL C
    .language_version:
      - 2
      - 0
    .max_flat_workgroup_size: 512
    .name:           _ZN7rocprim17ROCPRIM_400000_NS6detail17trampoline_kernelINS0_14default_configENS1_25partition_config_selectorILNS1_17partition_subalgoE6EiNS0_10empty_typeEbEEZZNS1_14partition_implILS5_6ELb0ES3_mPiPS6_SA_NS0_5tupleIJS9_S6_EEENSB_IJSA_SA_EEES6_PlJN6thrust23THRUST_200600_302600_NS6detail9not_fun_tINSH_10functional5actorINSJ_9compositeIJNSJ_27transparent_binary_operatorINSG_8equal_toIvEEEENSK_INSJ_8argumentILj0EEEEENSJ_5valueIiEEEEEEEEEEEE10hipError_tPvRmT3_T4_T5_T6_T7_T9_mT8_P12ihipStream_tbDpT10_ENKUlT_T0_E_clISt17integral_constantIbLb0EES1G_IbLb1EEEEDaS1C_S1D_EUlS1C_E_NS1_11comp_targetILNS1_3genE5ELNS1_11target_archE942ELNS1_3gpuE9ELNS1_3repE0EEENS1_30default_config_static_selectorELNS0_4arch9wavefront6targetE1EEEvT1_
    .private_segment_fixed_size: 0
    .sgpr_count:     4
    .sgpr_spill_count: 0
    .symbol:         _ZN7rocprim17ROCPRIM_400000_NS6detail17trampoline_kernelINS0_14default_configENS1_25partition_config_selectorILNS1_17partition_subalgoE6EiNS0_10empty_typeEbEEZZNS1_14partition_implILS5_6ELb0ES3_mPiPS6_SA_NS0_5tupleIJS9_S6_EEENSB_IJSA_SA_EEES6_PlJN6thrust23THRUST_200600_302600_NS6detail9not_fun_tINSH_10functional5actorINSJ_9compositeIJNSJ_27transparent_binary_operatorINSG_8equal_toIvEEEENSK_INSJ_8argumentILj0EEEEENSJ_5valueIiEEEEEEEEEEEE10hipError_tPvRmT3_T4_T5_T6_T7_T9_mT8_P12ihipStream_tbDpT10_ENKUlT_T0_E_clISt17integral_constantIbLb0EES1G_IbLb1EEEEDaS1C_S1D_EUlS1C_E_NS1_11comp_targetILNS1_3genE5ELNS1_11target_archE942ELNS1_3gpuE9ELNS1_3repE0EEENS1_30default_config_static_selectorELNS0_4arch9wavefront6targetE1EEEvT1_.kd
    .uniform_work_group_size: 1
    .uses_dynamic_stack: false
    .vgpr_count:     0
    .vgpr_spill_count: 0
    .wavefront_size: 64
  - .agpr_count:     0
    .args:
      - .offset:         0
        .size:           128
        .value_kind:     by_value
    .group_segment_fixed_size: 20496
    .kernarg_segment_align: 8
    .kernarg_segment_size: 128
    .language:       OpenCL C
    .language_version:
      - 2
      - 0
    .max_flat_workgroup_size: 512
    .name:           _ZN7rocprim17ROCPRIM_400000_NS6detail17trampoline_kernelINS0_14default_configENS1_25partition_config_selectorILNS1_17partition_subalgoE6EiNS0_10empty_typeEbEEZZNS1_14partition_implILS5_6ELb0ES3_mPiPS6_SA_NS0_5tupleIJS9_S6_EEENSB_IJSA_SA_EEES6_PlJN6thrust23THRUST_200600_302600_NS6detail9not_fun_tINSH_10functional5actorINSJ_9compositeIJNSJ_27transparent_binary_operatorINSG_8equal_toIvEEEENSK_INSJ_8argumentILj0EEEEENSJ_5valueIiEEEEEEEEEEEE10hipError_tPvRmT3_T4_T5_T6_T7_T9_mT8_P12ihipStream_tbDpT10_ENKUlT_T0_E_clISt17integral_constantIbLb0EES1G_IbLb1EEEEDaS1C_S1D_EUlS1C_E_NS1_11comp_targetILNS1_3genE4ELNS1_11target_archE910ELNS1_3gpuE8ELNS1_3repE0EEENS1_30default_config_static_selectorELNS0_4arch9wavefront6targetE1EEEvT1_
    .private_segment_fixed_size: 0
    .sgpr_count:     60
    .sgpr_spill_count: 0
    .symbol:         _ZN7rocprim17ROCPRIM_400000_NS6detail17trampoline_kernelINS0_14default_configENS1_25partition_config_selectorILNS1_17partition_subalgoE6EiNS0_10empty_typeEbEEZZNS1_14partition_implILS5_6ELb0ES3_mPiPS6_SA_NS0_5tupleIJS9_S6_EEENSB_IJSA_SA_EEES6_PlJN6thrust23THRUST_200600_302600_NS6detail9not_fun_tINSH_10functional5actorINSJ_9compositeIJNSJ_27transparent_binary_operatorINSG_8equal_toIvEEEENSK_INSJ_8argumentILj0EEEEENSJ_5valueIiEEEEEEEEEEEE10hipError_tPvRmT3_T4_T5_T6_T7_T9_mT8_P12ihipStream_tbDpT10_ENKUlT_T0_E_clISt17integral_constantIbLb0EES1G_IbLb1EEEEDaS1C_S1D_EUlS1C_E_NS1_11comp_targetILNS1_3genE4ELNS1_11target_archE910ELNS1_3gpuE8ELNS1_3repE0EEENS1_30default_config_static_selectorELNS0_4arch9wavefront6targetE1EEEvT1_.kd
    .uniform_work_group_size: 1
    .uses_dynamic_stack: false
    .vgpr_count:     63
    .vgpr_spill_count: 0
    .wavefront_size: 64
  - .agpr_count:     0
    .args:
      - .offset:         0
        .size:           128
        .value_kind:     by_value
    .group_segment_fixed_size: 0
    .kernarg_segment_align: 8
    .kernarg_segment_size: 128
    .language:       OpenCL C
    .language_version:
      - 2
      - 0
    .max_flat_workgroup_size: 256
    .name:           _ZN7rocprim17ROCPRIM_400000_NS6detail17trampoline_kernelINS0_14default_configENS1_25partition_config_selectorILNS1_17partition_subalgoE6EiNS0_10empty_typeEbEEZZNS1_14partition_implILS5_6ELb0ES3_mPiPS6_SA_NS0_5tupleIJS9_S6_EEENSB_IJSA_SA_EEES6_PlJN6thrust23THRUST_200600_302600_NS6detail9not_fun_tINSH_10functional5actorINSJ_9compositeIJNSJ_27transparent_binary_operatorINSG_8equal_toIvEEEENSK_INSJ_8argumentILj0EEEEENSJ_5valueIiEEEEEEEEEEEE10hipError_tPvRmT3_T4_T5_T6_T7_T9_mT8_P12ihipStream_tbDpT10_ENKUlT_T0_E_clISt17integral_constantIbLb0EES1G_IbLb1EEEEDaS1C_S1D_EUlS1C_E_NS1_11comp_targetILNS1_3genE3ELNS1_11target_archE908ELNS1_3gpuE7ELNS1_3repE0EEENS1_30default_config_static_selectorELNS0_4arch9wavefront6targetE1EEEvT1_
    .private_segment_fixed_size: 0
    .sgpr_count:     4
    .sgpr_spill_count: 0
    .symbol:         _ZN7rocprim17ROCPRIM_400000_NS6detail17trampoline_kernelINS0_14default_configENS1_25partition_config_selectorILNS1_17partition_subalgoE6EiNS0_10empty_typeEbEEZZNS1_14partition_implILS5_6ELb0ES3_mPiPS6_SA_NS0_5tupleIJS9_S6_EEENSB_IJSA_SA_EEES6_PlJN6thrust23THRUST_200600_302600_NS6detail9not_fun_tINSH_10functional5actorINSJ_9compositeIJNSJ_27transparent_binary_operatorINSG_8equal_toIvEEEENSK_INSJ_8argumentILj0EEEEENSJ_5valueIiEEEEEEEEEEEE10hipError_tPvRmT3_T4_T5_T6_T7_T9_mT8_P12ihipStream_tbDpT10_ENKUlT_T0_E_clISt17integral_constantIbLb0EES1G_IbLb1EEEEDaS1C_S1D_EUlS1C_E_NS1_11comp_targetILNS1_3genE3ELNS1_11target_archE908ELNS1_3gpuE7ELNS1_3repE0EEENS1_30default_config_static_selectorELNS0_4arch9wavefront6targetE1EEEvT1_.kd
    .uniform_work_group_size: 1
    .uses_dynamic_stack: false
    .vgpr_count:     0
    .vgpr_spill_count: 0
    .wavefront_size: 64
  - .agpr_count:     0
    .args:
      - .offset:         0
        .size:           128
        .value_kind:     by_value
    .group_segment_fixed_size: 0
    .kernarg_segment_align: 8
    .kernarg_segment_size: 128
    .language:       OpenCL C
    .language_version:
      - 2
      - 0
    .max_flat_workgroup_size: 192
    .name:           _ZN7rocprim17ROCPRIM_400000_NS6detail17trampoline_kernelINS0_14default_configENS1_25partition_config_selectorILNS1_17partition_subalgoE6EiNS0_10empty_typeEbEEZZNS1_14partition_implILS5_6ELb0ES3_mPiPS6_SA_NS0_5tupleIJS9_S6_EEENSB_IJSA_SA_EEES6_PlJN6thrust23THRUST_200600_302600_NS6detail9not_fun_tINSH_10functional5actorINSJ_9compositeIJNSJ_27transparent_binary_operatorINSG_8equal_toIvEEEENSK_INSJ_8argumentILj0EEEEENSJ_5valueIiEEEEEEEEEEEE10hipError_tPvRmT3_T4_T5_T6_T7_T9_mT8_P12ihipStream_tbDpT10_ENKUlT_T0_E_clISt17integral_constantIbLb0EES1G_IbLb1EEEEDaS1C_S1D_EUlS1C_E_NS1_11comp_targetILNS1_3genE2ELNS1_11target_archE906ELNS1_3gpuE6ELNS1_3repE0EEENS1_30default_config_static_selectorELNS0_4arch9wavefront6targetE1EEEvT1_
    .private_segment_fixed_size: 0
    .sgpr_count:     4
    .sgpr_spill_count: 0
    .symbol:         _ZN7rocprim17ROCPRIM_400000_NS6detail17trampoline_kernelINS0_14default_configENS1_25partition_config_selectorILNS1_17partition_subalgoE6EiNS0_10empty_typeEbEEZZNS1_14partition_implILS5_6ELb0ES3_mPiPS6_SA_NS0_5tupleIJS9_S6_EEENSB_IJSA_SA_EEES6_PlJN6thrust23THRUST_200600_302600_NS6detail9not_fun_tINSH_10functional5actorINSJ_9compositeIJNSJ_27transparent_binary_operatorINSG_8equal_toIvEEEENSK_INSJ_8argumentILj0EEEEENSJ_5valueIiEEEEEEEEEEEE10hipError_tPvRmT3_T4_T5_T6_T7_T9_mT8_P12ihipStream_tbDpT10_ENKUlT_T0_E_clISt17integral_constantIbLb0EES1G_IbLb1EEEEDaS1C_S1D_EUlS1C_E_NS1_11comp_targetILNS1_3genE2ELNS1_11target_archE906ELNS1_3gpuE6ELNS1_3repE0EEENS1_30default_config_static_selectorELNS0_4arch9wavefront6targetE1EEEvT1_.kd
    .uniform_work_group_size: 1
    .uses_dynamic_stack: false
    .vgpr_count:     0
    .vgpr_spill_count: 0
    .wavefront_size: 64
  - .agpr_count:     0
    .args:
      - .offset:         0
        .size:           128
        .value_kind:     by_value
    .group_segment_fixed_size: 0
    .kernarg_segment_align: 8
    .kernarg_segment_size: 128
    .language:       OpenCL C
    .language_version:
      - 2
      - 0
    .max_flat_workgroup_size: 384
    .name:           _ZN7rocprim17ROCPRIM_400000_NS6detail17trampoline_kernelINS0_14default_configENS1_25partition_config_selectorILNS1_17partition_subalgoE6EiNS0_10empty_typeEbEEZZNS1_14partition_implILS5_6ELb0ES3_mPiPS6_SA_NS0_5tupleIJS9_S6_EEENSB_IJSA_SA_EEES6_PlJN6thrust23THRUST_200600_302600_NS6detail9not_fun_tINSH_10functional5actorINSJ_9compositeIJNSJ_27transparent_binary_operatorINSG_8equal_toIvEEEENSK_INSJ_8argumentILj0EEEEENSJ_5valueIiEEEEEEEEEEEE10hipError_tPvRmT3_T4_T5_T6_T7_T9_mT8_P12ihipStream_tbDpT10_ENKUlT_T0_E_clISt17integral_constantIbLb0EES1G_IbLb1EEEEDaS1C_S1D_EUlS1C_E_NS1_11comp_targetILNS1_3genE10ELNS1_11target_archE1200ELNS1_3gpuE4ELNS1_3repE0EEENS1_30default_config_static_selectorELNS0_4arch9wavefront6targetE1EEEvT1_
    .private_segment_fixed_size: 0
    .sgpr_count:     4
    .sgpr_spill_count: 0
    .symbol:         _ZN7rocprim17ROCPRIM_400000_NS6detail17trampoline_kernelINS0_14default_configENS1_25partition_config_selectorILNS1_17partition_subalgoE6EiNS0_10empty_typeEbEEZZNS1_14partition_implILS5_6ELb0ES3_mPiPS6_SA_NS0_5tupleIJS9_S6_EEENSB_IJSA_SA_EEES6_PlJN6thrust23THRUST_200600_302600_NS6detail9not_fun_tINSH_10functional5actorINSJ_9compositeIJNSJ_27transparent_binary_operatorINSG_8equal_toIvEEEENSK_INSJ_8argumentILj0EEEEENSJ_5valueIiEEEEEEEEEEEE10hipError_tPvRmT3_T4_T5_T6_T7_T9_mT8_P12ihipStream_tbDpT10_ENKUlT_T0_E_clISt17integral_constantIbLb0EES1G_IbLb1EEEEDaS1C_S1D_EUlS1C_E_NS1_11comp_targetILNS1_3genE10ELNS1_11target_archE1200ELNS1_3gpuE4ELNS1_3repE0EEENS1_30default_config_static_selectorELNS0_4arch9wavefront6targetE1EEEvT1_.kd
    .uniform_work_group_size: 1
    .uses_dynamic_stack: false
    .vgpr_count:     0
    .vgpr_spill_count: 0
    .wavefront_size: 64
  - .agpr_count:     0
    .args:
      - .offset:         0
        .size:           128
        .value_kind:     by_value
    .group_segment_fixed_size: 0
    .kernarg_segment_align: 8
    .kernarg_segment_size: 128
    .language:       OpenCL C
    .language_version:
      - 2
      - 0
    .max_flat_workgroup_size: 128
    .name:           _ZN7rocprim17ROCPRIM_400000_NS6detail17trampoline_kernelINS0_14default_configENS1_25partition_config_selectorILNS1_17partition_subalgoE6EiNS0_10empty_typeEbEEZZNS1_14partition_implILS5_6ELb0ES3_mPiPS6_SA_NS0_5tupleIJS9_S6_EEENSB_IJSA_SA_EEES6_PlJN6thrust23THRUST_200600_302600_NS6detail9not_fun_tINSH_10functional5actorINSJ_9compositeIJNSJ_27transparent_binary_operatorINSG_8equal_toIvEEEENSK_INSJ_8argumentILj0EEEEENSJ_5valueIiEEEEEEEEEEEE10hipError_tPvRmT3_T4_T5_T6_T7_T9_mT8_P12ihipStream_tbDpT10_ENKUlT_T0_E_clISt17integral_constantIbLb0EES1G_IbLb1EEEEDaS1C_S1D_EUlS1C_E_NS1_11comp_targetILNS1_3genE9ELNS1_11target_archE1100ELNS1_3gpuE3ELNS1_3repE0EEENS1_30default_config_static_selectorELNS0_4arch9wavefront6targetE1EEEvT1_
    .private_segment_fixed_size: 0
    .sgpr_count:     4
    .sgpr_spill_count: 0
    .symbol:         _ZN7rocprim17ROCPRIM_400000_NS6detail17trampoline_kernelINS0_14default_configENS1_25partition_config_selectorILNS1_17partition_subalgoE6EiNS0_10empty_typeEbEEZZNS1_14partition_implILS5_6ELb0ES3_mPiPS6_SA_NS0_5tupleIJS9_S6_EEENSB_IJSA_SA_EEES6_PlJN6thrust23THRUST_200600_302600_NS6detail9not_fun_tINSH_10functional5actorINSJ_9compositeIJNSJ_27transparent_binary_operatorINSG_8equal_toIvEEEENSK_INSJ_8argumentILj0EEEEENSJ_5valueIiEEEEEEEEEEEE10hipError_tPvRmT3_T4_T5_T6_T7_T9_mT8_P12ihipStream_tbDpT10_ENKUlT_T0_E_clISt17integral_constantIbLb0EES1G_IbLb1EEEEDaS1C_S1D_EUlS1C_E_NS1_11comp_targetILNS1_3genE9ELNS1_11target_archE1100ELNS1_3gpuE3ELNS1_3repE0EEENS1_30default_config_static_selectorELNS0_4arch9wavefront6targetE1EEEvT1_.kd
    .uniform_work_group_size: 1
    .uses_dynamic_stack: false
    .vgpr_count:     0
    .vgpr_spill_count: 0
    .wavefront_size: 64
  - .agpr_count:     0
    .args:
      - .offset:         0
        .size:           128
        .value_kind:     by_value
    .group_segment_fixed_size: 0
    .kernarg_segment_align: 8
    .kernarg_segment_size: 128
    .language:       OpenCL C
    .language_version:
      - 2
      - 0
    .max_flat_workgroup_size: 512
    .name:           _ZN7rocprim17ROCPRIM_400000_NS6detail17trampoline_kernelINS0_14default_configENS1_25partition_config_selectorILNS1_17partition_subalgoE6EiNS0_10empty_typeEbEEZZNS1_14partition_implILS5_6ELb0ES3_mPiPS6_SA_NS0_5tupleIJS9_S6_EEENSB_IJSA_SA_EEES6_PlJN6thrust23THRUST_200600_302600_NS6detail9not_fun_tINSH_10functional5actorINSJ_9compositeIJNSJ_27transparent_binary_operatorINSG_8equal_toIvEEEENSK_INSJ_8argumentILj0EEEEENSJ_5valueIiEEEEEEEEEEEE10hipError_tPvRmT3_T4_T5_T6_T7_T9_mT8_P12ihipStream_tbDpT10_ENKUlT_T0_E_clISt17integral_constantIbLb0EES1G_IbLb1EEEEDaS1C_S1D_EUlS1C_E_NS1_11comp_targetILNS1_3genE8ELNS1_11target_archE1030ELNS1_3gpuE2ELNS1_3repE0EEENS1_30default_config_static_selectorELNS0_4arch9wavefront6targetE1EEEvT1_
    .private_segment_fixed_size: 0
    .sgpr_count:     4
    .sgpr_spill_count: 0
    .symbol:         _ZN7rocprim17ROCPRIM_400000_NS6detail17trampoline_kernelINS0_14default_configENS1_25partition_config_selectorILNS1_17partition_subalgoE6EiNS0_10empty_typeEbEEZZNS1_14partition_implILS5_6ELb0ES3_mPiPS6_SA_NS0_5tupleIJS9_S6_EEENSB_IJSA_SA_EEES6_PlJN6thrust23THRUST_200600_302600_NS6detail9not_fun_tINSH_10functional5actorINSJ_9compositeIJNSJ_27transparent_binary_operatorINSG_8equal_toIvEEEENSK_INSJ_8argumentILj0EEEEENSJ_5valueIiEEEEEEEEEEEE10hipError_tPvRmT3_T4_T5_T6_T7_T9_mT8_P12ihipStream_tbDpT10_ENKUlT_T0_E_clISt17integral_constantIbLb0EES1G_IbLb1EEEEDaS1C_S1D_EUlS1C_E_NS1_11comp_targetILNS1_3genE8ELNS1_11target_archE1030ELNS1_3gpuE2ELNS1_3repE0EEENS1_30default_config_static_selectorELNS0_4arch9wavefront6targetE1EEEvT1_.kd
    .uniform_work_group_size: 1
    .uses_dynamic_stack: false
    .vgpr_count:     0
    .vgpr_spill_count: 0
    .wavefront_size: 64
  - .agpr_count:     0
    .args:
      - .offset:         0
        .size:           48
        .value_kind:     by_value
    .group_segment_fixed_size: 0
    .kernarg_segment_align: 8
    .kernarg_segment_size: 48
    .language:       OpenCL C
    .language_version:
      - 2
      - 0
    .max_flat_workgroup_size: 256
    .name:           _ZN7rocprim17ROCPRIM_400000_NS6detail17trampoline_kernelINS0_13kernel_configILj256ELj4ELj4294967295EEENS1_37radix_sort_block_sort_config_selectorIiiEEZNS1_21radix_sort_block_sortIS4_Lb0EPiS8_S8_S8_NS0_19identity_decomposerEEE10hipError_tT1_T2_T3_T4_jRjT5_jjP12ihipStream_tbEUlT_E_NS1_11comp_targetILNS1_3genE0ELNS1_11target_archE4294967295ELNS1_3gpuE0ELNS1_3repE0EEENS1_44radix_sort_block_sort_config_static_selectorELNS0_4arch9wavefront6targetE1EEEvSB_
    .private_segment_fixed_size: 0
    .sgpr_count:     4
    .sgpr_spill_count: 0
    .symbol:         _ZN7rocprim17ROCPRIM_400000_NS6detail17trampoline_kernelINS0_13kernel_configILj256ELj4ELj4294967295EEENS1_37radix_sort_block_sort_config_selectorIiiEEZNS1_21radix_sort_block_sortIS4_Lb0EPiS8_S8_S8_NS0_19identity_decomposerEEE10hipError_tT1_T2_T3_T4_jRjT5_jjP12ihipStream_tbEUlT_E_NS1_11comp_targetILNS1_3genE0ELNS1_11target_archE4294967295ELNS1_3gpuE0ELNS1_3repE0EEENS1_44radix_sort_block_sort_config_static_selectorELNS0_4arch9wavefront6targetE1EEEvSB_.kd
    .uniform_work_group_size: 1
    .uses_dynamic_stack: false
    .vgpr_count:     0
    .vgpr_spill_count: 0
    .wavefront_size: 64
  - .agpr_count:     0
    .args:
      - .offset:         0
        .size:           48
        .value_kind:     by_value
    .group_segment_fixed_size: 0
    .kernarg_segment_align: 8
    .kernarg_segment_size: 48
    .language:       OpenCL C
    .language_version:
      - 2
      - 0
    .max_flat_workgroup_size: 256
    .name:           _ZN7rocprim17ROCPRIM_400000_NS6detail17trampoline_kernelINS0_13kernel_configILj256ELj4ELj4294967295EEENS1_37radix_sort_block_sort_config_selectorIiiEEZNS1_21radix_sort_block_sortIS4_Lb0EPiS8_S8_S8_NS0_19identity_decomposerEEE10hipError_tT1_T2_T3_T4_jRjT5_jjP12ihipStream_tbEUlT_E_NS1_11comp_targetILNS1_3genE5ELNS1_11target_archE942ELNS1_3gpuE9ELNS1_3repE0EEENS1_44radix_sort_block_sort_config_static_selectorELNS0_4arch9wavefront6targetE1EEEvSB_
    .private_segment_fixed_size: 0
    .sgpr_count:     4
    .sgpr_spill_count: 0
    .symbol:         _ZN7rocprim17ROCPRIM_400000_NS6detail17trampoline_kernelINS0_13kernel_configILj256ELj4ELj4294967295EEENS1_37radix_sort_block_sort_config_selectorIiiEEZNS1_21radix_sort_block_sortIS4_Lb0EPiS8_S8_S8_NS0_19identity_decomposerEEE10hipError_tT1_T2_T3_T4_jRjT5_jjP12ihipStream_tbEUlT_E_NS1_11comp_targetILNS1_3genE5ELNS1_11target_archE942ELNS1_3gpuE9ELNS1_3repE0EEENS1_44radix_sort_block_sort_config_static_selectorELNS0_4arch9wavefront6targetE1EEEvSB_.kd
    .uniform_work_group_size: 1
    .uses_dynamic_stack: false
    .vgpr_count:     0
    .vgpr_spill_count: 0
    .wavefront_size: 64
  - .agpr_count:     0
    .args:
      - .offset:         0
        .size:           48
        .value_kind:     by_value
      - .offset:         48
        .size:           4
        .value_kind:     hidden_block_count_x
      - .offset:         52
        .size:           4
        .value_kind:     hidden_block_count_y
      - .offset:         56
        .size:           4
        .value_kind:     hidden_block_count_z
      - .offset:         60
        .size:           2
        .value_kind:     hidden_group_size_x
      - .offset:         62
        .size:           2
        .value_kind:     hidden_group_size_y
      - .offset:         64
        .size:           2
        .value_kind:     hidden_group_size_z
      - .offset:         66
        .size:           2
        .value_kind:     hidden_remainder_x
      - .offset:         68
        .size:           2
        .value_kind:     hidden_remainder_y
      - .offset:         70
        .size:           2
        .value_kind:     hidden_remainder_z
      - .offset:         88
        .size:           8
        .value_kind:     hidden_global_offset_x
      - .offset:         96
        .size:           8
        .value_kind:     hidden_global_offset_y
      - .offset:         104
        .size:           8
        .value_kind:     hidden_global_offset_z
      - .offset:         112
        .size:           2
        .value_kind:     hidden_grid_dims
    .group_segment_fixed_size: 4112
    .kernarg_segment_align: 8
    .kernarg_segment_size: 304
    .language:       OpenCL C
    .language_version:
      - 2
      - 0
    .max_flat_workgroup_size: 256
    .name:           _ZN7rocprim17ROCPRIM_400000_NS6detail17trampoline_kernelINS0_13kernel_configILj256ELj4ELj4294967295EEENS1_37radix_sort_block_sort_config_selectorIiiEEZNS1_21radix_sort_block_sortIS4_Lb0EPiS8_S8_S8_NS0_19identity_decomposerEEE10hipError_tT1_T2_T3_T4_jRjT5_jjP12ihipStream_tbEUlT_E_NS1_11comp_targetILNS1_3genE4ELNS1_11target_archE910ELNS1_3gpuE8ELNS1_3repE0EEENS1_44radix_sort_block_sort_config_static_selectorELNS0_4arch9wavefront6targetE1EEEvSB_
    .private_segment_fixed_size: 0
    .sgpr_count:     50
    .sgpr_spill_count: 0
    .symbol:         _ZN7rocprim17ROCPRIM_400000_NS6detail17trampoline_kernelINS0_13kernel_configILj256ELj4ELj4294967295EEENS1_37radix_sort_block_sort_config_selectorIiiEEZNS1_21radix_sort_block_sortIS4_Lb0EPiS8_S8_S8_NS0_19identity_decomposerEEE10hipError_tT1_T2_T3_T4_jRjT5_jjP12ihipStream_tbEUlT_E_NS1_11comp_targetILNS1_3genE4ELNS1_11target_archE910ELNS1_3gpuE8ELNS1_3repE0EEENS1_44radix_sort_block_sort_config_static_selectorELNS0_4arch9wavefront6targetE1EEEvSB_.kd
    .uniform_work_group_size: 1
    .uses_dynamic_stack: false
    .vgpr_count:     43
    .vgpr_spill_count: 0
    .wavefront_size: 64
  - .agpr_count:     0
    .args:
      - .offset:         0
        .size:           48
        .value_kind:     by_value
    .group_segment_fixed_size: 0
    .kernarg_segment_align: 8
    .kernarg_segment_size: 48
    .language:       OpenCL C
    .language_version:
      - 2
      - 0
    .max_flat_workgroup_size: 256
    .name:           _ZN7rocprim17ROCPRIM_400000_NS6detail17trampoline_kernelINS0_13kernel_configILj256ELj4ELj4294967295EEENS1_37radix_sort_block_sort_config_selectorIiiEEZNS1_21radix_sort_block_sortIS4_Lb0EPiS8_S8_S8_NS0_19identity_decomposerEEE10hipError_tT1_T2_T3_T4_jRjT5_jjP12ihipStream_tbEUlT_E_NS1_11comp_targetILNS1_3genE3ELNS1_11target_archE908ELNS1_3gpuE7ELNS1_3repE0EEENS1_44radix_sort_block_sort_config_static_selectorELNS0_4arch9wavefront6targetE1EEEvSB_
    .private_segment_fixed_size: 0
    .sgpr_count:     4
    .sgpr_spill_count: 0
    .symbol:         _ZN7rocprim17ROCPRIM_400000_NS6detail17trampoline_kernelINS0_13kernel_configILj256ELj4ELj4294967295EEENS1_37radix_sort_block_sort_config_selectorIiiEEZNS1_21radix_sort_block_sortIS4_Lb0EPiS8_S8_S8_NS0_19identity_decomposerEEE10hipError_tT1_T2_T3_T4_jRjT5_jjP12ihipStream_tbEUlT_E_NS1_11comp_targetILNS1_3genE3ELNS1_11target_archE908ELNS1_3gpuE7ELNS1_3repE0EEENS1_44radix_sort_block_sort_config_static_selectorELNS0_4arch9wavefront6targetE1EEEvSB_.kd
    .uniform_work_group_size: 1
    .uses_dynamic_stack: false
    .vgpr_count:     0
    .vgpr_spill_count: 0
    .wavefront_size: 64
  - .agpr_count:     0
    .args:
      - .offset:         0
        .size:           48
        .value_kind:     by_value
    .group_segment_fixed_size: 0
    .kernarg_segment_align: 8
    .kernarg_segment_size: 48
    .language:       OpenCL C
    .language_version:
      - 2
      - 0
    .max_flat_workgroup_size: 256
    .name:           _ZN7rocprim17ROCPRIM_400000_NS6detail17trampoline_kernelINS0_13kernel_configILj256ELj4ELj4294967295EEENS1_37radix_sort_block_sort_config_selectorIiiEEZNS1_21radix_sort_block_sortIS4_Lb0EPiS8_S8_S8_NS0_19identity_decomposerEEE10hipError_tT1_T2_T3_T4_jRjT5_jjP12ihipStream_tbEUlT_E_NS1_11comp_targetILNS1_3genE2ELNS1_11target_archE906ELNS1_3gpuE6ELNS1_3repE0EEENS1_44radix_sort_block_sort_config_static_selectorELNS0_4arch9wavefront6targetE1EEEvSB_
    .private_segment_fixed_size: 0
    .sgpr_count:     4
    .sgpr_spill_count: 0
    .symbol:         _ZN7rocprim17ROCPRIM_400000_NS6detail17trampoline_kernelINS0_13kernel_configILj256ELj4ELj4294967295EEENS1_37radix_sort_block_sort_config_selectorIiiEEZNS1_21radix_sort_block_sortIS4_Lb0EPiS8_S8_S8_NS0_19identity_decomposerEEE10hipError_tT1_T2_T3_T4_jRjT5_jjP12ihipStream_tbEUlT_E_NS1_11comp_targetILNS1_3genE2ELNS1_11target_archE906ELNS1_3gpuE6ELNS1_3repE0EEENS1_44radix_sort_block_sort_config_static_selectorELNS0_4arch9wavefront6targetE1EEEvSB_.kd
    .uniform_work_group_size: 1
    .uses_dynamic_stack: false
    .vgpr_count:     0
    .vgpr_spill_count: 0
    .wavefront_size: 64
  - .agpr_count:     0
    .args:
      - .offset:         0
        .size:           48
        .value_kind:     by_value
    .group_segment_fixed_size: 0
    .kernarg_segment_align: 8
    .kernarg_segment_size: 48
    .language:       OpenCL C
    .language_version:
      - 2
      - 0
    .max_flat_workgroup_size: 256
    .name:           _ZN7rocprim17ROCPRIM_400000_NS6detail17trampoline_kernelINS0_13kernel_configILj256ELj4ELj4294967295EEENS1_37radix_sort_block_sort_config_selectorIiiEEZNS1_21radix_sort_block_sortIS4_Lb0EPiS8_S8_S8_NS0_19identity_decomposerEEE10hipError_tT1_T2_T3_T4_jRjT5_jjP12ihipStream_tbEUlT_E_NS1_11comp_targetILNS1_3genE10ELNS1_11target_archE1201ELNS1_3gpuE5ELNS1_3repE0EEENS1_44radix_sort_block_sort_config_static_selectorELNS0_4arch9wavefront6targetE1EEEvSB_
    .private_segment_fixed_size: 0
    .sgpr_count:     4
    .sgpr_spill_count: 0
    .symbol:         _ZN7rocprim17ROCPRIM_400000_NS6detail17trampoline_kernelINS0_13kernel_configILj256ELj4ELj4294967295EEENS1_37radix_sort_block_sort_config_selectorIiiEEZNS1_21radix_sort_block_sortIS4_Lb0EPiS8_S8_S8_NS0_19identity_decomposerEEE10hipError_tT1_T2_T3_T4_jRjT5_jjP12ihipStream_tbEUlT_E_NS1_11comp_targetILNS1_3genE10ELNS1_11target_archE1201ELNS1_3gpuE5ELNS1_3repE0EEENS1_44radix_sort_block_sort_config_static_selectorELNS0_4arch9wavefront6targetE1EEEvSB_.kd
    .uniform_work_group_size: 1
    .uses_dynamic_stack: false
    .vgpr_count:     0
    .vgpr_spill_count: 0
    .wavefront_size: 64
  - .agpr_count:     0
    .args:
      - .offset:         0
        .size:           48
        .value_kind:     by_value
    .group_segment_fixed_size: 0
    .kernarg_segment_align: 8
    .kernarg_segment_size: 48
    .language:       OpenCL C
    .language_version:
      - 2
      - 0
    .max_flat_workgroup_size: 256
    .name:           _ZN7rocprim17ROCPRIM_400000_NS6detail17trampoline_kernelINS0_13kernel_configILj256ELj4ELj4294967295EEENS1_37radix_sort_block_sort_config_selectorIiiEEZNS1_21radix_sort_block_sortIS4_Lb0EPiS8_S8_S8_NS0_19identity_decomposerEEE10hipError_tT1_T2_T3_T4_jRjT5_jjP12ihipStream_tbEUlT_E_NS1_11comp_targetILNS1_3genE10ELNS1_11target_archE1200ELNS1_3gpuE4ELNS1_3repE0EEENS1_44radix_sort_block_sort_config_static_selectorELNS0_4arch9wavefront6targetE1EEEvSB_
    .private_segment_fixed_size: 0
    .sgpr_count:     4
    .sgpr_spill_count: 0
    .symbol:         _ZN7rocprim17ROCPRIM_400000_NS6detail17trampoline_kernelINS0_13kernel_configILj256ELj4ELj4294967295EEENS1_37radix_sort_block_sort_config_selectorIiiEEZNS1_21radix_sort_block_sortIS4_Lb0EPiS8_S8_S8_NS0_19identity_decomposerEEE10hipError_tT1_T2_T3_T4_jRjT5_jjP12ihipStream_tbEUlT_E_NS1_11comp_targetILNS1_3genE10ELNS1_11target_archE1200ELNS1_3gpuE4ELNS1_3repE0EEENS1_44radix_sort_block_sort_config_static_selectorELNS0_4arch9wavefront6targetE1EEEvSB_.kd
    .uniform_work_group_size: 1
    .uses_dynamic_stack: false
    .vgpr_count:     0
    .vgpr_spill_count: 0
    .wavefront_size: 64
  - .agpr_count:     0
    .args:
      - .offset:         0
        .size:           48
        .value_kind:     by_value
    .group_segment_fixed_size: 0
    .kernarg_segment_align: 8
    .kernarg_segment_size: 48
    .language:       OpenCL C
    .language_version:
      - 2
      - 0
    .max_flat_workgroup_size: 256
    .name:           _ZN7rocprim17ROCPRIM_400000_NS6detail17trampoline_kernelINS0_13kernel_configILj256ELj4ELj4294967295EEENS1_37radix_sort_block_sort_config_selectorIiiEEZNS1_21radix_sort_block_sortIS4_Lb0EPiS8_S8_S8_NS0_19identity_decomposerEEE10hipError_tT1_T2_T3_T4_jRjT5_jjP12ihipStream_tbEUlT_E_NS1_11comp_targetILNS1_3genE9ELNS1_11target_archE1100ELNS1_3gpuE3ELNS1_3repE0EEENS1_44radix_sort_block_sort_config_static_selectorELNS0_4arch9wavefront6targetE1EEEvSB_
    .private_segment_fixed_size: 0
    .sgpr_count:     4
    .sgpr_spill_count: 0
    .symbol:         _ZN7rocprim17ROCPRIM_400000_NS6detail17trampoline_kernelINS0_13kernel_configILj256ELj4ELj4294967295EEENS1_37radix_sort_block_sort_config_selectorIiiEEZNS1_21radix_sort_block_sortIS4_Lb0EPiS8_S8_S8_NS0_19identity_decomposerEEE10hipError_tT1_T2_T3_T4_jRjT5_jjP12ihipStream_tbEUlT_E_NS1_11comp_targetILNS1_3genE9ELNS1_11target_archE1100ELNS1_3gpuE3ELNS1_3repE0EEENS1_44radix_sort_block_sort_config_static_selectorELNS0_4arch9wavefront6targetE1EEEvSB_.kd
    .uniform_work_group_size: 1
    .uses_dynamic_stack: false
    .vgpr_count:     0
    .vgpr_spill_count: 0
    .wavefront_size: 64
  - .agpr_count:     0
    .args:
      - .offset:         0
        .size:           48
        .value_kind:     by_value
    .group_segment_fixed_size: 0
    .kernarg_segment_align: 8
    .kernarg_segment_size: 48
    .language:       OpenCL C
    .language_version:
      - 2
      - 0
    .max_flat_workgroup_size: 256
    .name:           _ZN7rocprim17ROCPRIM_400000_NS6detail17trampoline_kernelINS0_13kernel_configILj256ELj4ELj4294967295EEENS1_37radix_sort_block_sort_config_selectorIiiEEZNS1_21radix_sort_block_sortIS4_Lb0EPiS8_S8_S8_NS0_19identity_decomposerEEE10hipError_tT1_T2_T3_T4_jRjT5_jjP12ihipStream_tbEUlT_E_NS1_11comp_targetILNS1_3genE8ELNS1_11target_archE1030ELNS1_3gpuE2ELNS1_3repE0EEENS1_44radix_sort_block_sort_config_static_selectorELNS0_4arch9wavefront6targetE1EEEvSB_
    .private_segment_fixed_size: 0
    .sgpr_count:     4
    .sgpr_spill_count: 0
    .symbol:         _ZN7rocprim17ROCPRIM_400000_NS6detail17trampoline_kernelINS0_13kernel_configILj256ELj4ELj4294967295EEENS1_37radix_sort_block_sort_config_selectorIiiEEZNS1_21radix_sort_block_sortIS4_Lb0EPiS8_S8_S8_NS0_19identity_decomposerEEE10hipError_tT1_T2_T3_T4_jRjT5_jjP12ihipStream_tbEUlT_E_NS1_11comp_targetILNS1_3genE8ELNS1_11target_archE1030ELNS1_3gpuE2ELNS1_3repE0EEENS1_44radix_sort_block_sort_config_static_selectorELNS0_4arch9wavefront6targetE1EEEvSB_.kd
    .uniform_work_group_size: 1
    .uses_dynamic_stack: false
    .vgpr_count:     0
    .vgpr_spill_count: 0
    .wavefront_size: 64
  - .agpr_count:     0
    .args:           []
    .group_segment_fixed_size: 0
    .kernarg_segment_align: 4
    .kernarg_segment_size: 0
    .language:       OpenCL C
    .language_version:
      - 2
      - 0
    .max_flat_workgroup_size: 1024
    .name:           _ZN7rocprim17ROCPRIM_400000_NS6detail44device_merge_sort_compile_time_verifier_archINS1_11comp_targetILNS1_3genE0ELNS1_11target_archE4294967295ELNS1_3gpuE0ELNS1_3repE0EEES8_NS1_28merge_sort_block_sort_configILj256ELj4ELNS0_20block_sort_algorithmE0EEENS0_14default_configENS1_37merge_sort_block_sort_config_selectorIiiEENS1_38merge_sort_block_merge_config_selectorIiiEEEEvv
    .private_segment_fixed_size: 0
    .sgpr_count:     4
    .sgpr_spill_count: 0
    .symbol:         _ZN7rocprim17ROCPRIM_400000_NS6detail44device_merge_sort_compile_time_verifier_archINS1_11comp_targetILNS1_3genE0ELNS1_11target_archE4294967295ELNS1_3gpuE0ELNS1_3repE0EEES8_NS1_28merge_sort_block_sort_configILj256ELj4ELNS0_20block_sort_algorithmE0EEENS0_14default_configENS1_37merge_sort_block_sort_config_selectorIiiEENS1_38merge_sort_block_merge_config_selectorIiiEEEEvv.kd
    .uniform_work_group_size: 1
    .uses_dynamic_stack: false
    .vgpr_count:     0
    .vgpr_spill_count: 0
    .wavefront_size: 64
  - .agpr_count:     0
    .args:           []
    .group_segment_fixed_size: 0
    .kernarg_segment_align: 4
    .kernarg_segment_size: 0
    .language:       OpenCL C
    .language_version:
      - 2
      - 0
    .max_flat_workgroup_size: 1024
    .name:           _ZN7rocprim17ROCPRIM_400000_NS6detail44device_merge_sort_compile_time_verifier_archINS1_11comp_targetILNS1_3genE5ELNS1_11target_archE942ELNS1_3gpuE9ELNS1_3repE0EEES8_NS1_28merge_sort_block_sort_configILj256ELj4ELNS0_20block_sort_algorithmE0EEENS0_14default_configENS1_37merge_sort_block_sort_config_selectorIiiEENS1_38merge_sort_block_merge_config_selectorIiiEEEEvv
    .private_segment_fixed_size: 0
    .sgpr_count:     4
    .sgpr_spill_count: 0
    .symbol:         _ZN7rocprim17ROCPRIM_400000_NS6detail44device_merge_sort_compile_time_verifier_archINS1_11comp_targetILNS1_3genE5ELNS1_11target_archE942ELNS1_3gpuE9ELNS1_3repE0EEES8_NS1_28merge_sort_block_sort_configILj256ELj4ELNS0_20block_sort_algorithmE0EEENS0_14default_configENS1_37merge_sort_block_sort_config_selectorIiiEENS1_38merge_sort_block_merge_config_selectorIiiEEEEvv.kd
    .uniform_work_group_size: 1
    .uses_dynamic_stack: false
    .vgpr_count:     0
    .vgpr_spill_count: 0
    .wavefront_size: 64
  - .agpr_count:     0
    .args:           []
    .group_segment_fixed_size: 0
    .kernarg_segment_align: 4
    .kernarg_segment_size: 0
    .language:       OpenCL C
    .language_version:
      - 2
      - 0
    .max_flat_workgroup_size: 1024
    .name:           _ZN7rocprim17ROCPRIM_400000_NS6detail44device_merge_sort_compile_time_verifier_archINS1_11comp_targetILNS1_3genE4ELNS1_11target_archE910ELNS1_3gpuE8ELNS1_3repE0EEES8_NS1_28merge_sort_block_sort_configILj256ELj4ELNS0_20block_sort_algorithmE0EEENS0_14default_configENS1_37merge_sort_block_sort_config_selectorIiiEENS1_38merge_sort_block_merge_config_selectorIiiEEEEvv
    .private_segment_fixed_size: 0
    .sgpr_count:     4
    .sgpr_spill_count: 0
    .symbol:         _ZN7rocprim17ROCPRIM_400000_NS6detail44device_merge_sort_compile_time_verifier_archINS1_11comp_targetILNS1_3genE4ELNS1_11target_archE910ELNS1_3gpuE8ELNS1_3repE0EEES8_NS1_28merge_sort_block_sort_configILj256ELj4ELNS0_20block_sort_algorithmE0EEENS0_14default_configENS1_37merge_sort_block_sort_config_selectorIiiEENS1_38merge_sort_block_merge_config_selectorIiiEEEEvv.kd
    .uniform_work_group_size: 1
    .uses_dynamic_stack: false
    .vgpr_count:     0
    .vgpr_spill_count: 0
    .wavefront_size: 64
  - .agpr_count:     0
    .args:           []
    .group_segment_fixed_size: 0
    .kernarg_segment_align: 4
    .kernarg_segment_size: 0
    .language:       OpenCL C
    .language_version:
      - 2
      - 0
    .max_flat_workgroup_size: 1024
    .name:           _ZN7rocprim17ROCPRIM_400000_NS6detail44device_merge_sort_compile_time_verifier_archINS1_11comp_targetILNS1_3genE3ELNS1_11target_archE908ELNS1_3gpuE7ELNS1_3repE0EEES8_NS1_28merge_sort_block_sort_configILj256ELj4ELNS0_20block_sort_algorithmE0EEENS0_14default_configENS1_37merge_sort_block_sort_config_selectorIiiEENS1_38merge_sort_block_merge_config_selectorIiiEEEEvv
    .private_segment_fixed_size: 0
    .sgpr_count:     4
    .sgpr_spill_count: 0
    .symbol:         _ZN7rocprim17ROCPRIM_400000_NS6detail44device_merge_sort_compile_time_verifier_archINS1_11comp_targetILNS1_3genE3ELNS1_11target_archE908ELNS1_3gpuE7ELNS1_3repE0EEES8_NS1_28merge_sort_block_sort_configILj256ELj4ELNS0_20block_sort_algorithmE0EEENS0_14default_configENS1_37merge_sort_block_sort_config_selectorIiiEENS1_38merge_sort_block_merge_config_selectorIiiEEEEvv.kd
    .uniform_work_group_size: 1
    .uses_dynamic_stack: false
    .vgpr_count:     0
    .vgpr_spill_count: 0
    .wavefront_size: 64
  - .agpr_count:     0
    .args:           []
    .group_segment_fixed_size: 0
    .kernarg_segment_align: 4
    .kernarg_segment_size: 0
    .language:       OpenCL C
    .language_version:
      - 2
      - 0
    .max_flat_workgroup_size: 1024
    .name:           _ZN7rocprim17ROCPRIM_400000_NS6detail44device_merge_sort_compile_time_verifier_archINS1_11comp_targetILNS1_3genE2ELNS1_11target_archE906ELNS1_3gpuE6ELNS1_3repE0EEES8_NS1_28merge_sort_block_sort_configILj256ELj4ELNS0_20block_sort_algorithmE0EEENS0_14default_configENS1_37merge_sort_block_sort_config_selectorIiiEENS1_38merge_sort_block_merge_config_selectorIiiEEEEvv
    .private_segment_fixed_size: 0
    .sgpr_count:     4
    .sgpr_spill_count: 0
    .symbol:         _ZN7rocprim17ROCPRIM_400000_NS6detail44device_merge_sort_compile_time_verifier_archINS1_11comp_targetILNS1_3genE2ELNS1_11target_archE906ELNS1_3gpuE6ELNS1_3repE0EEES8_NS1_28merge_sort_block_sort_configILj256ELj4ELNS0_20block_sort_algorithmE0EEENS0_14default_configENS1_37merge_sort_block_sort_config_selectorIiiEENS1_38merge_sort_block_merge_config_selectorIiiEEEEvv.kd
    .uniform_work_group_size: 1
    .uses_dynamic_stack: false
    .vgpr_count:     0
    .vgpr_spill_count: 0
    .wavefront_size: 64
  - .agpr_count:     0
    .args:           []
    .group_segment_fixed_size: 0
    .kernarg_segment_align: 4
    .kernarg_segment_size: 0
    .language:       OpenCL C
    .language_version:
      - 2
      - 0
    .max_flat_workgroup_size: 1024
    .name:           _ZN7rocprim17ROCPRIM_400000_NS6detail44device_merge_sort_compile_time_verifier_archINS1_11comp_targetILNS1_3genE10ELNS1_11target_archE1201ELNS1_3gpuE5ELNS1_3repE0EEES8_NS1_28merge_sort_block_sort_configILj256ELj4ELNS0_20block_sort_algorithmE0EEENS0_14default_configENS1_37merge_sort_block_sort_config_selectorIiiEENS1_38merge_sort_block_merge_config_selectorIiiEEEEvv
    .private_segment_fixed_size: 0
    .sgpr_count:     4
    .sgpr_spill_count: 0
    .symbol:         _ZN7rocprim17ROCPRIM_400000_NS6detail44device_merge_sort_compile_time_verifier_archINS1_11comp_targetILNS1_3genE10ELNS1_11target_archE1201ELNS1_3gpuE5ELNS1_3repE0EEES8_NS1_28merge_sort_block_sort_configILj256ELj4ELNS0_20block_sort_algorithmE0EEENS0_14default_configENS1_37merge_sort_block_sort_config_selectorIiiEENS1_38merge_sort_block_merge_config_selectorIiiEEEEvv.kd
    .uniform_work_group_size: 1
    .uses_dynamic_stack: false
    .vgpr_count:     0
    .vgpr_spill_count: 0
    .wavefront_size: 64
  - .agpr_count:     0
    .args:           []
    .group_segment_fixed_size: 0
    .kernarg_segment_align: 4
    .kernarg_segment_size: 0
    .language:       OpenCL C
    .language_version:
      - 2
      - 0
    .max_flat_workgroup_size: 1024
    .name:           _ZN7rocprim17ROCPRIM_400000_NS6detail44device_merge_sort_compile_time_verifier_archINS1_11comp_targetILNS1_3genE10ELNS1_11target_archE1200ELNS1_3gpuE4ELNS1_3repE0EEENS3_ILS4_10ELS5_1201ELS6_5ELS7_0EEENS1_28merge_sort_block_sort_configILj256ELj4ELNS0_20block_sort_algorithmE0EEENS0_14default_configENS1_37merge_sort_block_sort_config_selectorIiiEENS1_38merge_sort_block_merge_config_selectorIiiEEEEvv
    .private_segment_fixed_size: 0
    .sgpr_count:     4
    .sgpr_spill_count: 0
    .symbol:         _ZN7rocprim17ROCPRIM_400000_NS6detail44device_merge_sort_compile_time_verifier_archINS1_11comp_targetILNS1_3genE10ELNS1_11target_archE1200ELNS1_3gpuE4ELNS1_3repE0EEENS3_ILS4_10ELS5_1201ELS6_5ELS7_0EEENS1_28merge_sort_block_sort_configILj256ELj4ELNS0_20block_sort_algorithmE0EEENS0_14default_configENS1_37merge_sort_block_sort_config_selectorIiiEENS1_38merge_sort_block_merge_config_selectorIiiEEEEvv.kd
    .uniform_work_group_size: 1
    .uses_dynamic_stack: false
    .vgpr_count:     0
    .vgpr_spill_count: 0
    .wavefront_size: 64
  - .agpr_count:     0
    .args:           []
    .group_segment_fixed_size: 0
    .kernarg_segment_align: 4
    .kernarg_segment_size: 0
    .language:       OpenCL C
    .language_version:
      - 2
      - 0
    .max_flat_workgroup_size: 1024
    .name:           _ZN7rocprim17ROCPRIM_400000_NS6detail44device_merge_sort_compile_time_verifier_archINS1_11comp_targetILNS1_3genE9ELNS1_11target_archE1100ELNS1_3gpuE3ELNS1_3repE0EEES8_NS1_28merge_sort_block_sort_configILj256ELj4ELNS0_20block_sort_algorithmE0EEENS0_14default_configENS1_37merge_sort_block_sort_config_selectorIiiEENS1_38merge_sort_block_merge_config_selectorIiiEEEEvv
    .private_segment_fixed_size: 0
    .sgpr_count:     4
    .sgpr_spill_count: 0
    .symbol:         _ZN7rocprim17ROCPRIM_400000_NS6detail44device_merge_sort_compile_time_verifier_archINS1_11comp_targetILNS1_3genE9ELNS1_11target_archE1100ELNS1_3gpuE3ELNS1_3repE0EEES8_NS1_28merge_sort_block_sort_configILj256ELj4ELNS0_20block_sort_algorithmE0EEENS0_14default_configENS1_37merge_sort_block_sort_config_selectorIiiEENS1_38merge_sort_block_merge_config_selectorIiiEEEEvv.kd
    .uniform_work_group_size: 1
    .uses_dynamic_stack: false
    .vgpr_count:     0
    .vgpr_spill_count: 0
    .wavefront_size: 64
  - .agpr_count:     0
    .args:           []
    .group_segment_fixed_size: 0
    .kernarg_segment_align: 4
    .kernarg_segment_size: 0
    .language:       OpenCL C
    .language_version:
      - 2
      - 0
    .max_flat_workgroup_size: 1024
    .name:           _ZN7rocprim17ROCPRIM_400000_NS6detail44device_merge_sort_compile_time_verifier_archINS1_11comp_targetILNS1_3genE8ELNS1_11target_archE1030ELNS1_3gpuE2ELNS1_3repE0EEES8_NS1_28merge_sort_block_sort_configILj256ELj4ELNS0_20block_sort_algorithmE0EEENS0_14default_configENS1_37merge_sort_block_sort_config_selectorIiiEENS1_38merge_sort_block_merge_config_selectorIiiEEEEvv
    .private_segment_fixed_size: 0
    .sgpr_count:     4
    .sgpr_spill_count: 0
    .symbol:         _ZN7rocprim17ROCPRIM_400000_NS6detail44device_merge_sort_compile_time_verifier_archINS1_11comp_targetILNS1_3genE8ELNS1_11target_archE1030ELNS1_3gpuE2ELNS1_3repE0EEES8_NS1_28merge_sort_block_sort_configILj256ELj4ELNS0_20block_sort_algorithmE0EEENS0_14default_configENS1_37merge_sort_block_sort_config_selectorIiiEENS1_38merge_sort_block_merge_config_selectorIiiEEEEvv.kd
    .uniform_work_group_size: 1
    .uses_dynamic_stack: false
    .vgpr_count:     0
    .vgpr_spill_count: 0
    .wavefront_size: 64
  - .agpr_count:     0
    .args:
      - .offset:         0
        .size:           40
        .value_kind:     by_value
    .group_segment_fixed_size: 0
    .kernarg_segment_align: 8
    .kernarg_segment_size: 40
    .language:       OpenCL C
    .language_version:
      - 2
      - 0
    .max_flat_workgroup_size: 128
    .name:           _ZN7rocprim17ROCPRIM_400000_NS6detail17trampoline_kernelINS0_14default_configENS1_38merge_sort_block_merge_config_selectorIiiEEZZNS1_27merge_sort_block_merge_implIS3_PiS7_jNS1_19radix_merge_compareILb0ELb0EiNS0_19identity_decomposerEEEEE10hipError_tT0_T1_T2_jT3_P12ihipStream_tbPNSt15iterator_traitsISC_E10value_typeEPNSI_ISD_E10value_typeEPSE_NS1_7vsmem_tEENKUlT_SC_SD_SE_E_clIS7_S7_S7_S7_EESB_SR_SC_SD_SE_EUlSR_E_NS1_11comp_targetILNS1_3genE0ELNS1_11target_archE4294967295ELNS1_3gpuE0ELNS1_3repE0EEENS1_48merge_mergepath_partition_config_static_selectorELNS0_4arch9wavefront6targetE1EEEvSD_
    .private_segment_fixed_size: 0
    .sgpr_count:     4
    .sgpr_spill_count: 0
    .symbol:         _ZN7rocprim17ROCPRIM_400000_NS6detail17trampoline_kernelINS0_14default_configENS1_38merge_sort_block_merge_config_selectorIiiEEZZNS1_27merge_sort_block_merge_implIS3_PiS7_jNS1_19radix_merge_compareILb0ELb0EiNS0_19identity_decomposerEEEEE10hipError_tT0_T1_T2_jT3_P12ihipStream_tbPNSt15iterator_traitsISC_E10value_typeEPNSI_ISD_E10value_typeEPSE_NS1_7vsmem_tEENKUlT_SC_SD_SE_E_clIS7_S7_S7_S7_EESB_SR_SC_SD_SE_EUlSR_E_NS1_11comp_targetILNS1_3genE0ELNS1_11target_archE4294967295ELNS1_3gpuE0ELNS1_3repE0EEENS1_48merge_mergepath_partition_config_static_selectorELNS0_4arch9wavefront6targetE1EEEvSD_.kd
    .uniform_work_group_size: 1
    .uses_dynamic_stack: false
    .vgpr_count:     0
    .vgpr_spill_count: 0
    .wavefront_size: 64
  - .agpr_count:     0
    .args:
      - .offset:         0
        .size:           40
        .value_kind:     by_value
    .group_segment_fixed_size: 0
    .kernarg_segment_align: 8
    .kernarg_segment_size: 40
    .language:       OpenCL C
    .language_version:
      - 2
      - 0
    .max_flat_workgroup_size: 128
    .name:           _ZN7rocprim17ROCPRIM_400000_NS6detail17trampoline_kernelINS0_14default_configENS1_38merge_sort_block_merge_config_selectorIiiEEZZNS1_27merge_sort_block_merge_implIS3_PiS7_jNS1_19radix_merge_compareILb0ELb0EiNS0_19identity_decomposerEEEEE10hipError_tT0_T1_T2_jT3_P12ihipStream_tbPNSt15iterator_traitsISC_E10value_typeEPNSI_ISD_E10value_typeEPSE_NS1_7vsmem_tEENKUlT_SC_SD_SE_E_clIS7_S7_S7_S7_EESB_SR_SC_SD_SE_EUlSR_E_NS1_11comp_targetILNS1_3genE10ELNS1_11target_archE1201ELNS1_3gpuE5ELNS1_3repE0EEENS1_48merge_mergepath_partition_config_static_selectorELNS0_4arch9wavefront6targetE1EEEvSD_
    .private_segment_fixed_size: 0
    .sgpr_count:     4
    .sgpr_spill_count: 0
    .symbol:         _ZN7rocprim17ROCPRIM_400000_NS6detail17trampoline_kernelINS0_14default_configENS1_38merge_sort_block_merge_config_selectorIiiEEZZNS1_27merge_sort_block_merge_implIS3_PiS7_jNS1_19radix_merge_compareILb0ELb0EiNS0_19identity_decomposerEEEEE10hipError_tT0_T1_T2_jT3_P12ihipStream_tbPNSt15iterator_traitsISC_E10value_typeEPNSI_ISD_E10value_typeEPSE_NS1_7vsmem_tEENKUlT_SC_SD_SE_E_clIS7_S7_S7_S7_EESB_SR_SC_SD_SE_EUlSR_E_NS1_11comp_targetILNS1_3genE10ELNS1_11target_archE1201ELNS1_3gpuE5ELNS1_3repE0EEENS1_48merge_mergepath_partition_config_static_selectorELNS0_4arch9wavefront6targetE1EEEvSD_.kd
    .uniform_work_group_size: 1
    .uses_dynamic_stack: false
    .vgpr_count:     0
    .vgpr_spill_count: 0
    .wavefront_size: 64
  - .agpr_count:     0
    .args:
      - .offset:         0
        .size:           40
        .value_kind:     by_value
    .group_segment_fixed_size: 0
    .kernarg_segment_align: 8
    .kernarg_segment_size: 40
    .language:       OpenCL C
    .language_version:
      - 2
      - 0
    .max_flat_workgroup_size: 128
    .name:           _ZN7rocprim17ROCPRIM_400000_NS6detail17trampoline_kernelINS0_14default_configENS1_38merge_sort_block_merge_config_selectorIiiEEZZNS1_27merge_sort_block_merge_implIS3_PiS7_jNS1_19radix_merge_compareILb0ELb0EiNS0_19identity_decomposerEEEEE10hipError_tT0_T1_T2_jT3_P12ihipStream_tbPNSt15iterator_traitsISC_E10value_typeEPNSI_ISD_E10value_typeEPSE_NS1_7vsmem_tEENKUlT_SC_SD_SE_E_clIS7_S7_S7_S7_EESB_SR_SC_SD_SE_EUlSR_E_NS1_11comp_targetILNS1_3genE5ELNS1_11target_archE942ELNS1_3gpuE9ELNS1_3repE0EEENS1_48merge_mergepath_partition_config_static_selectorELNS0_4arch9wavefront6targetE1EEEvSD_
    .private_segment_fixed_size: 0
    .sgpr_count:     4
    .sgpr_spill_count: 0
    .symbol:         _ZN7rocprim17ROCPRIM_400000_NS6detail17trampoline_kernelINS0_14default_configENS1_38merge_sort_block_merge_config_selectorIiiEEZZNS1_27merge_sort_block_merge_implIS3_PiS7_jNS1_19radix_merge_compareILb0ELb0EiNS0_19identity_decomposerEEEEE10hipError_tT0_T1_T2_jT3_P12ihipStream_tbPNSt15iterator_traitsISC_E10value_typeEPNSI_ISD_E10value_typeEPSE_NS1_7vsmem_tEENKUlT_SC_SD_SE_E_clIS7_S7_S7_S7_EESB_SR_SC_SD_SE_EUlSR_E_NS1_11comp_targetILNS1_3genE5ELNS1_11target_archE942ELNS1_3gpuE9ELNS1_3repE0EEENS1_48merge_mergepath_partition_config_static_selectorELNS0_4arch9wavefront6targetE1EEEvSD_.kd
    .uniform_work_group_size: 1
    .uses_dynamic_stack: false
    .vgpr_count:     0
    .vgpr_spill_count: 0
    .wavefront_size: 64
  - .agpr_count:     0
    .args:
      - .offset:         0
        .size:           40
        .value_kind:     by_value
    .group_segment_fixed_size: 0
    .kernarg_segment_align: 8
    .kernarg_segment_size: 40
    .language:       OpenCL C
    .language_version:
      - 2
      - 0
    .max_flat_workgroup_size: 128
    .name:           _ZN7rocprim17ROCPRIM_400000_NS6detail17trampoline_kernelINS0_14default_configENS1_38merge_sort_block_merge_config_selectorIiiEEZZNS1_27merge_sort_block_merge_implIS3_PiS7_jNS1_19radix_merge_compareILb0ELb0EiNS0_19identity_decomposerEEEEE10hipError_tT0_T1_T2_jT3_P12ihipStream_tbPNSt15iterator_traitsISC_E10value_typeEPNSI_ISD_E10value_typeEPSE_NS1_7vsmem_tEENKUlT_SC_SD_SE_E_clIS7_S7_S7_S7_EESB_SR_SC_SD_SE_EUlSR_E_NS1_11comp_targetILNS1_3genE4ELNS1_11target_archE910ELNS1_3gpuE8ELNS1_3repE0EEENS1_48merge_mergepath_partition_config_static_selectorELNS0_4arch9wavefront6targetE1EEEvSD_
    .private_segment_fixed_size: 0
    .sgpr_count:     12
    .sgpr_spill_count: 0
    .symbol:         _ZN7rocprim17ROCPRIM_400000_NS6detail17trampoline_kernelINS0_14default_configENS1_38merge_sort_block_merge_config_selectorIiiEEZZNS1_27merge_sort_block_merge_implIS3_PiS7_jNS1_19radix_merge_compareILb0ELb0EiNS0_19identity_decomposerEEEEE10hipError_tT0_T1_T2_jT3_P12ihipStream_tbPNSt15iterator_traitsISC_E10value_typeEPNSI_ISD_E10value_typeEPSE_NS1_7vsmem_tEENKUlT_SC_SD_SE_E_clIS7_S7_S7_S7_EESB_SR_SC_SD_SE_EUlSR_E_NS1_11comp_targetILNS1_3genE4ELNS1_11target_archE910ELNS1_3gpuE8ELNS1_3repE0EEENS1_48merge_mergepath_partition_config_static_selectorELNS0_4arch9wavefront6targetE1EEEvSD_.kd
    .uniform_work_group_size: 1
    .uses_dynamic_stack: false
    .vgpr_count:     17
    .vgpr_spill_count: 0
    .wavefront_size: 64
  - .agpr_count:     0
    .args:
      - .offset:         0
        .size:           40
        .value_kind:     by_value
    .group_segment_fixed_size: 0
    .kernarg_segment_align: 8
    .kernarg_segment_size: 40
    .language:       OpenCL C
    .language_version:
      - 2
      - 0
    .max_flat_workgroup_size: 128
    .name:           _ZN7rocprim17ROCPRIM_400000_NS6detail17trampoline_kernelINS0_14default_configENS1_38merge_sort_block_merge_config_selectorIiiEEZZNS1_27merge_sort_block_merge_implIS3_PiS7_jNS1_19radix_merge_compareILb0ELb0EiNS0_19identity_decomposerEEEEE10hipError_tT0_T1_T2_jT3_P12ihipStream_tbPNSt15iterator_traitsISC_E10value_typeEPNSI_ISD_E10value_typeEPSE_NS1_7vsmem_tEENKUlT_SC_SD_SE_E_clIS7_S7_S7_S7_EESB_SR_SC_SD_SE_EUlSR_E_NS1_11comp_targetILNS1_3genE3ELNS1_11target_archE908ELNS1_3gpuE7ELNS1_3repE0EEENS1_48merge_mergepath_partition_config_static_selectorELNS0_4arch9wavefront6targetE1EEEvSD_
    .private_segment_fixed_size: 0
    .sgpr_count:     4
    .sgpr_spill_count: 0
    .symbol:         _ZN7rocprim17ROCPRIM_400000_NS6detail17trampoline_kernelINS0_14default_configENS1_38merge_sort_block_merge_config_selectorIiiEEZZNS1_27merge_sort_block_merge_implIS3_PiS7_jNS1_19radix_merge_compareILb0ELb0EiNS0_19identity_decomposerEEEEE10hipError_tT0_T1_T2_jT3_P12ihipStream_tbPNSt15iterator_traitsISC_E10value_typeEPNSI_ISD_E10value_typeEPSE_NS1_7vsmem_tEENKUlT_SC_SD_SE_E_clIS7_S7_S7_S7_EESB_SR_SC_SD_SE_EUlSR_E_NS1_11comp_targetILNS1_3genE3ELNS1_11target_archE908ELNS1_3gpuE7ELNS1_3repE0EEENS1_48merge_mergepath_partition_config_static_selectorELNS0_4arch9wavefront6targetE1EEEvSD_.kd
    .uniform_work_group_size: 1
    .uses_dynamic_stack: false
    .vgpr_count:     0
    .vgpr_spill_count: 0
    .wavefront_size: 64
  - .agpr_count:     0
    .args:
      - .offset:         0
        .size:           40
        .value_kind:     by_value
    .group_segment_fixed_size: 0
    .kernarg_segment_align: 8
    .kernarg_segment_size: 40
    .language:       OpenCL C
    .language_version:
      - 2
      - 0
    .max_flat_workgroup_size: 128
    .name:           _ZN7rocprim17ROCPRIM_400000_NS6detail17trampoline_kernelINS0_14default_configENS1_38merge_sort_block_merge_config_selectorIiiEEZZNS1_27merge_sort_block_merge_implIS3_PiS7_jNS1_19radix_merge_compareILb0ELb0EiNS0_19identity_decomposerEEEEE10hipError_tT0_T1_T2_jT3_P12ihipStream_tbPNSt15iterator_traitsISC_E10value_typeEPNSI_ISD_E10value_typeEPSE_NS1_7vsmem_tEENKUlT_SC_SD_SE_E_clIS7_S7_S7_S7_EESB_SR_SC_SD_SE_EUlSR_E_NS1_11comp_targetILNS1_3genE2ELNS1_11target_archE906ELNS1_3gpuE6ELNS1_3repE0EEENS1_48merge_mergepath_partition_config_static_selectorELNS0_4arch9wavefront6targetE1EEEvSD_
    .private_segment_fixed_size: 0
    .sgpr_count:     4
    .sgpr_spill_count: 0
    .symbol:         _ZN7rocprim17ROCPRIM_400000_NS6detail17trampoline_kernelINS0_14default_configENS1_38merge_sort_block_merge_config_selectorIiiEEZZNS1_27merge_sort_block_merge_implIS3_PiS7_jNS1_19radix_merge_compareILb0ELb0EiNS0_19identity_decomposerEEEEE10hipError_tT0_T1_T2_jT3_P12ihipStream_tbPNSt15iterator_traitsISC_E10value_typeEPNSI_ISD_E10value_typeEPSE_NS1_7vsmem_tEENKUlT_SC_SD_SE_E_clIS7_S7_S7_S7_EESB_SR_SC_SD_SE_EUlSR_E_NS1_11comp_targetILNS1_3genE2ELNS1_11target_archE906ELNS1_3gpuE6ELNS1_3repE0EEENS1_48merge_mergepath_partition_config_static_selectorELNS0_4arch9wavefront6targetE1EEEvSD_.kd
    .uniform_work_group_size: 1
    .uses_dynamic_stack: false
    .vgpr_count:     0
    .vgpr_spill_count: 0
    .wavefront_size: 64
  - .agpr_count:     0
    .args:
      - .offset:         0
        .size:           40
        .value_kind:     by_value
    .group_segment_fixed_size: 0
    .kernarg_segment_align: 8
    .kernarg_segment_size: 40
    .language:       OpenCL C
    .language_version:
      - 2
      - 0
    .max_flat_workgroup_size: 128
    .name:           _ZN7rocprim17ROCPRIM_400000_NS6detail17trampoline_kernelINS0_14default_configENS1_38merge_sort_block_merge_config_selectorIiiEEZZNS1_27merge_sort_block_merge_implIS3_PiS7_jNS1_19radix_merge_compareILb0ELb0EiNS0_19identity_decomposerEEEEE10hipError_tT0_T1_T2_jT3_P12ihipStream_tbPNSt15iterator_traitsISC_E10value_typeEPNSI_ISD_E10value_typeEPSE_NS1_7vsmem_tEENKUlT_SC_SD_SE_E_clIS7_S7_S7_S7_EESB_SR_SC_SD_SE_EUlSR_E_NS1_11comp_targetILNS1_3genE9ELNS1_11target_archE1100ELNS1_3gpuE3ELNS1_3repE0EEENS1_48merge_mergepath_partition_config_static_selectorELNS0_4arch9wavefront6targetE1EEEvSD_
    .private_segment_fixed_size: 0
    .sgpr_count:     4
    .sgpr_spill_count: 0
    .symbol:         _ZN7rocprim17ROCPRIM_400000_NS6detail17trampoline_kernelINS0_14default_configENS1_38merge_sort_block_merge_config_selectorIiiEEZZNS1_27merge_sort_block_merge_implIS3_PiS7_jNS1_19radix_merge_compareILb0ELb0EiNS0_19identity_decomposerEEEEE10hipError_tT0_T1_T2_jT3_P12ihipStream_tbPNSt15iterator_traitsISC_E10value_typeEPNSI_ISD_E10value_typeEPSE_NS1_7vsmem_tEENKUlT_SC_SD_SE_E_clIS7_S7_S7_S7_EESB_SR_SC_SD_SE_EUlSR_E_NS1_11comp_targetILNS1_3genE9ELNS1_11target_archE1100ELNS1_3gpuE3ELNS1_3repE0EEENS1_48merge_mergepath_partition_config_static_selectorELNS0_4arch9wavefront6targetE1EEEvSD_.kd
    .uniform_work_group_size: 1
    .uses_dynamic_stack: false
    .vgpr_count:     0
    .vgpr_spill_count: 0
    .wavefront_size: 64
  - .agpr_count:     0
    .args:
      - .offset:         0
        .size:           40
        .value_kind:     by_value
    .group_segment_fixed_size: 0
    .kernarg_segment_align: 8
    .kernarg_segment_size: 40
    .language:       OpenCL C
    .language_version:
      - 2
      - 0
    .max_flat_workgroup_size: 128
    .name:           _ZN7rocprim17ROCPRIM_400000_NS6detail17trampoline_kernelINS0_14default_configENS1_38merge_sort_block_merge_config_selectorIiiEEZZNS1_27merge_sort_block_merge_implIS3_PiS7_jNS1_19radix_merge_compareILb0ELb0EiNS0_19identity_decomposerEEEEE10hipError_tT0_T1_T2_jT3_P12ihipStream_tbPNSt15iterator_traitsISC_E10value_typeEPNSI_ISD_E10value_typeEPSE_NS1_7vsmem_tEENKUlT_SC_SD_SE_E_clIS7_S7_S7_S7_EESB_SR_SC_SD_SE_EUlSR_E_NS1_11comp_targetILNS1_3genE8ELNS1_11target_archE1030ELNS1_3gpuE2ELNS1_3repE0EEENS1_48merge_mergepath_partition_config_static_selectorELNS0_4arch9wavefront6targetE1EEEvSD_
    .private_segment_fixed_size: 0
    .sgpr_count:     4
    .sgpr_spill_count: 0
    .symbol:         _ZN7rocprim17ROCPRIM_400000_NS6detail17trampoline_kernelINS0_14default_configENS1_38merge_sort_block_merge_config_selectorIiiEEZZNS1_27merge_sort_block_merge_implIS3_PiS7_jNS1_19radix_merge_compareILb0ELb0EiNS0_19identity_decomposerEEEEE10hipError_tT0_T1_T2_jT3_P12ihipStream_tbPNSt15iterator_traitsISC_E10value_typeEPNSI_ISD_E10value_typeEPSE_NS1_7vsmem_tEENKUlT_SC_SD_SE_E_clIS7_S7_S7_S7_EESB_SR_SC_SD_SE_EUlSR_E_NS1_11comp_targetILNS1_3genE8ELNS1_11target_archE1030ELNS1_3gpuE2ELNS1_3repE0EEENS1_48merge_mergepath_partition_config_static_selectorELNS0_4arch9wavefront6targetE1EEEvSD_.kd
    .uniform_work_group_size: 1
    .uses_dynamic_stack: false
    .vgpr_count:     0
    .vgpr_spill_count: 0
    .wavefront_size: 64
  - .agpr_count:     0
    .args:
      - .offset:         0
        .size:           64
        .value_kind:     by_value
    .group_segment_fixed_size: 0
    .kernarg_segment_align: 8
    .kernarg_segment_size: 64
    .language:       OpenCL C
    .language_version:
      - 2
      - 0
    .max_flat_workgroup_size: 256
    .name:           _ZN7rocprim17ROCPRIM_400000_NS6detail17trampoline_kernelINS0_14default_configENS1_38merge_sort_block_merge_config_selectorIiiEEZZNS1_27merge_sort_block_merge_implIS3_PiS7_jNS1_19radix_merge_compareILb0ELb0EiNS0_19identity_decomposerEEEEE10hipError_tT0_T1_T2_jT3_P12ihipStream_tbPNSt15iterator_traitsISC_E10value_typeEPNSI_ISD_E10value_typeEPSE_NS1_7vsmem_tEENKUlT_SC_SD_SE_E_clIS7_S7_S7_S7_EESB_SR_SC_SD_SE_EUlSR_E0_NS1_11comp_targetILNS1_3genE0ELNS1_11target_archE4294967295ELNS1_3gpuE0ELNS1_3repE0EEENS1_38merge_mergepath_config_static_selectorELNS0_4arch9wavefront6targetE1EEEvSD_
    .private_segment_fixed_size: 0
    .sgpr_count:     4
    .sgpr_spill_count: 0
    .symbol:         _ZN7rocprim17ROCPRIM_400000_NS6detail17trampoline_kernelINS0_14default_configENS1_38merge_sort_block_merge_config_selectorIiiEEZZNS1_27merge_sort_block_merge_implIS3_PiS7_jNS1_19radix_merge_compareILb0ELb0EiNS0_19identity_decomposerEEEEE10hipError_tT0_T1_T2_jT3_P12ihipStream_tbPNSt15iterator_traitsISC_E10value_typeEPNSI_ISD_E10value_typeEPSE_NS1_7vsmem_tEENKUlT_SC_SD_SE_E_clIS7_S7_S7_S7_EESB_SR_SC_SD_SE_EUlSR_E0_NS1_11comp_targetILNS1_3genE0ELNS1_11target_archE4294967295ELNS1_3gpuE0ELNS1_3repE0EEENS1_38merge_mergepath_config_static_selectorELNS0_4arch9wavefront6targetE1EEEvSD_.kd
    .uniform_work_group_size: 1
    .uses_dynamic_stack: false
    .vgpr_count:     0
    .vgpr_spill_count: 0
    .wavefront_size: 64
  - .agpr_count:     0
    .args:
      - .offset:         0
        .size:           64
        .value_kind:     by_value
    .group_segment_fixed_size: 0
    .kernarg_segment_align: 8
    .kernarg_segment_size: 64
    .language:       OpenCL C
    .language_version:
      - 2
      - 0
    .max_flat_workgroup_size: 256
    .name:           _ZN7rocprim17ROCPRIM_400000_NS6detail17trampoline_kernelINS0_14default_configENS1_38merge_sort_block_merge_config_selectorIiiEEZZNS1_27merge_sort_block_merge_implIS3_PiS7_jNS1_19radix_merge_compareILb0ELb0EiNS0_19identity_decomposerEEEEE10hipError_tT0_T1_T2_jT3_P12ihipStream_tbPNSt15iterator_traitsISC_E10value_typeEPNSI_ISD_E10value_typeEPSE_NS1_7vsmem_tEENKUlT_SC_SD_SE_E_clIS7_S7_S7_S7_EESB_SR_SC_SD_SE_EUlSR_E0_NS1_11comp_targetILNS1_3genE10ELNS1_11target_archE1201ELNS1_3gpuE5ELNS1_3repE0EEENS1_38merge_mergepath_config_static_selectorELNS0_4arch9wavefront6targetE1EEEvSD_
    .private_segment_fixed_size: 0
    .sgpr_count:     4
    .sgpr_spill_count: 0
    .symbol:         _ZN7rocprim17ROCPRIM_400000_NS6detail17trampoline_kernelINS0_14default_configENS1_38merge_sort_block_merge_config_selectorIiiEEZZNS1_27merge_sort_block_merge_implIS3_PiS7_jNS1_19radix_merge_compareILb0ELb0EiNS0_19identity_decomposerEEEEE10hipError_tT0_T1_T2_jT3_P12ihipStream_tbPNSt15iterator_traitsISC_E10value_typeEPNSI_ISD_E10value_typeEPSE_NS1_7vsmem_tEENKUlT_SC_SD_SE_E_clIS7_S7_S7_S7_EESB_SR_SC_SD_SE_EUlSR_E0_NS1_11comp_targetILNS1_3genE10ELNS1_11target_archE1201ELNS1_3gpuE5ELNS1_3repE0EEENS1_38merge_mergepath_config_static_selectorELNS0_4arch9wavefront6targetE1EEEvSD_.kd
    .uniform_work_group_size: 1
    .uses_dynamic_stack: false
    .vgpr_count:     0
    .vgpr_spill_count: 0
    .wavefront_size: 64
  - .agpr_count:     0
    .args:
      - .offset:         0
        .size:           64
        .value_kind:     by_value
    .group_segment_fixed_size: 0
    .kernarg_segment_align: 8
    .kernarg_segment_size: 64
    .language:       OpenCL C
    .language_version:
      - 2
      - 0
    .max_flat_workgroup_size: 128
    .name:           _ZN7rocprim17ROCPRIM_400000_NS6detail17trampoline_kernelINS0_14default_configENS1_38merge_sort_block_merge_config_selectorIiiEEZZNS1_27merge_sort_block_merge_implIS3_PiS7_jNS1_19radix_merge_compareILb0ELb0EiNS0_19identity_decomposerEEEEE10hipError_tT0_T1_T2_jT3_P12ihipStream_tbPNSt15iterator_traitsISC_E10value_typeEPNSI_ISD_E10value_typeEPSE_NS1_7vsmem_tEENKUlT_SC_SD_SE_E_clIS7_S7_S7_S7_EESB_SR_SC_SD_SE_EUlSR_E0_NS1_11comp_targetILNS1_3genE5ELNS1_11target_archE942ELNS1_3gpuE9ELNS1_3repE0EEENS1_38merge_mergepath_config_static_selectorELNS0_4arch9wavefront6targetE1EEEvSD_
    .private_segment_fixed_size: 0
    .sgpr_count:     4
    .sgpr_spill_count: 0
    .symbol:         _ZN7rocprim17ROCPRIM_400000_NS6detail17trampoline_kernelINS0_14default_configENS1_38merge_sort_block_merge_config_selectorIiiEEZZNS1_27merge_sort_block_merge_implIS3_PiS7_jNS1_19radix_merge_compareILb0ELb0EiNS0_19identity_decomposerEEEEE10hipError_tT0_T1_T2_jT3_P12ihipStream_tbPNSt15iterator_traitsISC_E10value_typeEPNSI_ISD_E10value_typeEPSE_NS1_7vsmem_tEENKUlT_SC_SD_SE_E_clIS7_S7_S7_S7_EESB_SR_SC_SD_SE_EUlSR_E0_NS1_11comp_targetILNS1_3genE5ELNS1_11target_archE942ELNS1_3gpuE9ELNS1_3repE0EEENS1_38merge_mergepath_config_static_selectorELNS0_4arch9wavefront6targetE1EEEvSD_.kd
    .uniform_work_group_size: 1
    .uses_dynamic_stack: false
    .vgpr_count:     0
    .vgpr_spill_count: 0
    .wavefront_size: 64
  - .agpr_count:     0
    .args:
      - .offset:         0
        .size:           64
        .value_kind:     by_value
      - .offset:         64
        .size:           4
        .value_kind:     hidden_block_count_x
      - .offset:         68
        .size:           4
        .value_kind:     hidden_block_count_y
      - .offset:         72
        .size:           4
        .value_kind:     hidden_block_count_z
      - .offset:         76
        .size:           2
        .value_kind:     hidden_group_size_x
      - .offset:         78
        .size:           2
        .value_kind:     hidden_group_size_y
      - .offset:         80
        .size:           2
        .value_kind:     hidden_group_size_z
      - .offset:         82
        .size:           2
        .value_kind:     hidden_remainder_x
      - .offset:         84
        .size:           2
        .value_kind:     hidden_remainder_y
      - .offset:         86
        .size:           2
        .value_kind:     hidden_remainder_z
      - .offset:         104
        .size:           8
        .value_kind:     hidden_global_offset_x
      - .offset:         112
        .size:           8
        .value_kind:     hidden_global_offset_y
      - .offset:         120
        .size:           8
        .value_kind:     hidden_global_offset_z
      - .offset:         128
        .size:           2
        .value_kind:     hidden_grid_dims
    .group_segment_fixed_size: 4224
    .kernarg_segment_align: 8
    .kernarg_segment_size: 320
    .language:       OpenCL C
    .language_version:
      - 2
      - 0
    .max_flat_workgroup_size: 256
    .name:           _ZN7rocprim17ROCPRIM_400000_NS6detail17trampoline_kernelINS0_14default_configENS1_38merge_sort_block_merge_config_selectorIiiEEZZNS1_27merge_sort_block_merge_implIS3_PiS7_jNS1_19radix_merge_compareILb0ELb0EiNS0_19identity_decomposerEEEEE10hipError_tT0_T1_T2_jT3_P12ihipStream_tbPNSt15iterator_traitsISC_E10value_typeEPNSI_ISD_E10value_typeEPSE_NS1_7vsmem_tEENKUlT_SC_SD_SE_E_clIS7_S7_S7_S7_EESB_SR_SC_SD_SE_EUlSR_E0_NS1_11comp_targetILNS1_3genE4ELNS1_11target_archE910ELNS1_3gpuE8ELNS1_3repE0EEENS1_38merge_mergepath_config_static_selectorELNS0_4arch9wavefront6targetE1EEEvSD_
    .private_segment_fixed_size: 0
    .sgpr_count:     35
    .sgpr_spill_count: 0
    .symbol:         _ZN7rocprim17ROCPRIM_400000_NS6detail17trampoline_kernelINS0_14default_configENS1_38merge_sort_block_merge_config_selectorIiiEEZZNS1_27merge_sort_block_merge_implIS3_PiS7_jNS1_19radix_merge_compareILb0ELb0EiNS0_19identity_decomposerEEEEE10hipError_tT0_T1_T2_jT3_P12ihipStream_tbPNSt15iterator_traitsISC_E10value_typeEPNSI_ISD_E10value_typeEPSE_NS1_7vsmem_tEENKUlT_SC_SD_SE_E_clIS7_S7_S7_S7_EESB_SR_SC_SD_SE_EUlSR_E0_NS1_11comp_targetILNS1_3genE4ELNS1_11target_archE910ELNS1_3gpuE8ELNS1_3repE0EEENS1_38merge_mergepath_config_static_selectorELNS0_4arch9wavefront6targetE1EEEvSD_.kd
    .uniform_work_group_size: 1
    .uses_dynamic_stack: false
    .vgpr_count:     20
    .vgpr_spill_count: 0
    .wavefront_size: 64
  - .agpr_count:     0
    .args:
      - .offset:         0
        .size:           64
        .value_kind:     by_value
    .group_segment_fixed_size: 0
    .kernarg_segment_align: 8
    .kernarg_segment_size: 64
    .language:       OpenCL C
    .language_version:
      - 2
      - 0
    .max_flat_workgroup_size: 256
    .name:           _ZN7rocprim17ROCPRIM_400000_NS6detail17trampoline_kernelINS0_14default_configENS1_38merge_sort_block_merge_config_selectorIiiEEZZNS1_27merge_sort_block_merge_implIS3_PiS7_jNS1_19radix_merge_compareILb0ELb0EiNS0_19identity_decomposerEEEEE10hipError_tT0_T1_T2_jT3_P12ihipStream_tbPNSt15iterator_traitsISC_E10value_typeEPNSI_ISD_E10value_typeEPSE_NS1_7vsmem_tEENKUlT_SC_SD_SE_E_clIS7_S7_S7_S7_EESB_SR_SC_SD_SE_EUlSR_E0_NS1_11comp_targetILNS1_3genE3ELNS1_11target_archE908ELNS1_3gpuE7ELNS1_3repE0EEENS1_38merge_mergepath_config_static_selectorELNS0_4arch9wavefront6targetE1EEEvSD_
    .private_segment_fixed_size: 0
    .sgpr_count:     4
    .sgpr_spill_count: 0
    .symbol:         _ZN7rocprim17ROCPRIM_400000_NS6detail17trampoline_kernelINS0_14default_configENS1_38merge_sort_block_merge_config_selectorIiiEEZZNS1_27merge_sort_block_merge_implIS3_PiS7_jNS1_19radix_merge_compareILb0ELb0EiNS0_19identity_decomposerEEEEE10hipError_tT0_T1_T2_jT3_P12ihipStream_tbPNSt15iterator_traitsISC_E10value_typeEPNSI_ISD_E10value_typeEPSE_NS1_7vsmem_tEENKUlT_SC_SD_SE_E_clIS7_S7_S7_S7_EESB_SR_SC_SD_SE_EUlSR_E0_NS1_11comp_targetILNS1_3genE3ELNS1_11target_archE908ELNS1_3gpuE7ELNS1_3repE0EEENS1_38merge_mergepath_config_static_selectorELNS0_4arch9wavefront6targetE1EEEvSD_.kd
    .uniform_work_group_size: 1
    .uses_dynamic_stack: false
    .vgpr_count:     0
    .vgpr_spill_count: 0
    .wavefront_size: 64
  - .agpr_count:     0
    .args:
      - .offset:         0
        .size:           64
        .value_kind:     by_value
    .group_segment_fixed_size: 0
    .kernarg_segment_align: 8
    .kernarg_segment_size: 64
    .language:       OpenCL C
    .language_version:
      - 2
      - 0
    .max_flat_workgroup_size: 256
    .name:           _ZN7rocprim17ROCPRIM_400000_NS6detail17trampoline_kernelINS0_14default_configENS1_38merge_sort_block_merge_config_selectorIiiEEZZNS1_27merge_sort_block_merge_implIS3_PiS7_jNS1_19radix_merge_compareILb0ELb0EiNS0_19identity_decomposerEEEEE10hipError_tT0_T1_T2_jT3_P12ihipStream_tbPNSt15iterator_traitsISC_E10value_typeEPNSI_ISD_E10value_typeEPSE_NS1_7vsmem_tEENKUlT_SC_SD_SE_E_clIS7_S7_S7_S7_EESB_SR_SC_SD_SE_EUlSR_E0_NS1_11comp_targetILNS1_3genE2ELNS1_11target_archE906ELNS1_3gpuE6ELNS1_3repE0EEENS1_38merge_mergepath_config_static_selectorELNS0_4arch9wavefront6targetE1EEEvSD_
    .private_segment_fixed_size: 0
    .sgpr_count:     4
    .sgpr_spill_count: 0
    .symbol:         _ZN7rocprim17ROCPRIM_400000_NS6detail17trampoline_kernelINS0_14default_configENS1_38merge_sort_block_merge_config_selectorIiiEEZZNS1_27merge_sort_block_merge_implIS3_PiS7_jNS1_19radix_merge_compareILb0ELb0EiNS0_19identity_decomposerEEEEE10hipError_tT0_T1_T2_jT3_P12ihipStream_tbPNSt15iterator_traitsISC_E10value_typeEPNSI_ISD_E10value_typeEPSE_NS1_7vsmem_tEENKUlT_SC_SD_SE_E_clIS7_S7_S7_S7_EESB_SR_SC_SD_SE_EUlSR_E0_NS1_11comp_targetILNS1_3genE2ELNS1_11target_archE906ELNS1_3gpuE6ELNS1_3repE0EEENS1_38merge_mergepath_config_static_selectorELNS0_4arch9wavefront6targetE1EEEvSD_.kd
    .uniform_work_group_size: 1
    .uses_dynamic_stack: false
    .vgpr_count:     0
    .vgpr_spill_count: 0
    .wavefront_size: 64
  - .agpr_count:     0
    .args:
      - .offset:         0
        .size:           64
        .value_kind:     by_value
    .group_segment_fixed_size: 0
    .kernarg_segment_align: 8
    .kernarg_segment_size: 64
    .language:       OpenCL C
    .language_version:
      - 2
      - 0
    .max_flat_workgroup_size: 512
    .name:           _ZN7rocprim17ROCPRIM_400000_NS6detail17trampoline_kernelINS0_14default_configENS1_38merge_sort_block_merge_config_selectorIiiEEZZNS1_27merge_sort_block_merge_implIS3_PiS7_jNS1_19radix_merge_compareILb0ELb0EiNS0_19identity_decomposerEEEEE10hipError_tT0_T1_T2_jT3_P12ihipStream_tbPNSt15iterator_traitsISC_E10value_typeEPNSI_ISD_E10value_typeEPSE_NS1_7vsmem_tEENKUlT_SC_SD_SE_E_clIS7_S7_S7_S7_EESB_SR_SC_SD_SE_EUlSR_E0_NS1_11comp_targetILNS1_3genE9ELNS1_11target_archE1100ELNS1_3gpuE3ELNS1_3repE0EEENS1_38merge_mergepath_config_static_selectorELNS0_4arch9wavefront6targetE1EEEvSD_
    .private_segment_fixed_size: 0
    .sgpr_count:     4
    .sgpr_spill_count: 0
    .symbol:         _ZN7rocprim17ROCPRIM_400000_NS6detail17trampoline_kernelINS0_14default_configENS1_38merge_sort_block_merge_config_selectorIiiEEZZNS1_27merge_sort_block_merge_implIS3_PiS7_jNS1_19radix_merge_compareILb0ELb0EiNS0_19identity_decomposerEEEEE10hipError_tT0_T1_T2_jT3_P12ihipStream_tbPNSt15iterator_traitsISC_E10value_typeEPNSI_ISD_E10value_typeEPSE_NS1_7vsmem_tEENKUlT_SC_SD_SE_E_clIS7_S7_S7_S7_EESB_SR_SC_SD_SE_EUlSR_E0_NS1_11comp_targetILNS1_3genE9ELNS1_11target_archE1100ELNS1_3gpuE3ELNS1_3repE0EEENS1_38merge_mergepath_config_static_selectorELNS0_4arch9wavefront6targetE1EEEvSD_.kd
    .uniform_work_group_size: 1
    .uses_dynamic_stack: false
    .vgpr_count:     0
    .vgpr_spill_count: 0
    .wavefront_size: 64
  - .agpr_count:     0
    .args:
      - .offset:         0
        .size:           64
        .value_kind:     by_value
    .group_segment_fixed_size: 0
    .kernarg_segment_align: 8
    .kernarg_segment_size: 64
    .language:       OpenCL C
    .language_version:
      - 2
      - 0
    .max_flat_workgroup_size: 1024
    .name:           _ZN7rocprim17ROCPRIM_400000_NS6detail17trampoline_kernelINS0_14default_configENS1_38merge_sort_block_merge_config_selectorIiiEEZZNS1_27merge_sort_block_merge_implIS3_PiS7_jNS1_19radix_merge_compareILb0ELb0EiNS0_19identity_decomposerEEEEE10hipError_tT0_T1_T2_jT3_P12ihipStream_tbPNSt15iterator_traitsISC_E10value_typeEPNSI_ISD_E10value_typeEPSE_NS1_7vsmem_tEENKUlT_SC_SD_SE_E_clIS7_S7_S7_S7_EESB_SR_SC_SD_SE_EUlSR_E0_NS1_11comp_targetILNS1_3genE8ELNS1_11target_archE1030ELNS1_3gpuE2ELNS1_3repE0EEENS1_38merge_mergepath_config_static_selectorELNS0_4arch9wavefront6targetE1EEEvSD_
    .private_segment_fixed_size: 0
    .sgpr_count:     4
    .sgpr_spill_count: 0
    .symbol:         _ZN7rocprim17ROCPRIM_400000_NS6detail17trampoline_kernelINS0_14default_configENS1_38merge_sort_block_merge_config_selectorIiiEEZZNS1_27merge_sort_block_merge_implIS3_PiS7_jNS1_19radix_merge_compareILb0ELb0EiNS0_19identity_decomposerEEEEE10hipError_tT0_T1_T2_jT3_P12ihipStream_tbPNSt15iterator_traitsISC_E10value_typeEPNSI_ISD_E10value_typeEPSE_NS1_7vsmem_tEENKUlT_SC_SD_SE_E_clIS7_S7_S7_S7_EESB_SR_SC_SD_SE_EUlSR_E0_NS1_11comp_targetILNS1_3genE8ELNS1_11target_archE1030ELNS1_3gpuE2ELNS1_3repE0EEENS1_38merge_mergepath_config_static_selectorELNS0_4arch9wavefront6targetE1EEEvSD_.kd
    .uniform_work_group_size: 1
    .uses_dynamic_stack: false
    .vgpr_count:     0
    .vgpr_spill_count: 0
    .wavefront_size: 64
  - .agpr_count:     0
    .args:
      - .offset:         0
        .size:           48
        .value_kind:     by_value
    .group_segment_fixed_size: 0
    .kernarg_segment_align: 8
    .kernarg_segment_size: 48
    .language:       OpenCL C
    .language_version:
      - 2
      - 0
    .max_flat_workgroup_size: 256
    .name:           _ZN7rocprim17ROCPRIM_400000_NS6detail17trampoline_kernelINS0_14default_configENS1_38merge_sort_block_merge_config_selectorIiiEEZZNS1_27merge_sort_block_merge_implIS3_PiS7_jNS1_19radix_merge_compareILb0ELb0EiNS0_19identity_decomposerEEEEE10hipError_tT0_T1_T2_jT3_P12ihipStream_tbPNSt15iterator_traitsISC_E10value_typeEPNSI_ISD_E10value_typeEPSE_NS1_7vsmem_tEENKUlT_SC_SD_SE_E_clIS7_S7_S7_S7_EESB_SR_SC_SD_SE_EUlSR_E1_NS1_11comp_targetILNS1_3genE0ELNS1_11target_archE4294967295ELNS1_3gpuE0ELNS1_3repE0EEENS1_36merge_oddeven_config_static_selectorELNS0_4arch9wavefront6targetE1EEEvSD_
    .private_segment_fixed_size: 0
    .sgpr_count:     4
    .sgpr_spill_count: 0
    .symbol:         _ZN7rocprim17ROCPRIM_400000_NS6detail17trampoline_kernelINS0_14default_configENS1_38merge_sort_block_merge_config_selectorIiiEEZZNS1_27merge_sort_block_merge_implIS3_PiS7_jNS1_19radix_merge_compareILb0ELb0EiNS0_19identity_decomposerEEEEE10hipError_tT0_T1_T2_jT3_P12ihipStream_tbPNSt15iterator_traitsISC_E10value_typeEPNSI_ISD_E10value_typeEPSE_NS1_7vsmem_tEENKUlT_SC_SD_SE_E_clIS7_S7_S7_S7_EESB_SR_SC_SD_SE_EUlSR_E1_NS1_11comp_targetILNS1_3genE0ELNS1_11target_archE4294967295ELNS1_3gpuE0ELNS1_3repE0EEENS1_36merge_oddeven_config_static_selectorELNS0_4arch9wavefront6targetE1EEEvSD_.kd
    .uniform_work_group_size: 1
    .uses_dynamic_stack: false
    .vgpr_count:     0
    .vgpr_spill_count: 0
    .wavefront_size: 64
  - .agpr_count:     0
    .args:
      - .offset:         0
        .size:           48
        .value_kind:     by_value
    .group_segment_fixed_size: 0
    .kernarg_segment_align: 8
    .kernarg_segment_size: 48
    .language:       OpenCL C
    .language_version:
      - 2
      - 0
    .max_flat_workgroup_size: 256
    .name:           _ZN7rocprim17ROCPRIM_400000_NS6detail17trampoline_kernelINS0_14default_configENS1_38merge_sort_block_merge_config_selectorIiiEEZZNS1_27merge_sort_block_merge_implIS3_PiS7_jNS1_19radix_merge_compareILb0ELb0EiNS0_19identity_decomposerEEEEE10hipError_tT0_T1_T2_jT3_P12ihipStream_tbPNSt15iterator_traitsISC_E10value_typeEPNSI_ISD_E10value_typeEPSE_NS1_7vsmem_tEENKUlT_SC_SD_SE_E_clIS7_S7_S7_S7_EESB_SR_SC_SD_SE_EUlSR_E1_NS1_11comp_targetILNS1_3genE10ELNS1_11target_archE1201ELNS1_3gpuE5ELNS1_3repE0EEENS1_36merge_oddeven_config_static_selectorELNS0_4arch9wavefront6targetE1EEEvSD_
    .private_segment_fixed_size: 0
    .sgpr_count:     4
    .sgpr_spill_count: 0
    .symbol:         _ZN7rocprim17ROCPRIM_400000_NS6detail17trampoline_kernelINS0_14default_configENS1_38merge_sort_block_merge_config_selectorIiiEEZZNS1_27merge_sort_block_merge_implIS3_PiS7_jNS1_19radix_merge_compareILb0ELb0EiNS0_19identity_decomposerEEEEE10hipError_tT0_T1_T2_jT3_P12ihipStream_tbPNSt15iterator_traitsISC_E10value_typeEPNSI_ISD_E10value_typeEPSE_NS1_7vsmem_tEENKUlT_SC_SD_SE_E_clIS7_S7_S7_S7_EESB_SR_SC_SD_SE_EUlSR_E1_NS1_11comp_targetILNS1_3genE10ELNS1_11target_archE1201ELNS1_3gpuE5ELNS1_3repE0EEENS1_36merge_oddeven_config_static_selectorELNS0_4arch9wavefront6targetE1EEEvSD_.kd
    .uniform_work_group_size: 1
    .uses_dynamic_stack: false
    .vgpr_count:     0
    .vgpr_spill_count: 0
    .wavefront_size: 64
  - .agpr_count:     0
    .args:
      - .offset:         0
        .size:           48
        .value_kind:     by_value
    .group_segment_fixed_size: 0
    .kernarg_segment_align: 8
    .kernarg_segment_size: 48
    .language:       OpenCL C
    .language_version:
      - 2
      - 0
    .max_flat_workgroup_size: 256
    .name:           _ZN7rocprim17ROCPRIM_400000_NS6detail17trampoline_kernelINS0_14default_configENS1_38merge_sort_block_merge_config_selectorIiiEEZZNS1_27merge_sort_block_merge_implIS3_PiS7_jNS1_19radix_merge_compareILb0ELb0EiNS0_19identity_decomposerEEEEE10hipError_tT0_T1_T2_jT3_P12ihipStream_tbPNSt15iterator_traitsISC_E10value_typeEPNSI_ISD_E10value_typeEPSE_NS1_7vsmem_tEENKUlT_SC_SD_SE_E_clIS7_S7_S7_S7_EESB_SR_SC_SD_SE_EUlSR_E1_NS1_11comp_targetILNS1_3genE5ELNS1_11target_archE942ELNS1_3gpuE9ELNS1_3repE0EEENS1_36merge_oddeven_config_static_selectorELNS0_4arch9wavefront6targetE1EEEvSD_
    .private_segment_fixed_size: 0
    .sgpr_count:     4
    .sgpr_spill_count: 0
    .symbol:         _ZN7rocprim17ROCPRIM_400000_NS6detail17trampoline_kernelINS0_14default_configENS1_38merge_sort_block_merge_config_selectorIiiEEZZNS1_27merge_sort_block_merge_implIS3_PiS7_jNS1_19radix_merge_compareILb0ELb0EiNS0_19identity_decomposerEEEEE10hipError_tT0_T1_T2_jT3_P12ihipStream_tbPNSt15iterator_traitsISC_E10value_typeEPNSI_ISD_E10value_typeEPSE_NS1_7vsmem_tEENKUlT_SC_SD_SE_E_clIS7_S7_S7_S7_EESB_SR_SC_SD_SE_EUlSR_E1_NS1_11comp_targetILNS1_3genE5ELNS1_11target_archE942ELNS1_3gpuE9ELNS1_3repE0EEENS1_36merge_oddeven_config_static_selectorELNS0_4arch9wavefront6targetE1EEEvSD_.kd
    .uniform_work_group_size: 1
    .uses_dynamic_stack: false
    .vgpr_count:     0
    .vgpr_spill_count: 0
    .wavefront_size: 64
  - .agpr_count:     0
    .args:
      - .offset:         0
        .size:           48
        .value_kind:     by_value
    .group_segment_fixed_size: 0
    .kernarg_segment_align: 8
    .kernarg_segment_size: 48
    .language:       OpenCL C
    .language_version:
      - 2
      - 0
    .max_flat_workgroup_size: 256
    .name:           _ZN7rocprim17ROCPRIM_400000_NS6detail17trampoline_kernelINS0_14default_configENS1_38merge_sort_block_merge_config_selectorIiiEEZZNS1_27merge_sort_block_merge_implIS3_PiS7_jNS1_19radix_merge_compareILb0ELb0EiNS0_19identity_decomposerEEEEE10hipError_tT0_T1_T2_jT3_P12ihipStream_tbPNSt15iterator_traitsISC_E10value_typeEPNSI_ISD_E10value_typeEPSE_NS1_7vsmem_tEENKUlT_SC_SD_SE_E_clIS7_S7_S7_S7_EESB_SR_SC_SD_SE_EUlSR_E1_NS1_11comp_targetILNS1_3genE4ELNS1_11target_archE910ELNS1_3gpuE8ELNS1_3repE0EEENS1_36merge_oddeven_config_static_selectorELNS0_4arch9wavefront6targetE1EEEvSD_
    .private_segment_fixed_size: 0
    .sgpr_count:     28
    .sgpr_spill_count: 0
    .symbol:         _ZN7rocprim17ROCPRIM_400000_NS6detail17trampoline_kernelINS0_14default_configENS1_38merge_sort_block_merge_config_selectorIiiEEZZNS1_27merge_sort_block_merge_implIS3_PiS7_jNS1_19radix_merge_compareILb0ELb0EiNS0_19identity_decomposerEEEEE10hipError_tT0_T1_T2_jT3_P12ihipStream_tbPNSt15iterator_traitsISC_E10value_typeEPNSI_ISD_E10value_typeEPSE_NS1_7vsmem_tEENKUlT_SC_SD_SE_E_clIS7_S7_S7_S7_EESB_SR_SC_SD_SE_EUlSR_E1_NS1_11comp_targetILNS1_3genE4ELNS1_11target_archE910ELNS1_3gpuE8ELNS1_3repE0EEENS1_36merge_oddeven_config_static_selectorELNS0_4arch9wavefront6targetE1EEEvSD_.kd
    .uniform_work_group_size: 1
    .uses_dynamic_stack: false
    .vgpr_count:     11
    .vgpr_spill_count: 0
    .wavefront_size: 64
  - .agpr_count:     0
    .args:
      - .offset:         0
        .size:           48
        .value_kind:     by_value
    .group_segment_fixed_size: 0
    .kernarg_segment_align: 8
    .kernarg_segment_size: 48
    .language:       OpenCL C
    .language_version:
      - 2
      - 0
    .max_flat_workgroup_size: 256
    .name:           _ZN7rocprim17ROCPRIM_400000_NS6detail17trampoline_kernelINS0_14default_configENS1_38merge_sort_block_merge_config_selectorIiiEEZZNS1_27merge_sort_block_merge_implIS3_PiS7_jNS1_19radix_merge_compareILb0ELb0EiNS0_19identity_decomposerEEEEE10hipError_tT0_T1_T2_jT3_P12ihipStream_tbPNSt15iterator_traitsISC_E10value_typeEPNSI_ISD_E10value_typeEPSE_NS1_7vsmem_tEENKUlT_SC_SD_SE_E_clIS7_S7_S7_S7_EESB_SR_SC_SD_SE_EUlSR_E1_NS1_11comp_targetILNS1_3genE3ELNS1_11target_archE908ELNS1_3gpuE7ELNS1_3repE0EEENS1_36merge_oddeven_config_static_selectorELNS0_4arch9wavefront6targetE1EEEvSD_
    .private_segment_fixed_size: 0
    .sgpr_count:     4
    .sgpr_spill_count: 0
    .symbol:         _ZN7rocprim17ROCPRIM_400000_NS6detail17trampoline_kernelINS0_14default_configENS1_38merge_sort_block_merge_config_selectorIiiEEZZNS1_27merge_sort_block_merge_implIS3_PiS7_jNS1_19radix_merge_compareILb0ELb0EiNS0_19identity_decomposerEEEEE10hipError_tT0_T1_T2_jT3_P12ihipStream_tbPNSt15iterator_traitsISC_E10value_typeEPNSI_ISD_E10value_typeEPSE_NS1_7vsmem_tEENKUlT_SC_SD_SE_E_clIS7_S7_S7_S7_EESB_SR_SC_SD_SE_EUlSR_E1_NS1_11comp_targetILNS1_3genE3ELNS1_11target_archE908ELNS1_3gpuE7ELNS1_3repE0EEENS1_36merge_oddeven_config_static_selectorELNS0_4arch9wavefront6targetE1EEEvSD_.kd
    .uniform_work_group_size: 1
    .uses_dynamic_stack: false
    .vgpr_count:     0
    .vgpr_spill_count: 0
    .wavefront_size: 64
  - .agpr_count:     0
    .args:
      - .offset:         0
        .size:           48
        .value_kind:     by_value
    .group_segment_fixed_size: 0
    .kernarg_segment_align: 8
    .kernarg_segment_size: 48
    .language:       OpenCL C
    .language_version:
      - 2
      - 0
    .max_flat_workgroup_size: 256
    .name:           _ZN7rocprim17ROCPRIM_400000_NS6detail17trampoline_kernelINS0_14default_configENS1_38merge_sort_block_merge_config_selectorIiiEEZZNS1_27merge_sort_block_merge_implIS3_PiS7_jNS1_19radix_merge_compareILb0ELb0EiNS0_19identity_decomposerEEEEE10hipError_tT0_T1_T2_jT3_P12ihipStream_tbPNSt15iterator_traitsISC_E10value_typeEPNSI_ISD_E10value_typeEPSE_NS1_7vsmem_tEENKUlT_SC_SD_SE_E_clIS7_S7_S7_S7_EESB_SR_SC_SD_SE_EUlSR_E1_NS1_11comp_targetILNS1_3genE2ELNS1_11target_archE906ELNS1_3gpuE6ELNS1_3repE0EEENS1_36merge_oddeven_config_static_selectorELNS0_4arch9wavefront6targetE1EEEvSD_
    .private_segment_fixed_size: 0
    .sgpr_count:     4
    .sgpr_spill_count: 0
    .symbol:         _ZN7rocprim17ROCPRIM_400000_NS6detail17trampoline_kernelINS0_14default_configENS1_38merge_sort_block_merge_config_selectorIiiEEZZNS1_27merge_sort_block_merge_implIS3_PiS7_jNS1_19radix_merge_compareILb0ELb0EiNS0_19identity_decomposerEEEEE10hipError_tT0_T1_T2_jT3_P12ihipStream_tbPNSt15iterator_traitsISC_E10value_typeEPNSI_ISD_E10value_typeEPSE_NS1_7vsmem_tEENKUlT_SC_SD_SE_E_clIS7_S7_S7_S7_EESB_SR_SC_SD_SE_EUlSR_E1_NS1_11comp_targetILNS1_3genE2ELNS1_11target_archE906ELNS1_3gpuE6ELNS1_3repE0EEENS1_36merge_oddeven_config_static_selectorELNS0_4arch9wavefront6targetE1EEEvSD_.kd
    .uniform_work_group_size: 1
    .uses_dynamic_stack: false
    .vgpr_count:     0
    .vgpr_spill_count: 0
    .wavefront_size: 64
  - .agpr_count:     0
    .args:
      - .offset:         0
        .size:           48
        .value_kind:     by_value
    .group_segment_fixed_size: 0
    .kernarg_segment_align: 8
    .kernarg_segment_size: 48
    .language:       OpenCL C
    .language_version:
      - 2
      - 0
    .max_flat_workgroup_size: 256
    .name:           _ZN7rocprim17ROCPRIM_400000_NS6detail17trampoline_kernelINS0_14default_configENS1_38merge_sort_block_merge_config_selectorIiiEEZZNS1_27merge_sort_block_merge_implIS3_PiS7_jNS1_19radix_merge_compareILb0ELb0EiNS0_19identity_decomposerEEEEE10hipError_tT0_T1_T2_jT3_P12ihipStream_tbPNSt15iterator_traitsISC_E10value_typeEPNSI_ISD_E10value_typeEPSE_NS1_7vsmem_tEENKUlT_SC_SD_SE_E_clIS7_S7_S7_S7_EESB_SR_SC_SD_SE_EUlSR_E1_NS1_11comp_targetILNS1_3genE9ELNS1_11target_archE1100ELNS1_3gpuE3ELNS1_3repE0EEENS1_36merge_oddeven_config_static_selectorELNS0_4arch9wavefront6targetE1EEEvSD_
    .private_segment_fixed_size: 0
    .sgpr_count:     4
    .sgpr_spill_count: 0
    .symbol:         _ZN7rocprim17ROCPRIM_400000_NS6detail17trampoline_kernelINS0_14default_configENS1_38merge_sort_block_merge_config_selectorIiiEEZZNS1_27merge_sort_block_merge_implIS3_PiS7_jNS1_19radix_merge_compareILb0ELb0EiNS0_19identity_decomposerEEEEE10hipError_tT0_T1_T2_jT3_P12ihipStream_tbPNSt15iterator_traitsISC_E10value_typeEPNSI_ISD_E10value_typeEPSE_NS1_7vsmem_tEENKUlT_SC_SD_SE_E_clIS7_S7_S7_S7_EESB_SR_SC_SD_SE_EUlSR_E1_NS1_11comp_targetILNS1_3genE9ELNS1_11target_archE1100ELNS1_3gpuE3ELNS1_3repE0EEENS1_36merge_oddeven_config_static_selectorELNS0_4arch9wavefront6targetE1EEEvSD_.kd
    .uniform_work_group_size: 1
    .uses_dynamic_stack: false
    .vgpr_count:     0
    .vgpr_spill_count: 0
    .wavefront_size: 64
  - .agpr_count:     0
    .args:
      - .offset:         0
        .size:           48
        .value_kind:     by_value
    .group_segment_fixed_size: 0
    .kernarg_segment_align: 8
    .kernarg_segment_size: 48
    .language:       OpenCL C
    .language_version:
      - 2
      - 0
    .max_flat_workgroup_size: 256
    .name:           _ZN7rocprim17ROCPRIM_400000_NS6detail17trampoline_kernelINS0_14default_configENS1_38merge_sort_block_merge_config_selectorIiiEEZZNS1_27merge_sort_block_merge_implIS3_PiS7_jNS1_19radix_merge_compareILb0ELb0EiNS0_19identity_decomposerEEEEE10hipError_tT0_T1_T2_jT3_P12ihipStream_tbPNSt15iterator_traitsISC_E10value_typeEPNSI_ISD_E10value_typeEPSE_NS1_7vsmem_tEENKUlT_SC_SD_SE_E_clIS7_S7_S7_S7_EESB_SR_SC_SD_SE_EUlSR_E1_NS1_11comp_targetILNS1_3genE8ELNS1_11target_archE1030ELNS1_3gpuE2ELNS1_3repE0EEENS1_36merge_oddeven_config_static_selectorELNS0_4arch9wavefront6targetE1EEEvSD_
    .private_segment_fixed_size: 0
    .sgpr_count:     4
    .sgpr_spill_count: 0
    .symbol:         _ZN7rocprim17ROCPRIM_400000_NS6detail17trampoline_kernelINS0_14default_configENS1_38merge_sort_block_merge_config_selectorIiiEEZZNS1_27merge_sort_block_merge_implIS3_PiS7_jNS1_19radix_merge_compareILb0ELb0EiNS0_19identity_decomposerEEEEE10hipError_tT0_T1_T2_jT3_P12ihipStream_tbPNSt15iterator_traitsISC_E10value_typeEPNSI_ISD_E10value_typeEPSE_NS1_7vsmem_tEENKUlT_SC_SD_SE_E_clIS7_S7_S7_S7_EESB_SR_SC_SD_SE_EUlSR_E1_NS1_11comp_targetILNS1_3genE8ELNS1_11target_archE1030ELNS1_3gpuE2ELNS1_3repE0EEENS1_36merge_oddeven_config_static_selectorELNS0_4arch9wavefront6targetE1EEEvSD_.kd
    .uniform_work_group_size: 1
    .uses_dynamic_stack: false
    .vgpr_count:     0
    .vgpr_spill_count: 0
    .wavefront_size: 64
  - .agpr_count:     0
    .args:
      - .offset:         0
        .size:           40
        .value_kind:     by_value
    .group_segment_fixed_size: 0
    .kernarg_segment_align: 8
    .kernarg_segment_size: 40
    .language:       OpenCL C
    .language_version:
      - 2
      - 0
    .max_flat_workgroup_size: 128
    .name:           _ZN7rocprim17ROCPRIM_400000_NS6detail17trampoline_kernelINS0_14default_configENS1_38merge_sort_block_merge_config_selectorIiiEEZZNS1_27merge_sort_block_merge_implIS3_PiS7_jNS1_19radix_merge_compareILb0ELb1EiNS0_19identity_decomposerEEEEE10hipError_tT0_T1_T2_jT3_P12ihipStream_tbPNSt15iterator_traitsISC_E10value_typeEPNSI_ISD_E10value_typeEPSE_NS1_7vsmem_tEENKUlT_SC_SD_SE_E_clIS7_S7_S7_S7_EESB_SR_SC_SD_SE_EUlSR_E_NS1_11comp_targetILNS1_3genE0ELNS1_11target_archE4294967295ELNS1_3gpuE0ELNS1_3repE0EEENS1_48merge_mergepath_partition_config_static_selectorELNS0_4arch9wavefront6targetE1EEEvSD_
    .private_segment_fixed_size: 0
    .sgpr_count:     4
    .sgpr_spill_count: 0
    .symbol:         _ZN7rocprim17ROCPRIM_400000_NS6detail17trampoline_kernelINS0_14default_configENS1_38merge_sort_block_merge_config_selectorIiiEEZZNS1_27merge_sort_block_merge_implIS3_PiS7_jNS1_19radix_merge_compareILb0ELb1EiNS0_19identity_decomposerEEEEE10hipError_tT0_T1_T2_jT3_P12ihipStream_tbPNSt15iterator_traitsISC_E10value_typeEPNSI_ISD_E10value_typeEPSE_NS1_7vsmem_tEENKUlT_SC_SD_SE_E_clIS7_S7_S7_S7_EESB_SR_SC_SD_SE_EUlSR_E_NS1_11comp_targetILNS1_3genE0ELNS1_11target_archE4294967295ELNS1_3gpuE0ELNS1_3repE0EEENS1_48merge_mergepath_partition_config_static_selectorELNS0_4arch9wavefront6targetE1EEEvSD_.kd
    .uniform_work_group_size: 1
    .uses_dynamic_stack: false
    .vgpr_count:     0
    .vgpr_spill_count: 0
    .wavefront_size: 64
  - .agpr_count:     0
    .args:
      - .offset:         0
        .size:           40
        .value_kind:     by_value
    .group_segment_fixed_size: 0
    .kernarg_segment_align: 8
    .kernarg_segment_size: 40
    .language:       OpenCL C
    .language_version:
      - 2
      - 0
    .max_flat_workgroup_size: 128
    .name:           _ZN7rocprim17ROCPRIM_400000_NS6detail17trampoline_kernelINS0_14default_configENS1_38merge_sort_block_merge_config_selectorIiiEEZZNS1_27merge_sort_block_merge_implIS3_PiS7_jNS1_19radix_merge_compareILb0ELb1EiNS0_19identity_decomposerEEEEE10hipError_tT0_T1_T2_jT3_P12ihipStream_tbPNSt15iterator_traitsISC_E10value_typeEPNSI_ISD_E10value_typeEPSE_NS1_7vsmem_tEENKUlT_SC_SD_SE_E_clIS7_S7_S7_S7_EESB_SR_SC_SD_SE_EUlSR_E_NS1_11comp_targetILNS1_3genE10ELNS1_11target_archE1201ELNS1_3gpuE5ELNS1_3repE0EEENS1_48merge_mergepath_partition_config_static_selectorELNS0_4arch9wavefront6targetE1EEEvSD_
    .private_segment_fixed_size: 0
    .sgpr_count:     4
    .sgpr_spill_count: 0
    .symbol:         _ZN7rocprim17ROCPRIM_400000_NS6detail17trampoline_kernelINS0_14default_configENS1_38merge_sort_block_merge_config_selectorIiiEEZZNS1_27merge_sort_block_merge_implIS3_PiS7_jNS1_19radix_merge_compareILb0ELb1EiNS0_19identity_decomposerEEEEE10hipError_tT0_T1_T2_jT3_P12ihipStream_tbPNSt15iterator_traitsISC_E10value_typeEPNSI_ISD_E10value_typeEPSE_NS1_7vsmem_tEENKUlT_SC_SD_SE_E_clIS7_S7_S7_S7_EESB_SR_SC_SD_SE_EUlSR_E_NS1_11comp_targetILNS1_3genE10ELNS1_11target_archE1201ELNS1_3gpuE5ELNS1_3repE0EEENS1_48merge_mergepath_partition_config_static_selectorELNS0_4arch9wavefront6targetE1EEEvSD_.kd
    .uniform_work_group_size: 1
    .uses_dynamic_stack: false
    .vgpr_count:     0
    .vgpr_spill_count: 0
    .wavefront_size: 64
  - .agpr_count:     0
    .args:
      - .offset:         0
        .size:           40
        .value_kind:     by_value
    .group_segment_fixed_size: 0
    .kernarg_segment_align: 8
    .kernarg_segment_size: 40
    .language:       OpenCL C
    .language_version:
      - 2
      - 0
    .max_flat_workgroup_size: 128
    .name:           _ZN7rocprim17ROCPRIM_400000_NS6detail17trampoline_kernelINS0_14default_configENS1_38merge_sort_block_merge_config_selectorIiiEEZZNS1_27merge_sort_block_merge_implIS3_PiS7_jNS1_19radix_merge_compareILb0ELb1EiNS0_19identity_decomposerEEEEE10hipError_tT0_T1_T2_jT3_P12ihipStream_tbPNSt15iterator_traitsISC_E10value_typeEPNSI_ISD_E10value_typeEPSE_NS1_7vsmem_tEENKUlT_SC_SD_SE_E_clIS7_S7_S7_S7_EESB_SR_SC_SD_SE_EUlSR_E_NS1_11comp_targetILNS1_3genE5ELNS1_11target_archE942ELNS1_3gpuE9ELNS1_3repE0EEENS1_48merge_mergepath_partition_config_static_selectorELNS0_4arch9wavefront6targetE1EEEvSD_
    .private_segment_fixed_size: 0
    .sgpr_count:     4
    .sgpr_spill_count: 0
    .symbol:         _ZN7rocprim17ROCPRIM_400000_NS6detail17trampoline_kernelINS0_14default_configENS1_38merge_sort_block_merge_config_selectorIiiEEZZNS1_27merge_sort_block_merge_implIS3_PiS7_jNS1_19radix_merge_compareILb0ELb1EiNS0_19identity_decomposerEEEEE10hipError_tT0_T1_T2_jT3_P12ihipStream_tbPNSt15iterator_traitsISC_E10value_typeEPNSI_ISD_E10value_typeEPSE_NS1_7vsmem_tEENKUlT_SC_SD_SE_E_clIS7_S7_S7_S7_EESB_SR_SC_SD_SE_EUlSR_E_NS1_11comp_targetILNS1_3genE5ELNS1_11target_archE942ELNS1_3gpuE9ELNS1_3repE0EEENS1_48merge_mergepath_partition_config_static_selectorELNS0_4arch9wavefront6targetE1EEEvSD_.kd
    .uniform_work_group_size: 1
    .uses_dynamic_stack: false
    .vgpr_count:     0
    .vgpr_spill_count: 0
    .wavefront_size: 64
  - .agpr_count:     0
    .args:
      - .offset:         0
        .size:           40
        .value_kind:     by_value
    .group_segment_fixed_size: 0
    .kernarg_segment_align: 8
    .kernarg_segment_size: 40
    .language:       OpenCL C
    .language_version:
      - 2
      - 0
    .max_flat_workgroup_size: 128
    .name:           _ZN7rocprim17ROCPRIM_400000_NS6detail17trampoline_kernelINS0_14default_configENS1_38merge_sort_block_merge_config_selectorIiiEEZZNS1_27merge_sort_block_merge_implIS3_PiS7_jNS1_19radix_merge_compareILb0ELb1EiNS0_19identity_decomposerEEEEE10hipError_tT0_T1_T2_jT3_P12ihipStream_tbPNSt15iterator_traitsISC_E10value_typeEPNSI_ISD_E10value_typeEPSE_NS1_7vsmem_tEENKUlT_SC_SD_SE_E_clIS7_S7_S7_S7_EESB_SR_SC_SD_SE_EUlSR_E_NS1_11comp_targetILNS1_3genE4ELNS1_11target_archE910ELNS1_3gpuE8ELNS1_3repE0EEENS1_48merge_mergepath_partition_config_static_selectorELNS0_4arch9wavefront6targetE1EEEvSD_
    .private_segment_fixed_size: 0
    .sgpr_count:     14
    .sgpr_spill_count: 0
    .symbol:         _ZN7rocprim17ROCPRIM_400000_NS6detail17trampoline_kernelINS0_14default_configENS1_38merge_sort_block_merge_config_selectorIiiEEZZNS1_27merge_sort_block_merge_implIS3_PiS7_jNS1_19radix_merge_compareILb0ELb1EiNS0_19identity_decomposerEEEEE10hipError_tT0_T1_T2_jT3_P12ihipStream_tbPNSt15iterator_traitsISC_E10value_typeEPNSI_ISD_E10value_typeEPSE_NS1_7vsmem_tEENKUlT_SC_SD_SE_E_clIS7_S7_S7_S7_EESB_SR_SC_SD_SE_EUlSR_E_NS1_11comp_targetILNS1_3genE4ELNS1_11target_archE910ELNS1_3gpuE8ELNS1_3repE0EEENS1_48merge_mergepath_partition_config_static_selectorELNS0_4arch9wavefront6targetE1EEEvSD_.kd
    .uniform_work_group_size: 1
    .uses_dynamic_stack: false
    .vgpr_count:     17
    .vgpr_spill_count: 0
    .wavefront_size: 64
  - .agpr_count:     0
    .args:
      - .offset:         0
        .size:           40
        .value_kind:     by_value
    .group_segment_fixed_size: 0
    .kernarg_segment_align: 8
    .kernarg_segment_size: 40
    .language:       OpenCL C
    .language_version:
      - 2
      - 0
    .max_flat_workgroup_size: 128
    .name:           _ZN7rocprim17ROCPRIM_400000_NS6detail17trampoline_kernelINS0_14default_configENS1_38merge_sort_block_merge_config_selectorIiiEEZZNS1_27merge_sort_block_merge_implIS3_PiS7_jNS1_19radix_merge_compareILb0ELb1EiNS0_19identity_decomposerEEEEE10hipError_tT0_T1_T2_jT3_P12ihipStream_tbPNSt15iterator_traitsISC_E10value_typeEPNSI_ISD_E10value_typeEPSE_NS1_7vsmem_tEENKUlT_SC_SD_SE_E_clIS7_S7_S7_S7_EESB_SR_SC_SD_SE_EUlSR_E_NS1_11comp_targetILNS1_3genE3ELNS1_11target_archE908ELNS1_3gpuE7ELNS1_3repE0EEENS1_48merge_mergepath_partition_config_static_selectorELNS0_4arch9wavefront6targetE1EEEvSD_
    .private_segment_fixed_size: 0
    .sgpr_count:     4
    .sgpr_spill_count: 0
    .symbol:         _ZN7rocprim17ROCPRIM_400000_NS6detail17trampoline_kernelINS0_14default_configENS1_38merge_sort_block_merge_config_selectorIiiEEZZNS1_27merge_sort_block_merge_implIS3_PiS7_jNS1_19radix_merge_compareILb0ELb1EiNS0_19identity_decomposerEEEEE10hipError_tT0_T1_T2_jT3_P12ihipStream_tbPNSt15iterator_traitsISC_E10value_typeEPNSI_ISD_E10value_typeEPSE_NS1_7vsmem_tEENKUlT_SC_SD_SE_E_clIS7_S7_S7_S7_EESB_SR_SC_SD_SE_EUlSR_E_NS1_11comp_targetILNS1_3genE3ELNS1_11target_archE908ELNS1_3gpuE7ELNS1_3repE0EEENS1_48merge_mergepath_partition_config_static_selectorELNS0_4arch9wavefront6targetE1EEEvSD_.kd
    .uniform_work_group_size: 1
    .uses_dynamic_stack: false
    .vgpr_count:     0
    .vgpr_spill_count: 0
    .wavefront_size: 64
  - .agpr_count:     0
    .args:
      - .offset:         0
        .size:           40
        .value_kind:     by_value
    .group_segment_fixed_size: 0
    .kernarg_segment_align: 8
    .kernarg_segment_size: 40
    .language:       OpenCL C
    .language_version:
      - 2
      - 0
    .max_flat_workgroup_size: 128
    .name:           _ZN7rocprim17ROCPRIM_400000_NS6detail17trampoline_kernelINS0_14default_configENS1_38merge_sort_block_merge_config_selectorIiiEEZZNS1_27merge_sort_block_merge_implIS3_PiS7_jNS1_19radix_merge_compareILb0ELb1EiNS0_19identity_decomposerEEEEE10hipError_tT0_T1_T2_jT3_P12ihipStream_tbPNSt15iterator_traitsISC_E10value_typeEPNSI_ISD_E10value_typeEPSE_NS1_7vsmem_tEENKUlT_SC_SD_SE_E_clIS7_S7_S7_S7_EESB_SR_SC_SD_SE_EUlSR_E_NS1_11comp_targetILNS1_3genE2ELNS1_11target_archE906ELNS1_3gpuE6ELNS1_3repE0EEENS1_48merge_mergepath_partition_config_static_selectorELNS0_4arch9wavefront6targetE1EEEvSD_
    .private_segment_fixed_size: 0
    .sgpr_count:     4
    .sgpr_spill_count: 0
    .symbol:         _ZN7rocprim17ROCPRIM_400000_NS6detail17trampoline_kernelINS0_14default_configENS1_38merge_sort_block_merge_config_selectorIiiEEZZNS1_27merge_sort_block_merge_implIS3_PiS7_jNS1_19radix_merge_compareILb0ELb1EiNS0_19identity_decomposerEEEEE10hipError_tT0_T1_T2_jT3_P12ihipStream_tbPNSt15iterator_traitsISC_E10value_typeEPNSI_ISD_E10value_typeEPSE_NS1_7vsmem_tEENKUlT_SC_SD_SE_E_clIS7_S7_S7_S7_EESB_SR_SC_SD_SE_EUlSR_E_NS1_11comp_targetILNS1_3genE2ELNS1_11target_archE906ELNS1_3gpuE6ELNS1_3repE0EEENS1_48merge_mergepath_partition_config_static_selectorELNS0_4arch9wavefront6targetE1EEEvSD_.kd
    .uniform_work_group_size: 1
    .uses_dynamic_stack: false
    .vgpr_count:     0
    .vgpr_spill_count: 0
    .wavefront_size: 64
  - .agpr_count:     0
    .args:
      - .offset:         0
        .size:           40
        .value_kind:     by_value
    .group_segment_fixed_size: 0
    .kernarg_segment_align: 8
    .kernarg_segment_size: 40
    .language:       OpenCL C
    .language_version:
      - 2
      - 0
    .max_flat_workgroup_size: 128
    .name:           _ZN7rocprim17ROCPRIM_400000_NS6detail17trampoline_kernelINS0_14default_configENS1_38merge_sort_block_merge_config_selectorIiiEEZZNS1_27merge_sort_block_merge_implIS3_PiS7_jNS1_19radix_merge_compareILb0ELb1EiNS0_19identity_decomposerEEEEE10hipError_tT0_T1_T2_jT3_P12ihipStream_tbPNSt15iterator_traitsISC_E10value_typeEPNSI_ISD_E10value_typeEPSE_NS1_7vsmem_tEENKUlT_SC_SD_SE_E_clIS7_S7_S7_S7_EESB_SR_SC_SD_SE_EUlSR_E_NS1_11comp_targetILNS1_3genE9ELNS1_11target_archE1100ELNS1_3gpuE3ELNS1_3repE0EEENS1_48merge_mergepath_partition_config_static_selectorELNS0_4arch9wavefront6targetE1EEEvSD_
    .private_segment_fixed_size: 0
    .sgpr_count:     4
    .sgpr_spill_count: 0
    .symbol:         _ZN7rocprim17ROCPRIM_400000_NS6detail17trampoline_kernelINS0_14default_configENS1_38merge_sort_block_merge_config_selectorIiiEEZZNS1_27merge_sort_block_merge_implIS3_PiS7_jNS1_19radix_merge_compareILb0ELb1EiNS0_19identity_decomposerEEEEE10hipError_tT0_T1_T2_jT3_P12ihipStream_tbPNSt15iterator_traitsISC_E10value_typeEPNSI_ISD_E10value_typeEPSE_NS1_7vsmem_tEENKUlT_SC_SD_SE_E_clIS7_S7_S7_S7_EESB_SR_SC_SD_SE_EUlSR_E_NS1_11comp_targetILNS1_3genE9ELNS1_11target_archE1100ELNS1_3gpuE3ELNS1_3repE0EEENS1_48merge_mergepath_partition_config_static_selectorELNS0_4arch9wavefront6targetE1EEEvSD_.kd
    .uniform_work_group_size: 1
    .uses_dynamic_stack: false
    .vgpr_count:     0
    .vgpr_spill_count: 0
    .wavefront_size: 64
  - .agpr_count:     0
    .args:
      - .offset:         0
        .size:           40
        .value_kind:     by_value
    .group_segment_fixed_size: 0
    .kernarg_segment_align: 8
    .kernarg_segment_size: 40
    .language:       OpenCL C
    .language_version:
      - 2
      - 0
    .max_flat_workgroup_size: 128
    .name:           _ZN7rocprim17ROCPRIM_400000_NS6detail17trampoline_kernelINS0_14default_configENS1_38merge_sort_block_merge_config_selectorIiiEEZZNS1_27merge_sort_block_merge_implIS3_PiS7_jNS1_19radix_merge_compareILb0ELb1EiNS0_19identity_decomposerEEEEE10hipError_tT0_T1_T2_jT3_P12ihipStream_tbPNSt15iterator_traitsISC_E10value_typeEPNSI_ISD_E10value_typeEPSE_NS1_7vsmem_tEENKUlT_SC_SD_SE_E_clIS7_S7_S7_S7_EESB_SR_SC_SD_SE_EUlSR_E_NS1_11comp_targetILNS1_3genE8ELNS1_11target_archE1030ELNS1_3gpuE2ELNS1_3repE0EEENS1_48merge_mergepath_partition_config_static_selectorELNS0_4arch9wavefront6targetE1EEEvSD_
    .private_segment_fixed_size: 0
    .sgpr_count:     4
    .sgpr_spill_count: 0
    .symbol:         _ZN7rocprim17ROCPRIM_400000_NS6detail17trampoline_kernelINS0_14default_configENS1_38merge_sort_block_merge_config_selectorIiiEEZZNS1_27merge_sort_block_merge_implIS3_PiS7_jNS1_19radix_merge_compareILb0ELb1EiNS0_19identity_decomposerEEEEE10hipError_tT0_T1_T2_jT3_P12ihipStream_tbPNSt15iterator_traitsISC_E10value_typeEPNSI_ISD_E10value_typeEPSE_NS1_7vsmem_tEENKUlT_SC_SD_SE_E_clIS7_S7_S7_S7_EESB_SR_SC_SD_SE_EUlSR_E_NS1_11comp_targetILNS1_3genE8ELNS1_11target_archE1030ELNS1_3gpuE2ELNS1_3repE0EEENS1_48merge_mergepath_partition_config_static_selectorELNS0_4arch9wavefront6targetE1EEEvSD_.kd
    .uniform_work_group_size: 1
    .uses_dynamic_stack: false
    .vgpr_count:     0
    .vgpr_spill_count: 0
    .wavefront_size: 64
  - .agpr_count:     0
    .args:
      - .offset:         0
        .size:           64
        .value_kind:     by_value
    .group_segment_fixed_size: 0
    .kernarg_segment_align: 8
    .kernarg_segment_size: 64
    .language:       OpenCL C
    .language_version:
      - 2
      - 0
    .max_flat_workgroup_size: 256
    .name:           _ZN7rocprim17ROCPRIM_400000_NS6detail17trampoline_kernelINS0_14default_configENS1_38merge_sort_block_merge_config_selectorIiiEEZZNS1_27merge_sort_block_merge_implIS3_PiS7_jNS1_19radix_merge_compareILb0ELb1EiNS0_19identity_decomposerEEEEE10hipError_tT0_T1_T2_jT3_P12ihipStream_tbPNSt15iterator_traitsISC_E10value_typeEPNSI_ISD_E10value_typeEPSE_NS1_7vsmem_tEENKUlT_SC_SD_SE_E_clIS7_S7_S7_S7_EESB_SR_SC_SD_SE_EUlSR_E0_NS1_11comp_targetILNS1_3genE0ELNS1_11target_archE4294967295ELNS1_3gpuE0ELNS1_3repE0EEENS1_38merge_mergepath_config_static_selectorELNS0_4arch9wavefront6targetE1EEEvSD_
    .private_segment_fixed_size: 0
    .sgpr_count:     4
    .sgpr_spill_count: 0
    .symbol:         _ZN7rocprim17ROCPRIM_400000_NS6detail17trampoline_kernelINS0_14default_configENS1_38merge_sort_block_merge_config_selectorIiiEEZZNS1_27merge_sort_block_merge_implIS3_PiS7_jNS1_19radix_merge_compareILb0ELb1EiNS0_19identity_decomposerEEEEE10hipError_tT0_T1_T2_jT3_P12ihipStream_tbPNSt15iterator_traitsISC_E10value_typeEPNSI_ISD_E10value_typeEPSE_NS1_7vsmem_tEENKUlT_SC_SD_SE_E_clIS7_S7_S7_S7_EESB_SR_SC_SD_SE_EUlSR_E0_NS1_11comp_targetILNS1_3genE0ELNS1_11target_archE4294967295ELNS1_3gpuE0ELNS1_3repE0EEENS1_38merge_mergepath_config_static_selectorELNS0_4arch9wavefront6targetE1EEEvSD_.kd
    .uniform_work_group_size: 1
    .uses_dynamic_stack: false
    .vgpr_count:     0
    .vgpr_spill_count: 0
    .wavefront_size: 64
  - .agpr_count:     0
    .args:
      - .offset:         0
        .size:           64
        .value_kind:     by_value
    .group_segment_fixed_size: 0
    .kernarg_segment_align: 8
    .kernarg_segment_size: 64
    .language:       OpenCL C
    .language_version:
      - 2
      - 0
    .max_flat_workgroup_size: 256
    .name:           _ZN7rocprim17ROCPRIM_400000_NS6detail17trampoline_kernelINS0_14default_configENS1_38merge_sort_block_merge_config_selectorIiiEEZZNS1_27merge_sort_block_merge_implIS3_PiS7_jNS1_19radix_merge_compareILb0ELb1EiNS0_19identity_decomposerEEEEE10hipError_tT0_T1_T2_jT3_P12ihipStream_tbPNSt15iterator_traitsISC_E10value_typeEPNSI_ISD_E10value_typeEPSE_NS1_7vsmem_tEENKUlT_SC_SD_SE_E_clIS7_S7_S7_S7_EESB_SR_SC_SD_SE_EUlSR_E0_NS1_11comp_targetILNS1_3genE10ELNS1_11target_archE1201ELNS1_3gpuE5ELNS1_3repE0EEENS1_38merge_mergepath_config_static_selectorELNS0_4arch9wavefront6targetE1EEEvSD_
    .private_segment_fixed_size: 0
    .sgpr_count:     4
    .sgpr_spill_count: 0
    .symbol:         _ZN7rocprim17ROCPRIM_400000_NS6detail17trampoline_kernelINS0_14default_configENS1_38merge_sort_block_merge_config_selectorIiiEEZZNS1_27merge_sort_block_merge_implIS3_PiS7_jNS1_19radix_merge_compareILb0ELb1EiNS0_19identity_decomposerEEEEE10hipError_tT0_T1_T2_jT3_P12ihipStream_tbPNSt15iterator_traitsISC_E10value_typeEPNSI_ISD_E10value_typeEPSE_NS1_7vsmem_tEENKUlT_SC_SD_SE_E_clIS7_S7_S7_S7_EESB_SR_SC_SD_SE_EUlSR_E0_NS1_11comp_targetILNS1_3genE10ELNS1_11target_archE1201ELNS1_3gpuE5ELNS1_3repE0EEENS1_38merge_mergepath_config_static_selectorELNS0_4arch9wavefront6targetE1EEEvSD_.kd
    .uniform_work_group_size: 1
    .uses_dynamic_stack: false
    .vgpr_count:     0
    .vgpr_spill_count: 0
    .wavefront_size: 64
  - .agpr_count:     0
    .args:
      - .offset:         0
        .size:           64
        .value_kind:     by_value
    .group_segment_fixed_size: 0
    .kernarg_segment_align: 8
    .kernarg_segment_size: 64
    .language:       OpenCL C
    .language_version:
      - 2
      - 0
    .max_flat_workgroup_size: 128
    .name:           _ZN7rocprim17ROCPRIM_400000_NS6detail17trampoline_kernelINS0_14default_configENS1_38merge_sort_block_merge_config_selectorIiiEEZZNS1_27merge_sort_block_merge_implIS3_PiS7_jNS1_19radix_merge_compareILb0ELb1EiNS0_19identity_decomposerEEEEE10hipError_tT0_T1_T2_jT3_P12ihipStream_tbPNSt15iterator_traitsISC_E10value_typeEPNSI_ISD_E10value_typeEPSE_NS1_7vsmem_tEENKUlT_SC_SD_SE_E_clIS7_S7_S7_S7_EESB_SR_SC_SD_SE_EUlSR_E0_NS1_11comp_targetILNS1_3genE5ELNS1_11target_archE942ELNS1_3gpuE9ELNS1_3repE0EEENS1_38merge_mergepath_config_static_selectorELNS0_4arch9wavefront6targetE1EEEvSD_
    .private_segment_fixed_size: 0
    .sgpr_count:     4
    .sgpr_spill_count: 0
    .symbol:         _ZN7rocprim17ROCPRIM_400000_NS6detail17trampoline_kernelINS0_14default_configENS1_38merge_sort_block_merge_config_selectorIiiEEZZNS1_27merge_sort_block_merge_implIS3_PiS7_jNS1_19radix_merge_compareILb0ELb1EiNS0_19identity_decomposerEEEEE10hipError_tT0_T1_T2_jT3_P12ihipStream_tbPNSt15iterator_traitsISC_E10value_typeEPNSI_ISD_E10value_typeEPSE_NS1_7vsmem_tEENKUlT_SC_SD_SE_E_clIS7_S7_S7_S7_EESB_SR_SC_SD_SE_EUlSR_E0_NS1_11comp_targetILNS1_3genE5ELNS1_11target_archE942ELNS1_3gpuE9ELNS1_3repE0EEENS1_38merge_mergepath_config_static_selectorELNS0_4arch9wavefront6targetE1EEEvSD_.kd
    .uniform_work_group_size: 1
    .uses_dynamic_stack: false
    .vgpr_count:     0
    .vgpr_spill_count: 0
    .wavefront_size: 64
  - .agpr_count:     0
    .args:
      - .offset:         0
        .size:           64
        .value_kind:     by_value
      - .offset:         64
        .size:           4
        .value_kind:     hidden_block_count_x
      - .offset:         68
        .size:           4
        .value_kind:     hidden_block_count_y
      - .offset:         72
        .size:           4
        .value_kind:     hidden_block_count_z
      - .offset:         76
        .size:           2
        .value_kind:     hidden_group_size_x
      - .offset:         78
        .size:           2
        .value_kind:     hidden_group_size_y
      - .offset:         80
        .size:           2
        .value_kind:     hidden_group_size_z
      - .offset:         82
        .size:           2
        .value_kind:     hidden_remainder_x
      - .offset:         84
        .size:           2
        .value_kind:     hidden_remainder_y
      - .offset:         86
        .size:           2
        .value_kind:     hidden_remainder_z
      - .offset:         104
        .size:           8
        .value_kind:     hidden_global_offset_x
      - .offset:         112
        .size:           8
        .value_kind:     hidden_global_offset_y
      - .offset:         120
        .size:           8
        .value_kind:     hidden_global_offset_z
      - .offset:         128
        .size:           2
        .value_kind:     hidden_grid_dims
    .group_segment_fixed_size: 4224
    .kernarg_segment_align: 8
    .kernarg_segment_size: 320
    .language:       OpenCL C
    .language_version:
      - 2
      - 0
    .max_flat_workgroup_size: 256
    .name:           _ZN7rocprim17ROCPRIM_400000_NS6detail17trampoline_kernelINS0_14default_configENS1_38merge_sort_block_merge_config_selectorIiiEEZZNS1_27merge_sort_block_merge_implIS3_PiS7_jNS1_19radix_merge_compareILb0ELb1EiNS0_19identity_decomposerEEEEE10hipError_tT0_T1_T2_jT3_P12ihipStream_tbPNSt15iterator_traitsISC_E10value_typeEPNSI_ISD_E10value_typeEPSE_NS1_7vsmem_tEENKUlT_SC_SD_SE_E_clIS7_S7_S7_S7_EESB_SR_SC_SD_SE_EUlSR_E0_NS1_11comp_targetILNS1_3genE4ELNS1_11target_archE910ELNS1_3gpuE8ELNS1_3repE0EEENS1_38merge_mergepath_config_static_selectorELNS0_4arch9wavefront6targetE1EEEvSD_
    .private_segment_fixed_size: 0
    .sgpr_count:     36
    .sgpr_spill_count: 0
    .symbol:         _ZN7rocprim17ROCPRIM_400000_NS6detail17trampoline_kernelINS0_14default_configENS1_38merge_sort_block_merge_config_selectorIiiEEZZNS1_27merge_sort_block_merge_implIS3_PiS7_jNS1_19radix_merge_compareILb0ELb1EiNS0_19identity_decomposerEEEEE10hipError_tT0_T1_T2_jT3_P12ihipStream_tbPNSt15iterator_traitsISC_E10value_typeEPNSI_ISD_E10value_typeEPSE_NS1_7vsmem_tEENKUlT_SC_SD_SE_E_clIS7_S7_S7_S7_EESB_SR_SC_SD_SE_EUlSR_E0_NS1_11comp_targetILNS1_3genE4ELNS1_11target_archE910ELNS1_3gpuE8ELNS1_3repE0EEENS1_38merge_mergepath_config_static_selectorELNS0_4arch9wavefront6targetE1EEEvSD_.kd
    .uniform_work_group_size: 1
    .uses_dynamic_stack: false
    .vgpr_count:     20
    .vgpr_spill_count: 0
    .wavefront_size: 64
  - .agpr_count:     0
    .args:
      - .offset:         0
        .size:           64
        .value_kind:     by_value
    .group_segment_fixed_size: 0
    .kernarg_segment_align: 8
    .kernarg_segment_size: 64
    .language:       OpenCL C
    .language_version:
      - 2
      - 0
    .max_flat_workgroup_size: 256
    .name:           _ZN7rocprim17ROCPRIM_400000_NS6detail17trampoline_kernelINS0_14default_configENS1_38merge_sort_block_merge_config_selectorIiiEEZZNS1_27merge_sort_block_merge_implIS3_PiS7_jNS1_19radix_merge_compareILb0ELb1EiNS0_19identity_decomposerEEEEE10hipError_tT0_T1_T2_jT3_P12ihipStream_tbPNSt15iterator_traitsISC_E10value_typeEPNSI_ISD_E10value_typeEPSE_NS1_7vsmem_tEENKUlT_SC_SD_SE_E_clIS7_S7_S7_S7_EESB_SR_SC_SD_SE_EUlSR_E0_NS1_11comp_targetILNS1_3genE3ELNS1_11target_archE908ELNS1_3gpuE7ELNS1_3repE0EEENS1_38merge_mergepath_config_static_selectorELNS0_4arch9wavefront6targetE1EEEvSD_
    .private_segment_fixed_size: 0
    .sgpr_count:     4
    .sgpr_spill_count: 0
    .symbol:         _ZN7rocprim17ROCPRIM_400000_NS6detail17trampoline_kernelINS0_14default_configENS1_38merge_sort_block_merge_config_selectorIiiEEZZNS1_27merge_sort_block_merge_implIS3_PiS7_jNS1_19radix_merge_compareILb0ELb1EiNS0_19identity_decomposerEEEEE10hipError_tT0_T1_T2_jT3_P12ihipStream_tbPNSt15iterator_traitsISC_E10value_typeEPNSI_ISD_E10value_typeEPSE_NS1_7vsmem_tEENKUlT_SC_SD_SE_E_clIS7_S7_S7_S7_EESB_SR_SC_SD_SE_EUlSR_E0_NS1_11comp_targetILNS1_3genE3ELNS1_11target_archE908ELNS1_3gpuE7ELNS1_3repE0EEENS1_38merge_mergepath_config_static_selectorELNS0_4arch9wavefront6targetE1EEEvSD_.kd
    .uniform_work_group_size: 1
    .uses_dynamic_stack: false
    .vgpr_count:     0
    .vgpr_spill_count: 0
    .wavefront_size: 64
  - .agpr_count:     0
    .args:
      - .offset:         0
        .size:           64
        .value_kind:     by_value
    .group_segment_fixed_size: 0
    .kernarg_segment_align: 8
    .kernarg_segment_size: 64
    .language:       OpenCL C
    .language_version:
      - 2
      - 0
    .max_flat_workgroup_size: 256
    .name:           _ZN7rocprim17ROCPRIM_400000_NS6detail17trampoline_kernelINS0_14default_configENS1_38merge_sort_block_merge_config_selectorIiiEEZZNS1_27merge_sort_block_merge_implIS3_PiS7_jNS1_19radix_merge_compareILb0ELb1EiNS0_19identity_decomposerEEEEE10hipError_tT0_T1_T2_jT3_P12ihipStream_tbPNSt15iterator_traitsISC_E10value_typeEPNSI_ISD_E10value_typeEPSE_NS1_7vsmem_tEENKUlT_SC_SD_SE_E_clIS7_S7_S7_S7_EESB_SR_SC_SD_SE_EUlSR_E0_NS1_11comp_targetILNS1_3genE2ELNS1_11target_archE906ELNS1_3gpuE6ELNS1_3repE0EEENS1_38merge_mergepath_config_static_selectorELNS0_4arch9wavefront6targetE1EEEvSD_
    .private_segment_fixed_size: 0
    .sgpr_count:     4
    .sgpr_spill_count: 0
    .symbol:         _ZN7rocprim17ROCPRIM_400000_NS6detail17trampoline_kernelINS0_14default_configENS1_38merge_sort_block_merge_config_selectorIiiEEZZNS1_27merge_sort_block_merge_implIS3_PiS7_jNS1_19radix_merge_compareILb0ELb1EiNS0_19identity_decomposerEEEEE10hipError_tT0_T1_T2_jT3_P12ihipStream_tbPNSt15iterator_traitsISC_E10value_typeEPNSI_ISD_E10value_typeEPSE_NS1_7vsmem_tEENKUlT_SC_SD_SE_E_clIS7_S7_S7_S7_EESB_SR_SC_SD_SE_EUlSR_E0_NS1_11comp_targetILNS1_3genE2ELNS1_11target_archE906ELNS1_3gpuE6ELNS1_3repE0EEENS1_38merge_mergepath_config_static_selectorELNS0_4arch9wavefront6targetE1EEEvSD_.kd
    .uniform_work_group_size: 1
    .uses_dynamic_stack: false
    .vgpr_count:     0
    .vgpr_spill_count: 0
    .wavefront_size: 64
  - .agpr_count:     0
    .args:
      - .offset:         0
        .size:           64
        .value_kind:     by_value
    .group_segment_fixed_size: 0
    .kernarg_segment_align: 8
    .kernarg_segment_size: 64
    .language:       OpenCL C
    .language_version:
      - 2
      - 0
    .max_flat_workgroup_size: 512
    .name:           _ZN7rocprim17ROCPRIM_400000_NS6detail17trampoline_kernelINS0_14default_configENS1_38merge_sort_block_merge_config_selectorIiiEEZZNS1_27merge_sort_block_merge_implIS3_PiS7_jNS1_19radix_merge_compareILb0ELb1EiNS0_19identity_decomposerEEEEE10hipError_tT0_T1_T2_jT3_P12ihipStream_tbPNSt15iterator_traitsISC_E10value_typeEPNSI_ISD_E10value_typeEPSE_NS1_7vsmem_tEENKUlT_SC_SD_SE_E_clIS7_S7_S7_S7_EESB_SR_SC_SD_SE_EUlSR_E0_NS1_11comp_targetILNS1_3genE9ELNS1_11target_archE1100ELNS1_3gpuE3ELNS1_3repE0EEENS1_38merge_mergepath_config_static_selectorELNS0_4arch9wavefront6targetE1EEEvSD_
    .private_segment_fixed_size: 0
    .sgpr_count:     4
    .sgpr_spill_count: 0
    .symbol:         _ZN7rocprim17ROCPRIM_400000_NS6detail17trampoline_kernelINS0_14default_configENS1_38merge_sort_block_merge_config_selectorIiiEEZZNS1_27merge_sort_block_merge_implIS3_PiS7_jNS1_19radix_merge_compareILb0ELb1EiNS0_19identity_decomposerEEEEE10hipError_tT0_T1_T2_jT3_P12ihipStream_tbPNSt15iterator_traitsISC_E10value_typeEPNSI_ISD_E10value_typeEPSE_NS1_7vsmem_tEENKUlT_SC_SD_SE_E_clIS7_S7_S7_S7_EESB_SR_SC_SD_SE_EUlSR_E0_NS1_11comp_targetILNS1_3genE9ELNS1_11target_archE1100ELNS1_3gpuE3ELNS1_3repE0EEENS1_38merge_mergepath_config_static_selectorELNS0_4arch9wavefront6targetE1EEEvSD_.kd
    .uniform_work_group_size: 1
    .uses_dynamic_stack: false
    .vgpr_count:     0
    .vgpr_spill_count: 0
    .wavefront_size: 64
  - .agpr_count:     0
    .args:
      - .offset:         0
        .size:           64
        .value_kind:     by_value
    .group_segment_fixed_size: 0
    .kernarg_segment_align: 8
    .kernarg_segment_size: 64
    .language:       OpenCL C
    .language_version:
      - 2
      - 0
    .max_flat_workgroup_size: 1024
    .name:           _ZN7rocprim17ROCPRIM_400000_NS6detail17trampoline_kernelINS0_14default_configENS1_38merge_sort_block_merge_config_selectorIiiEEZZNS1_27merge_sort_block_merge_implIS3_PiS7_jNS1_19radix_merge_compareILb0ELb1EiNS0_19identity_decomposerEEEEE10hipError_tT0_T1_T2_jT3_P12ihipStream_tbPNSt15iterator_traitsISC_E10value_typeEPNSI_ISD_E10value_typeEPSE_NS1_7vsmem_tEENKUlT_SC_SD_SE_E_clIS7_S7_S7_S7_EESB_SR_SC_SD_SE_EUlSR_E0_NS1_11comp_targetILNS1_3genE8ELNS1_11target_archE1030ELNS1_3gpuE2ELNS1_3repE0EEENS1_38merge_mergepath_config_static_selectorELNS0_4arch9wavefront6targetE1EEEvSD_
    .private_segment_fixed_size: 0
    .sgpr_count:     4
    .sgpr_spill_count: 0
    .symbol:         _ZN7rocprim17ROCPRIM_400000_NS6detail17trampoline_kernelINS0_14default_configENS1_38merge_sort_block_merge_config_selectorIiiEEZZNS1_27merge_sort_block_merge_implIS3_PiS7_jNS1_19radix_merge_compareILb0ELb1EiNS0_19identity_decomposerEEEEE10hipError_tT0_T1_T2_jT3_P12ihipStream_tbPNSt15iterator_traitsISC_E10value_typeEPNSI_ISD_E10value_typeEPSE_NS1_7vsmem_tEENKUlT_SC_SD_SE_E_clIS7_S7_S7_S7_EESB_SR_SC_SD_SE_EUlSR_E0_NS1_11comp_targetILNS1_3genE8ELNS1_11target_archE1030ELNS1_3gpuE2ELNS1_3repE0EEENS1_38merge_mergepath_config_static_selectorELNS0_4arch9wavefront6targetE1EEEvSD_.kd
    .uniform_work_group_size: 1
    .uses_dynamic_stack: false
    .vgpr_count:     0
    .vgpr_spill_count: 0
    .wavefront_size: 64
  - .agpr_count:     0
    .args:
      - .offset:         0
        .size:           48
        .value_kind:     by_value
    .group_segment_fixed_size: 0
    .kernarg_segment_align: 8
    .kernarg_segment_size: 48
    .language:       OpenCL C
    .language_version:
      - 2
      - 0
    .max_flat_workgroup_size: 256
    .name:           _ZN7rocprim17ROCPRIM_400000_NS6detail17trampoline_kernelINS0_14default_configENS1_38merge_sort_block_merge_config_selectorIiiEEZZNS1_27merge_sort_block_merge_implIS3_PiS7_jNS1_19radix_merge_compareILb0ELb1EiNS0_19identity_decomposerEEEEE10hipError_tT0_T1_T2_jT3_P12ihipStream_tbPNSt15iterator_traitsISC_E10value_typeEPNSI_ISD_E10value_typeEPSE_NS1_7vsmem_tEENKUlT_SC_SD_SE_E_clIS7_S7_S7_S7_EESB_SR_SC_SD_SE_EUlSR_E1_NS1_11comp_targetILNS1_3genE0ELNS1_11target_archE4294967295ELNS1_3gpuE0ELNS1_3repE0EEENS1_36merge_oddeven_config_static_selectorELNS0_4arch9wavefront6targetE1EEEvSD_
    .private_segment_fixed_size: 0
    .sgpr_count:     4
    .sgpr_spill_count: 0
    .symbol:         _ZN7rocprim17ROCPRIM_400000_NS6detail17trampoline_kernelINS0_14default_configENS1_38merge_sort_block_merge_config_selectorIiiEEZZNS1_27merge_sort_block_merge_implIS3_PiS7_jNS1_19radix_merge_compareILb0ELb1EiNS0_19identity_decomposerEEEEE10hipError_tT0_T1_T2_jT3_P12ihipStream_tbPNSt15iterator_traitsISC_E10value_typeEPNSI_ISD_E10value_typeEPSE_NS1_7vsmem_tEENKUlT_SC_SD_SE_E_clIS7_S7_S7_S7_EESB_SR_SC_SD_SE_EUlSR_E1_NS1_11comp_targetILNS1_3genE0ELNS1_11target_archE4294967295ELNS1_3gpuE0ELNS1_3repE0EEENS1_36merge_oddeven_config_static_selectorELNS0_4arch9wavefront6targetE1EEEvSD_.kd
    .uniform_work_group_size: 1
    .uses_dynamic_stack: false
    .vgpr_count:     0
    .vgpr_spill_count: 0
    .wavefront_size: 64
  - .agpr_count:     0
    .args:
      - .offset:         0
        .size:           48
        .value_kind:     by_value
    .group_segment_fixed_size: 0
    .kernarg_segment_align: 8
    .kernarg_segment_size: 48
    .language:       OpenCL C
    .language_version:
      - 2
      - 0
    .max_flat_workgroup_size: 256
    .name:           _ZN7rocprim17ROCPRIM_400000_NS6detail17trampoline_kernelINS0_14default_configENS1_38merge_sort_block_merge_config_selectorIiiEEZZNS1_27merge_sort_block_merge_implIS3_PiS7_jNS1_19radix_merge_compareILb0ELb1EiNS0_19identity_decomposerEEEEE10hipError_tT0_T1_T2_jT3_P12ihipStream_tbPNSt15iterator_traitsISC_E10value_typeEPNSI_ISD_E10value_typeEPSE_NS1_7vsmem_tEENKUlT_SC_SD_SE_E_clIS7_S7_S7_S7_EESB_SR_SC_SD_SE_EUlSR_E1_NS1_11comp_targetILNS1_3genE10ELNS1_11target_archE1201ELNS1_3gpuE5ELNS1_3repE0EEENS1_36merge_oddeven_config_static_selectorELNS0_4arch9wavefront6targetE1EEEvSD_
    .private_segment_fixed_size: 0
    .sgpr_count:     4
    .sgpr_spill_count: 0
    .symbol:         _ZN7rocprim17ROCPRIM_400000_NS6detail17trampoline_kernelINS0_14default_configENS1_38merge_sort_block_merge_config_selectorIiiEEZZNS1_27merge_sort_block_merge_implIS3_PiS7_jNS1_19radix_merge_compareILb0ELb1EiNS0_19identity_decomposerEEEEE10hipError_tT0_T1_T2_jT3_P12ihipStream_tbPNSt15iterator_traitsISC_E10value_typeEPNSI_ISD_E10value_typeEPSE_NS1_7vsmem_tEENKUlT_SC_SD_SE_E_clIS7_S7_S7_S7_EESB_SR_SC_SD_SE_EUlSR_E1_NS1_11comp_targetILNS1_3genE10ELNS1_11target_archE1201ELNS1_3gpuE5ELNS1_3repE0EEENS1_36merge_oddeven_config_static_selectorELNS0_4arch9wavefront6targetE1EEEvSD_.kd
    .uniform_work_group_size: 1
    .uses_dynamic_stack: false
    .vgpr_count:     0
    .vgpr_spill_count: 0
    .wavefront_size: 64
  - .agpr_count:     0
    .args:
      - .offset:         0
        .size:           48
        .value_kind:     by_value
    .group_segment_fixed_size: 0
    .kernarg_segment_align: 8
    .kernarg_segment_size: 48
    .language:       OpenCL C
    .language_version:
      - 2
      - 0
    .max_flat_workgroup_size: 256
    .name:           _ZN7rocprim17ROCPRIM_400000_NS6detail17trampoline_kernelINS0_14default_configENS1_38merge_sort_block_merge_config_selectorIiiEEZZNS1_27merge_sort_block_merge_implIS3_PiS7_jNS1_19radix_merge_compareILb0ELb1EiNS0_19identity_decomposerEEEEE10hipError_tT0_T1_T2_jT3_P12ihipStream_tbPNSt15iterator_traitsISC_E10value_typeEPNSI_ISD_E10value_typeEPSE_NS1_7vsmem_tEENKUlT_SC_SD_SE_E_clIS7_S7_S7_S7_EESB_SR_SC_SD_SE_EUlSR_E1_NS1_11comp_targetILNS1_3genE5ELNS1_11target_archE942ELNS1_3gpuE9ELNS1_3repE0EEENS1_36merge_oddeven_config_static_selectorELNS0_4arch9wavefront6targetE1EEEvSD_
    .private_segment_fixed_size: 0
    .sgpr_count:     4
    .sgpr_spill_count: 0
    .symbol:         _ZN7rocprim17ROCPRIM_400000_NS6detail17trampoline_kernelINS0_14default_configENS1_38merge_sort_block_merge_config_selectorIiiEEZZNS1_27merge_sort_block_merge_implIS3_PiS7_jNS1_19radix_merge_compareILb0ELb1EiNS0_19identity_decomposerEEEEE10hipError_tT0_T1_T2_jT3_P12ihipStream_tbPNSt15iterator_traitsISC_E10value_typeEPNSI_ISD_E10value_typeEPSE_NS1_7vsmem_tEENKUlT_SC_SD_SE_E_clIS7_S7_S7_S7_EESB_SR_SC_SD_SE_EUlSR_E1_NS1_11comp_targetILNS1_3genE5ELNS1_11target_archE942ELNS1_3gpuE9ELNS1_3repE0EEENS1_36merge_oddeven_config_static_selectorELNS0_4arch9wavefront6targetE1EEEvSD_.kd
    .uniform_work_group_size: 1
    .uses_dynamic_stack: false
    .vgpr_count:     0
    .vgpr_spill_count: 0
    .wavefront_size: 64
  - .agpr_count:     0
    .args:
      - .offset:         0
        .size:           48
        .value_kind:     by_value
    .group_segment_fixed_size: 0
    .kernarg_segment_align: 8
    .kernarg_segment_size: 48
    .language:       OpenCL C
    .language_version:
      - 2
      - 0
    .max_flat_workgroup_size: 256
    .name:           _ZN7rocprim17ROCPRIM_400000_NS6detail17trampoline_kernelINS0_14default_configENS1_38merge_sort_block_merge_config_selectorIiiEEZZNS1_27merge_sort_block_merge_implIS3_PiS7_jNS1_19radix_merge_compareILb0ELb1EiNS0_19identity_decomposerEEEEE10hipError_tT0_T1_T2_jT3_P12ihipStream_tbPNSt15iterator_traitsISC_E10value_typeEPNSI_ISD_E10value_typeEPSE_NS1_7vsmem_tEENKUlT_SC_SD_SE_E_clIS7_S7_S7_S7_EESB_SR_SC_SD_SE_EUlSR_E1_NS1_11comp_targetILNS1_3genE4ELNS1_11target_archE910ELNS1_3gpuE8ELNS1_3repE0EEENS1_36merge_oddeven_config_static_selectorELNS0_4arch9wavefront6targetE1EEEvSD_
    .private_segment_fixed_size: 0
    .sgpr_count:     28
    .sgpr_spill_count: 0
    .symbol:         _ZN7rocprim17ROCPRIM_400000_NS6detail17trampoline_kernelINS0_14default_configENS1_38merge_sort_block_merge_config_selectorIiiEEZZNS1_27merge_sort_block_merge_implIS3_PiS7_jNS1_19radix_merge_compareILb0ELb1EiNS0_19identity_decomposerEEEEE10hipError_tT0_T1_T2_jT3_P12ihipStream_tbPNSt15iterator_traitsISC_E10value_typeEPNSI_ISD_E10value_typeEPSE_NS1_7vsmem_tEENKUlT_SC_SD_SE_E_clIS7_S7_S7_S7_EESB_SR_SC_SD_SE_EUlSR_E1_NS1_11comp_targetILNS1_3genE4ELNS1_11target_archE910ELNS1_3gpuE8ELNS1_3repE0EEENS1_36merge_oddeven_config_static_selectorELNS0_4arch9wavefront6targetE1EEEvSD_.kd
    .uniform_work_group_size: 1
    .uses_dynamic_stack: false
    .vgpr_count:     12
    .vgpr_spill_count: 0
    .wavefront_size: 64
  - .agpr_count:     0
    .args:
      - .offset:         0
        .size:           48
        .value_kind:     by_value
    .group_segment_fixed_size: 0
    .kernarg_segment_align: 8
    .kernarg_segment_size: 48
    .language:       OpenCL C
    .language_version:
      - 2
      - 0
    .max_flat_workgroup_size: 256
    .name:           _ZN7rocprim17ROCPRIM_400000_NS6detail17trampoline_kernelINS0_14default_configENS1_38merge_sort_block_merge_config_selectorIiiEEZZNS1_27merge_sort_block_merge_implIS3_PiS7_jNS1_19radix_merge_compareILb0ELb1EiNS0_19identity_decomposerEEEEE10hipError_tT0_T1_T2_jT3_P12ihipStream_tbPNSt15iterator_traitsISC_E10value_typeEPNSI_ISD_E10value_typeEPSE_NS1_7vsmem_tEENKUlT_SC_SD_SE_E_clIS7_S7_S7_S7_EESB_SR_SC_SD_SE_EUlSR_E1_NS1_11comp_targetILNS1_3genE3ELNS1_11target_archE908ELNS1_3gpuE7ELNS1_3repE0EEENS1_36merge_oddeven_config_static_selectorELNS0_4arch9wavefront6targetE1EEEvSD_
    .private_segment_fixed_size: 0
    .sgpr_count:     4
    .sgpr_spill_count: 0
    .symbol:         _ZN7rocprim17ROCPRIM_400000_NS6detail17trampoline_kernelINS0_14default_configENS1_38merge_sort_block_merge_config_selectorIiiEEZZNS1_27merge_sort_block_merge_implIS3_PiS7_jNS1_19radix_merge_compareILb0ELb1EiNS0_19identity_decomposerEEEEE10hipError_tT0_T1_T2_jT3_P12ihipStream_tbPNSt15iterator_traitsISC_E10value_typeEPNSI_ISD_E10value_typeEPSE_NS1_7vsmem_tEENKUlT_SC_SD_SE_E_clIS7_S7_S7_S7_EESB_SR_SC_SD_SE_EUlSR_E1_NS1_11comp_targetILNS1_3genE3ELNS1_11target_archE908ELNS1_3gpuE7ELNS1_3repE0EEENS1_36merge_oddeven_config_static_selectorELNS0_4arch9wavefront6targetE1EEEvSD_.kd
    .uniform_work_group_size: 1
    .uses_dynamic_stack: false
    .vgpr_count:     0
    .vgpr_spill_count: 0
    .wavefront_size: 64
  - .agpr_count:     0
    .args:
      - .offset:         0
        .size:           48
        .value_kind:     by_value
    .group_segment_fixed_size: 0
    .kernarg_segment_align: 8
    .kernarg_segment_size: 48
    .language:       OpenCL C
    .language_version:
      - 2
      - 0
    .max_flat_workgroup_size: 256
    .name:           _ZN7rocprim17ROCPRIM_400000_NS6detail17trampoline_kernelINS0_14default_configENS1_38merge_sort_block_merge_config_selectorIiiEEZZNS1_27merge_sort_block_merge_implIS3_PiS7_jNS1_19radix_merge_compareILb0ELb1EiNS0_19identity_decomposerEEEEE10hipError_tT0_T1_T2_jT3_P12ihipStream_tbPNSt15iterator_traitsISC_E10value_typeEPNSI_ISD_E10value_typeEPSE_NS1_7vsmem_tEENKUlT_SC_SD_SE_E_clIS7_S7_S7_S7_EESB_SR_SC_SD_SE_EUlSR_E1_NS1_11comp_targetILNS1_3genE2ELNS1_11target_archE906ELNS1_3gpuE6ELNS1_3repE0EEENS1_36merge_oddeven_config_static_selectorELNS0_4arch9wavefront6targetE1EEEvSD_
    .private_segment_fixed_size: 0
    .sgpr_count:     4
    .sgpr_spill_count: 0
    .symbol:         _ZN7rocprim17ROCPRIM_400000_NS6detail17trampoline_kernelINS0_14default_configENS1_38merge_sort_block_merge_config_selectorIiiEEZZNS1_27merge_sort_block_merge_implIS3_PiS7_jNS1_19radix_merge_compareILb0ELb1EiNS0_19identity_decomposerEEEEE10hipError_tT0_T1_T2_jT3_P12ihipStream_tbPNSt15iterator_traitsISC_E10value_typeEPNSI_ISD_E10value_typeEPSE_NS1_7vsmem_tEENKUlT_SC_SD_SE_E_clIS7_S7_S7_S7_EESB_SR_SC_SD_SE_EUlSR_E1_NS1_11comp_targetILNS1_3genE2ELNS1_11target_archE906ELNS1_3gpuE6ELNS1_3repE0EEENS1_36merge_oddeven_config_static_selectorELNS0_4arch9wavefront6targetE1EEEvSD_.kd
    .uniform_work_group_size: 1
    .uses_dynamic_stack: false
    .vgpr_count:     0
    .vgpr_spill_count: 0
    .wavefront_size: 64
  - .agpr_count:     0
    .args:
      - .offset:         0
        .size:           48
        .value_kind:     by_value
    .group_segment_fixed_size: 0
    .kernarg_segment_align: 8
    .kernarg_segment_size: 48
    .language:       OpenCL C
    .language_version:
      - 2
      - 0
    .max_flat_workgroup_size: 256
    .name:           _ZN7rocprim17ROCPRIM_400000_NS6detail17trampoline_kernelINS0_14default_configENS1_38merge_sort_block_merge_config_selectorIiiEEZZNS1_27merge_sort_block_merge_implIS3_PiS7_jNS1_19radix_merge_compareILb0ELb1EiNS0_19identity_decomposerEEEEE10hipError_tT0_T1_T2_jT3_P12ihipStream_tbPNSt15iterator_traitsISC_E10value_typeEPNSI_ISD_E10value_typeEPSE_NS1_7vsmem_tEENKUlT_SC_SD_SE_E_clIS7_S7_S7_S7_EESB_SR_SC_SD_SE_EUlSR_E1_NS1_11comp_targetILNS1_3genE9ELNS1_11target_archE1100ELNS1_3gpuE3ELNS1_3repE0EEENS1_36merge_oddeven_config_static_selectorELNS0_4arch9wavefront6targetE1EEEvSD_
    .private_segment_fixed_size: 0
    .sgpr_count:     4
    .sgpr_spill_count: 0
    .symbol:         _ZN7rocprim17ROCPRIM_400000_NS6detail17trampoline_kernelINS0_14default_configENS1_38merge_sort_block_merge_config_selectorIiiEEZZNS1_27merge_sort_block_merge_implIS3_PiS7_jNS1_19radix_merge_compareILb0ELb1EiNS0_19identity_decomposerEEEEE10hipError_tT0_T1_T2_jT3_P12ihipStream_tbPNSt15iterator_traitsISC_E10value_typeEPNSI_ISD_E10value_typeEPSE_NS1_7vsmem_tEENKUlT_SC_SD_SE_E_clIS7_S7_S7_S7_EESB_SR_SC_SD_SE_EUlSR_E1_NS1_11comp_targetILNS1_3genE9ELNS1_11target_archE1100ELNS1_3gpuE3ELNS1_3repE0EEENS1_36merge_oddeven_config_static_selectorELNS0_4arch9wavefront6targetE1EEEvSD_.kd
    .uniform_work_group_size: 1
    .uses_dynamic_stack: false
    .vgpr_count:     0
    .vgpr_spill_count: 0
    .wavefront_size: 64
  - .agpr_count:     0
    .args:
      - .offset:         0
        .size:           48
        .value_kind:     by_value
    .group_segment_fixed_size: 0
    .kernarg_segment_align: 8
    .kernarg_segment_size: 48
    .language:       OpenCL C
    .language_version:
      - 2
      - 0
    .max_flat_workgroup_size: 256
    .name:           _ZN7rocprim17ROCPRIM_400000_NS6detail17trampoline_kernelINS0_14default_configENS1_38merge_sort_block_merge_config_selectorIiiEEZZNS1_27merge_sort_block_merge_implIS3_PiS7_jNS1_19radix_merge_compareILb0ELb1EiNS0_19identity_decomposerEEEEE10hipError_tT0_T1_T2_jT3_P12ihipStream_tbPNSt15iterator_traitsISC_E10value_typeEPNSI_ISD_E10value_typeEPSE_NS1_7vsmem_tEENKUlT_SC_SD_SE_E_clIS7_S7_S7_S7_EESB_SR_SC_SD_SE_EUlSR_E1_NS1_11comp_targetILNS1_3genE8ELNS1_11target_archE1030ELNS1_3gpuE2ELNS1_3repE0EEENS1_36merge_oddeven_config_static_selectorELNS0_4arch9wavefront6targetE1EEEvSD_
    .private_segment_fixed_size: 0
    .sgpr_count:     4
    .sgpr_spill_count: 0
    .symbol:         _ZN7rocprim17ROCPRIM_400000_NS6detail17trampoline_kernelINS0_14default_configENS1_38merge_sort_block_merge_config_selectorIiiEEZZNS1_27merge_sort_block_merge_implIS3_PiS7_jNS1_19radix_merge_compareILb0ELb1EiNS0_19identity_decomposerEEEEE10hipError_tT0_T1_T2_jT3_P12ihipStream_tbPNSt15iterator_traitsISC_E10value_typeEPNSI_ISD_E10value_typeEPSE_NS1_7vsmem_tEENKUlT_SC_SD_SE_E_clIS7_S7_S7_S7_EESB_SR_SC_SD_SE_EUlSR_E1_NS1_11comp_targetILNS1_3genE8ELNS1_11target_archE1030ELNS1_3gpuE2ELNS1_3repE0EEENS1_36merge_oddeven_config_static_selectorELNS0_4arch9wavefront6targetE1EEEvSD_.kd
    .uniform_work_group_size: 1
    .uses_dynamic_stack: false
    .vgpr_count:     0
    .vgpr_spill_count: 0
    .wavefront_size: 64
  - .agpr_count:     0
    .args:
      - .offset:         0
        .size:           40
        .value_kind:     by_value
    .group_segment_fixed_size: 0
    .kernarg_segment_align: 8
    .kernarg_segment_size: 40
    .language:       OpenCL C
    .language_version:
      - 2
      - 0
    .max_flat_workgroup_size: 256
    .name:           _ZN7rocprim17ROCPRIM_400000_NS6detail17trampoline_kernelINS0_14default_configENS1_35radix_sort_onesweep_config_selectorIiiEEZNS1_34radix_sort_onesweep_global_offsetsIS3_Lb0EPiS7_jNS0_19identity_decomposerEEE10hipError_tT1_T2_PT3_SC_jT4_jjP12ihipStream_tbEUlT_E_NS1_11comp_targetILNS1_3genE0ELNS1_11target_archE4294967295ELNS1_3gpuE0ELNS1_3repE0EEENS1_52radix_sort_onesweep_histogram_config_static_selectorELNS0_4arch9wavefront6targetE1EEEvSA_
    .private_segment_fixed_size: 0
    .sgpr_count:     4
    .sgpr_spill_count: 0
    .symbol:         _ZN7rocprim17ROCPRIM_400000_NS6detail17trampoline_kernelINS0_14default_configENS1_35radix_sort_onesweep_config_selectorIiiEEZNS1_34radix_sort_onesweep_global_offsetsIS3_Lb0EPiS7_jNS0_19identity_decomposerEEE10hipError_tT1_T2_PT3_SC_jT4_jjP12ihipStream_tbEUlT_E_NS1_11comp_targetILNS1_3genE0ELNS1_11target_archE4294967295ELNS1_3gpuE0ELNS1_3repE0EEENS1_52radix_sort_onesweep_histogram_config_static_selectorELNS0_4arch9wavefront6targetE1EEEvSA_.kd
    .uniform_work_group_size: 1
    .uses_dynamic_stack: false
    .vgpr_count:     0
    .vgpr_spill_count: 0
    .wavefront_size: 64
  - .agpr_count:     0
    .args:
      - .offset:         0
        .size:           40
        .value_kind:     by_value
    .group_segment_fixed_size: 0
    .kernarg_segment_align: 8
    .kernarg_segment_size: 40
    .language:       OpenCL C
    .language_version:
      - 2
      - 0
    .max_flat_workgroup_size: 1024
    .name:           _ZN7rocprim17ROCPRIM_400000_NS6detail17trampoline_kernelINS0_14default_configENS1_35radix_sort_onesweep_config_selectorIiiEEZNS1_34radix_sort_onesweep_global_offsetsIS3_Lb0EPiS7_jNS0_19identity_decomposerEEE10hipError_tT1_T2_PT3_SC_jT4_jjP12ihipStream_tbEUlT_E_NS1_11comp_targetILNS1_3genE6ELNS1_11target_archE950ELNS1_3gpuE13ELNS1_3repE0EEENS1_52radix_sort_onesweep_histogram_config_static_selectorELNS0_4arch9wavefront6targetE1EEEvSA_
    .private_segment_fixed_size: 0
    .sgpr_count:     4
    .sgpr_spill_count: 0
    .symbol:         _ZN7rocprim17ROCPRIM_400000_NS6detail17trampoline_kernelINS0_14default_configENS1_35radix_sort_onesweep_config_selectorIiiEEZNS1_34radix_sort_onesweep_global_offsetsIS3_Lb0EPiS7_jNS0_19identity_decomposerEEE10hipError_tT1_T2_PT3_SC_jT4_jjP12ihipStream_tbEUlT_E_NS1_11comp_targetILNS1_3genE6ELNS1_11target_archE950ELNS1_3gpuE13ELNS1_3repE0EEENS1_52radix_sort_onesweep_histogram_config_static_selectorELNS0_4arch9wavefront6targetE1EEEvSA_.kd
    .uniform_work_group_size: 1
    .uses_dynamic_stack: false
    .vgpr_count:     0
    .vgpr_spill_count: 0
    .wavefront_size: 64
  - .agpr_count:     0
    .args:
      - .offset:         0
        .size:           40
        .value_kind:     by_value
    .group_segment_fixed_size: 0
    .kernarg_segment_align: 8
    .kernarg_segment_size: 40
    .language:       OpenCL C
    .language_version:
      - 2
      - 0
    .max_flat_workgroup_size: 1024
    .name:           _ZN7rocprim17ROCPRIM_400000_NS6detail17trampoline_kernelINS0_14default_configENS1_35radix_sort_onesweep_config_selectorIiiEEZNS1_34radix_sort_onesweep_global_offsetsIS3_Lb0EPiS7_jNS0_19identity_decomposerEEE10hipError_tT1_T2_PT3_SC_jT4_jjP12ihipStream_tbEUlT_E_NS1_11comp_targetILNS1_3genE5ELNS1_11target_archE942ELNS1_3gpuE9ELNS1_3repE0EEENS1_52radix_sort_onesweep_histogram_config_static_selectorELNS0_4arch9wavefront6targetE1EEEvSA_
    .private_segment_fixed_size: 0
    .sgpr_count:     4
    .sgpr_spill_count: 0
    .symbol:         _ZN7rocprim17ROCPRIM_400000_NS6detail17trampoline_kernelINS0_14default_configENS1_35radix_sort_onesweep_config_selectorIiiEEZNS1_34radix_sort_onesweep_global_offsetsIS3_Lb0EPiS7_jNS0_19identity_decomposerEEE10hipError_tT1_T2_PT3_SC_jT4_jjP12ihipStream_tbEUlT_E_NS1_11comp_targetILNS1_3genE5ELNS1_11target_archE942ELNS1_3gpuE9ELNS1_3repE0EEENS1_52radix_sort_onesweep_histogram_config_static_selectorELNS0_4arch9wavefront6targetE1EEEvSA_.kd
    .uniform_work_group_size: 1
    .uses_dynamic_stack: false
    .vgpr_count:     0
    .vgpr_spill_count: 0
    .wavefront_size: 64
  - .agpr_count:     0
    .args:
      - .offset:         0
        .size:           40
        .value_kind:     by_value
    .group_segment_fixed_size: 0
    .kernarg_segment_align: 8
    .kernarg_segment_size: 40
    .language:       OpenCL C
    .language_version:
      - 2
      - 0
    .max_flat_workgroup_size: 512
    .name:           _ZN7rocprim17ROCPRIM_400000_NS6detail17trampoline_kernelINS0_14default_configENS1_35radix_sort_onesweep_config_selectorIiiEEZNS1_34radix_sort_onesweep_global_offsetsIS3_Lb0EPiS7_jNS0_19identity_decomposerEEE10hipError_tT1_T2_PT3_SC_jT4_jjP12ihipStream_tbEUlT_E_NS1_11comp_targetILNS1_3genE2ELNS1_11target_archE906ELNS1_3gpuE6ELNS1_3repE0EEENS1_52radix_sort_onesweep_histogram_config_static_selectorELNS0_4arch9wavefront6targetE1EEEvSA_
    .private_segment_fixed_size: 0
    .sgpr_count:     4
    .sgpr_spill_count: 0
    .symbol:         _ZN7rocprim17ROCPRIM_400000_NS6detail17trampoline_kernelINS0_14default_configENS1_35radix_sort_onesweep_config_selectorIiiEEZNS1_34radix_sort_onesweep_global_offsetsIS3_Lb0EPiS7_jNS0_19identity_decomposerEEE10hipError_tT1_T2_PT3_SC_jT4_jjP12ihipStream_tbEUlT_E_NS1_11comp_targetILNS1_3genE2ELNS1_11target_archE906ELNS1_3gpuE6ELNS1_3repE0EEENS1_52radix_sort_onesweep_histogram_config_static_selectorELNS0_4arch9wavefront6targetE1EEEvSA_.kd
    .uniform_work_group_size: 1
    .uses_dynamic_stack: false
    .vgpr_count:     0
    .vgpr_spill_count: 0
    .wavefront_size: 64
  - .agpr_count:     0
    .args:
      - .offset:         0
        .size:           40
        .value_kind:     by_value
    .group_segment_fixed_size: 16384
    .kernarg_segment_align: 8
    .kernarg_segment_size: 40
    .language:       OpenCL C
    .language_version:
      - 2
      - 0
    .max_flat_workgroup_size: 512
    .name:           _ZN7rocprim17ROCPRIM_400000_NS6detail17trampoline_kernelINS0_14default_configENS1_35radix_sort_onesweep_config_selectorIiiEEZNS1_34radix_sort_onesweep_global_offsetsIS3_Lb0EPiS7_jNS0_19identity_decomposerEEE10hipError_tT1_T2_PT3_SC_jT4_jjP12ihipStream_tbEUlT_E_NS1_11comp_targetILNS1_3genE4ELNS1_11target_archE910ELNS1_3gpuE8ELNS1_3repE0EEENS1_52radix_sort_onesweep_histogram_config_static_selectorELNS0_4arch9wavefront6targetE1EEEvSA_
    .private_segment_fixed_size: 0
    .sgpr_count:     23
    .sgpr_spill_count: 0
    .symbol:         _ZN7rocprim17ROCPRIM_400000_NS6detail17trampoline_kernelINS0_14default_configENS1_35radix_sort_onesweep_config_selectorIiiEEZNS1_34radix_sort_onesweep_global_offsetsIS3_Lb0EPiS7_jNS0_19identity_decomposerEEE10hipError_tT1_T2_PT3_SC_jT4_jjP12ihipStream_tbEUlT_E_NS1_11comp_targetILNS1_3genE4ELNS1_11target_archE910ELNS1_3gpuE8ELNS1_3repE0EEENS1_52radix_sort_onesweep_histogram_config_static_selectorELNS0_4arch9wavefront6targetE1EEEvSA_.kd
    .uniform_work_group_size: 1
    .uses_dynamic_stack: false
    .vgpr_count:     35
    .vgpr_spill_count: 0
    .wavefront_size: 64
  - .agpr_count:     0
    .args:
      - .offset:         0
        .size:           40
        .value_kind:     by_value
    .group_segment_fixed_size: 0
    .kernarg_segment_align: 8
    .kernarg_segment_size: 40
    .language:       OpenCL C
    .language_version:
      - 2
      - 0
    .max_flat_workgroup_size: 256
    .name:           _ZN7rocprim17ROCPRIM_400000_NS6detail17trampoline_kernelINS0_14default_configENS1_35radix_sort_onesweep_config_selectorIiiEEZNS1_34radix_sort_onesweep_global_offsetsIS3_Lb0EPiS7_jNS0_19identity_decomposerEEE10hipError_tT1_T2_PT3_SC_jT4_jjP12ihipStream_tbEUlT_E_NS1_11comp_targetILNS1_3genE3ELNS1_11target_archE908ELNS1_3gpuE7ELNS1_3repE0EEENS1_52radix_sort_onesweep_histogram_config_static_selectorELNS0_4arch9wavefront6targetE1EEEvSA_
    .private_segment_fixed_size: 0
    .sgpr_count:     4
    .sgpr_spill_count: 0
    .symbol:         _ZN7rocprim17ROCPRIM_400000_NS6detail17trampoline_kernelINS0_14default_configENS1_35radix_sort_onesweep_config_selectorIiiEEZNS1_34radix_sort_onesweep_global_offsetsIS3_Lb0EPiS7_jNS0_19identity_decomposerEEE10hipError_tT1_T2_PT3_SC_jT4_jjP12ihipStream_tbEUlT_E_NS1_11comp_targetILNS1_3genE3ELNS1_11target_archE908ELNS1_3gpuE7ELNS1_3repE0EEENS1_52radix_sort_onesweep_histogram_config_static_selectorELNS0_4arch9wavefront6targetE1EEEvSA_.kd
    .uniform_work_group_size: 1
    .uses_dynamic_stack: false
    .vgpr_count:     0
    .vgpr_spill_count: 0
    .wavefront_size: 64
  - .agpr_count:     0
    .args:
      - .offset:         0
        .size:           40
        .value_kind:     by_value
    .group_segment_fixed_size: 0
    .kernarg_segment_align: 8
    .kernarg_segment_size: 40
    .language:       OpenCL C
    .language_version:
      - 2
      - 0
    .max_flat_workgroup_size: 1024
    .name:           _ZN7rocprim17ROCPRIM_400000_NS6detail17trampoline_kernelINS0_14default_configENS1_35radix_sort_onesweep_config_selectorIiiEEZNS1_34radix_sort_onesweep_global_offsetsIS3_Lb0EPiS7_jNS0_19identity_decomposerEEE10hipError_tT1_T2_PT3_SC_jT4_jjP12ihipStream_tbEUlT_E_NS1_11comp_targetILNS1_3genE10ELNS1_11target_archE1201ELNS1_3gpuE5ELNS1_3repE0EEENS1_52radix_sort_onesweep_histogram_config_static_selectorELNS0_4arch9wavefront6targetE1EEEvSA_
    .private_segment_fixed_size: 0
    .sgpr_count:     4
    .sgpr_spill_count: 0
    .symbol:         _ZN7rocprim17ROCPRIM_400000_NS6detail17trampoline_kernelINS0_14default_configENS1_35radix_sort_onesweep_config_selectorIiiEEZNS1_34radix_sort_onesweep_global_offsetsIS3_Lb0EPiS7_jNS0_19identity_decomposerEEE10hipError_tT1_T2_PT3_SC_jT4_jjP12ihipStream_tbEUlT_E_NS1_11comp_targetILNS1_3genE10ELNS1_11target_archE1201ELNS1_3gpuE5ELNS1_3repE0EEENS1_52radix_sort_onesweep_histogram_config_static_selectorELNS0_4arch9wavefront6targetE1EEEvSA_.kd
    .uniform_work_group_size: 1
    .uses_dynamic_stack: false
    .vgpr_count:     0
    .vgpr_spill_count: 0
    .wavefront_size: 64
  - .agpr_count:     0
    .args:
      - .offset:         0
        .size:           40
        .value_kind:     by_value
    .group_segment_fixed_size: 0
    .kernarg_segment_align: 8
    .kernarg_segment_size: 40
    .language:       OpenCL C
    .language_version:
      - 2
      - 0
    .max_flat_workgroup_size: 1024
    .name:           _ZN7rocprim17ROCPRIM_400000_NS6detail17trampoline_kernelINS0_14default_configENS1_35radix_sort_onesweep_config_selectorIiiEEZNS1_34radix_sort_onesweep_global_offsetsIS3_Lb0EPiS7_jNS0_19identity_decomposerEEE10hipError_tT1_T2_PT3_SC_jT4_jjP12ihipStream_tbEUlT_E_NS1_11comp_targetILNS1_3genE9ELNS1_11target_archE1100ELNS1_3gpuE3ELNS1_3repE0EEENS1_52radix_sort_onesweep_histogram_config_static_selectorELNS0_4arch9wavefront6targetE1EEEvSA_
    .private_segment_fixed_size: 0
    .sgpr_count:     4
    .sgpr_spill_count: 0
    .symbol:         _ZN7rocprim17ROCPRIM_400000_NS6detail17trampoline_kernelINS0_14default_configENS1_35radix_sort_onesweep_config_selectorIiiEEZNS1_34radix_sort_onesweep_global_offsetsIS3_Lb0EPiS7_jNS0_19identity_decomposerEEE10hipError_tT1_T2_PT3_SC_jT4_jjP12ihipStream_tbEUlT_E_NS1_11comp_targetILNS1_3genE9ELNS1_11target_archE1100ELNS1_3gpuE3ELNS1_3repE0EEENS1_52radix_sort_onesweep_histogram_config_static_selectorELNS0_4arch9wavefront6targetE1EEEvSA_.kd
    .uniform_work_group_size: 1
    .uses_dynamic_stack: false
    .vgpr_count:     0
    .vgpr_spill_count: 0
    .wavefront_size: 64
  - .agpr_count:     0
    .args:
      - .offset:         0
        .size:           40
        .value_kind:     by_value
    .group_segment_fixed_size: 0
    .kernarg_segment_align: 8
    .kernarg_segment_size: 40
    .language:       OpenCL C
    .language_version:
      - 2
      - 0
    .max_flat_workgroup_size: 1024
    .name:           _ZN7rocprim17ROCPRIM_400000_NS6detail17trampoline_kernelINS0_14default_configENS1_35radix_sort_onesweep_config_selectorIiiEEZNS1_34radix_sort_onesweep_global_offsetsIS3_Lb0EPiS7_jNS0_19identity_decomposerEEE10hipError_tT1_T2_PT3_SC_jT4_jjP12ihipStream_tbEUlT_E_NS1_11comp_targetILNS1_3genE8ELNS1_11target_archE1030ELNS1_3gpuE2ELNS1_3repE0EEENS1_52radix_sort_onesweep_histogram_config_static_selectorELNS0_4arch9wavefront6targetE1EEEvSA_
    .private_segment_fixed_size: 0
    .sgpr_count:     4
    .sgpr_spill_count: 0
    .symbol:         _ZN7rocprim17ROCPRIM_400000_NS6detail17trampoline_kernelINS0_14default_configENS1_35radix_sort_onesweep_config_selectorIiiEEZNS1_34radix_sort_onesweep_global_offsetsIS3_Lb0EPiS7_jNS0_19identity_decomposerEEE10hipError_tT1_T2_PT3_SC_jT4_jjP12ihipStream_tbEUlT_E_NS1_11comp_targetILNS1_3genE8ELNS1_11target_archE1030ELNS1_3gpuE2ELNS1_3repE0EEENS1_52radix_sort_onesweep_histogram_config_static_selectorELNS0_4arch9wavefront6targetE1EEEvSA_.kd
    .uniform_work_group_size: 1
    .uses_dynamic_stack: false
    .vgpr_count:     0
    .vgpr_spill_count: 0
    .wavefront_size: 64
  - .agpr_count:     0
    .args:
      - .address_space:  global
        .offset:         0
        .size:           8
        .value_kind:     global_buffer
    .group_segment_fixed_size: 0
    .kernarg_segment_align: 8
    .kernarg_segment_size: 8
    .language:       OpenCL C
    .language_version:
      - 2
      - 0
    .max_flat_workgroup_size: 256
    .name:           _ZN7rocprim17ROCPRIM_400000_NS6detail17trampoline_kernelINS0_14default_configENS1_35radix_sort_onesweep_config_selectorIiiEEZNS1_34radix_sort_onesweep_global_offsetsIS3_Lb0EPiS7_jNS0_19identity_decomposerEEE10hipError_tT1_T2_PT3_SC_jT4_jjP12ihipStream_tbEUlT_E0_NS1_11comp_targetILNS1_3genE0ELNS1_11target_archE4294967295ELNS1_3gpuE0ELNS1_3repE0EEENS1_52radix_sort_onesweep_histogram_config_static_selectorELNS0_4arch9wavefront6targetE1EEEvSA_
    .private_segment_fixed_size: 0
    .sgpr_count:     4
    .sgpr_spill_count: 0
    .symbol:         _ZN7rocprim17ROCPRIM_400000_NS6detail17trampoline_kernelINS0_14default_configENS1_35radix_sort_onesweep_config_selectorIiiEEZNS1_34radix_sort_onesweep_global_offsetsIS3_Lb0EPiS7_jNS0_19identity_decomposerEEE10hipError_tT1_T2_PT3_SC_jT4_jjP12ihipStream_tbEUlT_E0_NS1_11comp_targetILNS1_3genE0ELNS1_11target_archE4294967295ELNS1_3gpuE0ELNS1_3repE0EEENS1_52radix_sort_onesweep_histogram_config_static_selectorELNS0_4arch9wavefront6targetE1EEEvSA_.kd
    .uniform_work_group_size: 1
    .uses_dynamic_stack: false
    .vgpr_count:     0
    .vgpr_spill_count: 0
    .wavefront_size: 64
  - .agpr_count:     0
    .args:
      - .address_space:  global
        .offset:         0
        .size:           8
        .value_kind:     global_buffer
    .group_segment_fixed_size: 0
    .kernarg_segment_align: 8
    .kernarg_segment_size: 8
    .language:       OpenCL C
    .language_version:
      - 2
      - 0
    .max_flat_workgroup_size: 1024
    .name:           _ZN7rocprim17ROCPRIM_400000_NS6detail17trampoline_kernelINS0_14default_configENS1_35radix_sort_onesweep_config_selectorIiiEEZNS1_34radix_sort_onesweep_global_offsetsIS3_Lb0EPiS7_jNS0_19identity_decomposerEEE10hipError_tT1_T2_PT3_SC_jT4_jjP12ihipStream_tbEUlT_E0_NS1_11comp_targetILNS1_3genE6ELNS1_11target_archE950ELNS1_3gpuE13ELNS1_3repE0EEENS1_52radix_sort_onesweep_histogram_config_static_selectorELNS0_4arch9wavefront6targetE1EEEvSA_
    .private_segment_fixed_size: 0
    .sgpr_count:     4
    .sgpr_spill_count: 0
    .symbol:         _ZN7rocprim17ROCPRIM_400000_NS6detail17trampoline_kernelINS0_14default_configENS1_35radix_sort_onesweep_config_selectorIiiEEZNS1_34radix_sort_onesweep_global_offsetsIS3_Lb0EPiS7_jNS0_19identity_decomposerEEE10hipError_tT1_T2_PT3_SC_jT4_jjP12ihipStream_tbEUlT_E0_NS1_11comp_targetILNS1_3genE6ELNS1_11target_archE950ELNS1_3gpuE13ELNS1_3repE0EEENS1_52radix_sort_onesweep_histogram_config_static_selectorELNS0_4arch9wavefront6targetE1EEEvSA_.kd
    .uniform_work_group_size: 1
    .uses_dynamic_stack: false
    .vgpr_count:     0
    .vgpr_spill_count: 0
    .wavefront_size: 64
  - .agpr_count:     0
    .args:
      - .address_space:  global
        .offset:         0
        .size:           8
        .value_kind:     global_buffer
    .group_segment_fixed_size: 0
    .kernarg_segment_align: 8
    .kernarg_segment_size: 8
    .language:       OpenCL C
    .language_version:
      - 2
      - 0
    .max_flat_workgroup_size: 1024
    .name:           _ZN7rocprim17ROCPRIM_400000_NS6detail17trampoline_kernelINS0_14default_configENS1_35radix_sort_onesweep_config_selectorIiiEEZNS1_34radix_sort_onesweep_global_offsetsIS3_Lb0EPiS7_jNS0_19identity_decomposerEEE10hipError_tT1_T2_PT3_SC_jT4_jjP12ihipStream_tbEUlT_E0_NS1_11comp_targetILNS1_3genE5ELNS1_11target_archE942ELNS1_3gpuE9ELNS1_3repE0EEENS1_52radix_sort_onesweep_histogram_config_static_selectorELNS0_4arch9wavefront6targetE1EEEvSA_
    .private_segment_fixed_size: 0
    .sgpr_count:     4
    .sgpr_spill_count: 0
    .symbol:         _ZN7rocprim17ROCPRIM_400000_NS6detail17trampoline_kernelINS0_14default_configENS1_35radix_sort_onesweep_config_selectorIiiEEZNS1_34radix_sort_onesweep_global_offsetsIS3_Lb0EPiS7_jNS0_19identity_decomposerEEE10hipError_tT1_T2_PT3_SC_jT4_jjP12ihipStream_tbEUlT_E0_NS1_11comp_targetILNS1_3genE5ELNS1_11target_archE942ELNS1_3gpuE9ELNS1_3repE0EEENS1_52radix_sort_onesweep_histogram_config_static_selectorELNS0_4arch9wavefront6targetE1EEEvSA_.kd
    .uniform_work_group_size: 1
    .uses_dynamic_stack: false
    .vgpr_count:     0
    .vgpr_spill_count: 0
    .wavefront_size: 64
  - .agpr_count:     0
    .args:
      - .address_space:  global
        .offset:         0
        .size:           8
        .value_kind:     global_buffer
    .group_segment_fixed_size: 0
    .kernarg_segment_align: 8
    .kernarg_segment_size: 8
    .language:       OpenCL C
    .language_version:
      - 2
      - 0
    .max_flat_workgroup_size: 512
    .name:           _ZN7rocprim17ROCPRIM_400000_NS6detail17trampoline_kernelINS0_14default_configENS1_35radix_sort_onesweep_config_selectorIiiEEZNS1_34radix_sort_onesweep_global_offsetsIS3_Lb0EPiS7_jNS0_19identity_decomposerEEE10hipError_tT1_T2_PT3_SC_jT4_jjP12ihipStream_tbEUlT_E0_NS1_11comp_targetILNS1_3genE2ELNS1_11target_archE906ELNS1_3gpuE6ELNS1_3repE0EEENS1_52radix_sort_onesweep_histogram_config_static_selectorELNS0_4arch9wavefront6targetE1EEEvSA_
    .private_segment_fixed_size: 0
    .sgpr_count:     4
    .sgpr_spill_count: 0
    .symbol:         _ZN7rocprim17ROCPRIM_400000_NS6detail17trampoline_kernelINS0_14default_configENS1_35radix_sort_onesweep_config_selectorIiiEEZNS1_34radix_sort_onesweep_global_offsetsIS3_Lb0EPiS7_jNS0_19identity_decomposerEEE10hipError_tT1_T2_PT3_SC_jT4_jjP12ihipStream_tbEUlT_E0_NS1_11comp_targetILNS1_3genE2ELNS1_11target_archE906ELNS1_3gpuE6ELNS1_3repE0EEENS1_52radix_sort_onesweep_histogram_config_static_selectorELNS0_4arch9wavefront6targetE1EEEvSA_.kd
    .uniform_work_group_size: 1
    .uses_dynamic_stack: false
    .vgpr_count:     0
    .vgpr_spill_count: 0
    .wavefront_size: 64
  - .agpr_count:     0
    .args:
      - .address_space:  global
        .offset:         0
        .size:           8
        .value_kind:     global_buffer
    .group_segment_fixed_size: 32
    .kernarg_segment_align: 8
    .kernarg_segment_size: 8
    .language:       OpenCL C
    .language_version:
      - 2
      - 0
    .max_flat_workgroup_size: 512
    .name:           _ZN7rocprim17ROCPRIM_400000_NS6detail17trampoline_kernelINS0_14default_configENS1_35radix_sort_onesweep_config_selectorIiiEEZNS1_34radix_sort_onesweep_global_offsetsIS3_Lb0EPiS7_jNS0_19identity_decomposerEEE10hipError_tT1_T2_PT3_SC_jT4_jjP12ihipStream_tbEUlT_E0_NS1_11comp_targetILNS1_3genE4ELNS1_11target_archE910ELNS1_3gpuE8ELNS1_3repE0EEENS1_52radix_sort_onesweep_histogram_config_static_selectorELNS0_4arch9wavefront6targetE1EEEvSA_
    .private_segment_fixed_size: 0
    .sgpr_count:     11
    .sgpr_spill_count: 0
    .symbol:         _ZN7rocprim17ROCPRIM_400000_NS6detail17trampoline_kernelINS0_14default_configENS1_35radix_sort_onesweep_config_selectorIiiEEZNS1_34radix_sort_onesweep_global_offsetsIS3_Lb0EPiS7_jNS0_19identity_decomposerEEE10hipError_tT1_T2_PT3_SC_jT4_jjP12ihipStream_tbEUlT_E0_NS1_11comp_targetILNS1_3genE4ELNS1_11target_archE910ELNS1_3gpuE8ELNS1_3repE0EEENS1_52radix_sort_onesweep_histogram_config_static_selectorELNS0_4arch9wavefront6targetE1EEEvSA_.kd
    .uniform_work_group_size: 1
    .uses_dynamic_stack: false
    .vgpr_count:     8
    .vgpr_spill_count: 0
    .wavefront_size: 64
  - .agpr_count:     0
    .args:
      - .address_space:  global
        .offset:         0
        .size:           8
        .value_kind:     global_buffer
    .group_segment_fixed_size: 0
    .kernarg_segment_align: 8
    .kernarg_segment_size: 8
    .language:       OpenCL C
    .language_version:
      - 2
      - 0
    .max_flat_workgroup_size: 256
    .name:           _ZN7rocprim17ROCPRIM_400000_NS6detail17trampoline_kernelINS0_14default_configENS1_35radix_sort_onesweep_config_selectorIiiEEZNS1_34radix_sort_onesweep_global_offsetsIS3_Lb0EPiS7_jNS0_19identity_decomposerEEE10hipError_tT1_T2_PT3_SC_jT4_jjP12ihipStream_tbEUlT_E0_NS1_11comp_targetILNS1_3genE3ELNS1_11target_archE908ELNS1_3gpuE7ELNS1_3repE0EEENS1_52radix_sort_onesweep_histogram_config_static_selectorELNS0_4arch9wavefront6targetE1EEEvSA_
    .private_segment_fixed_size: 0
    .sgpr_count:     4
    .sgpr_spill_count: 0
    .symbol:         _ZN7rocprim17ROCPRIM_400000_NS6detail17trampoline_kernelINS0_14default_configENS1_35radix_sort_onesweep_config_selectorIiiEEZNS1_34radix_sort_onesweep_global_offsetsIS3_Lb0EPiS7_jNS0_19identity_decomposerEEE10hipError_tT1_T2_PT3_SC_jT4_jjP12ihipStream_tbEUlT_E0_NS1_11comp_targetILNS1_3genE3ELNS1_11target_archE908ELNS1_3gpuE7ELNS1_3repE0EEENS1_52radix_sort_onesweep_histogram_config_static_selectorELNS0_4arch9wavefront6targetE1EEEvSA_.kd
    .uniform_work_group_size: 1
    .uses_dynamic_stack: false
    .vgpr_count:     0
    .vgpr_spill_count: 0
    .wavefront_size: 64
  - .agpr_count:     0
    .args:
      - .address_space:  global
        .offset:         0
        .size:           8
        .value_kind:     global_buffer
    .group_segment_fixed_size: 0
    .kernarg_segment_align: 8
    .kernarg_segment_size: 8
    .language:       OpenCL C
    .language_version:
      - 2
      - 0
    .max_flat_workgroup_size: 1024
    .name:           _ZN7rocprim17ROCPRIM_400000_NS6detail17trampoline_kernelINS0_14default_configENS1_35radix_sort_onesweep_config_selectorIiiEEZNS1_34radix_sort_onesweep_global_offsetsIS3_Lb0EPiS7_jNS0_19identity_decomposerEEE10hipError_tT1_T2_PT3_SC_jT4_jjP12ihipStream_tbEUlT_E0_NS1_11comp_targetILNS1_3genE10ELNS1_11target_archE1201ELNS1_3gpuE5ELNS1_3repE0EEENS1_52radix_sort_onesweep_histogram_config_static_selectorELNS0_4arch9wavefront6targetE1EEEvSA_
    .private_segment_fixed_size: 0
    .sgpr_count:     4
    .sgpr_spill_count: 0
    .symbol:         _ZN7rocprim17ROCPRIM_400000_NS6detail17trampoline_kernelINS0_14default_configENS1_35radix_sort_onesweep_config_selectorIiiEEZNS1_34radix_sort_onesweep_global_offsetsIS3_Lb0EPiS7_jNS0_19identity_decomposerEEE10hipError_tT1_T2_PT3_SC_jT4_jjP12ihipStream_tbEUlT_E0_NS1_11comp_targetILNS1_3genE10ELNS1_11target_archE1201ELNS1_3gpuE5ELNS1_3repE0EEENS1_52radix_sort_onesweep_histogram_config_static_selectorELNS0_4arch9wavefront6targetE1EEEvSA_.kd
    .uniform_work_group_size: 1
    .uses_dynamic_stack: false
    .vgpr_count:     0
    .vgpr_spill_count: 0
    .wavefront_size: 64
  - .agpr_count:     0
    .args:
      - .address_space:  global
        .offset:         0
        .size:           8
        .value_kind:     global_buffer
    .group_segment_fixed_size: 0
    .kernarg_segment_align: 8
    .kernarg_segment_size: 8
    .language:       OpenCL C
    .language_version:
      - 2
      - 0
    .max_flat_workgroup_size: 1024
    .name:           _ZN7rocprim17ROCPRIM_400000_NS6detail17trampoline_kernelINS0_14default_configENS1_35radix_sort_onesweep_config_selectorIiiEEZNS1_34radix_sort_onesweep_global_offsetsIS3_Lb0EPiS7_jNS0_19identity_decomposerEEE10hipError_tT1_T2_PT3_SC_jT4_jjP12ihipStream_tbEUlT_E0_NS1_11comp_targetILNS1_3genE9ELNS1_11target_archE1100ELNS1_3gpuE3ELNS1_3repE0EEENS1_52radix_sort_onesweep_histogram_config_static_selectorELNS0_4arch9wavefront6targetE1EEEvSA_
    .private_segment_fixed_size: 0
    .sgpr_count:     4
    .sgpr_spill_count: 0
    .symbol:         _ZN7rocprim17ROCPRIM_400000_NS6detail17trampoline_kernelINS0_14default_configENS1_35radix_sort_onesweep_config_selectorIiiEEZNS1_34radix_sort_onesweep_global_offsetsIS3_Lb0EPiS7_jNS0_19identity_decomposerEEE10hipError_tT1_T2_PT3_SC_jT4_jjP12ihipStream_tbEUlT_E0_NS1_11comp_targetILNS1_3genE9ELNS1_11target_archE1100ELNS1_3gpuE3ELNS1_3repE0EEENS1_52radix_sort_onesweep_histogram_config_static_selectorELNS0_4arch9wavefront6targetE1EEEvSA_.kd
    .uniform_work_group_size: 1
    .uses_dynamic_stack: false
    .vgpr_count:     0
    .vgpr_spill_count: 0
    .wavefront_size: 64
  - .agpr_count:     0
    .args:
      - .address_space:  global
        .offset:         0
        .size:           8
        .value_kind:     global_buffer
    .group_segment_fixed_size: 0
    .kernarg_segment_align: 8
    .kernarg_segment_size: 8
    .language:       OpenCL C
    .language_version:
      - 2
      - 0
    .max_flat_workgroup_size: 1024
    .name:           _ZN7rocprim17ROCPRIM_400000_NS6detail17trampoline_kernelINS0_14default_configENS1_35radix_sort_onesweep_config_selectorIiiEEZNS1_34radix_sort_onesweep_global_offsetsIS3_Lb0EPiS7_jNS0_19identity_decomposerEEE10hipError_tT1_T2_PT3_SC_jT4_jjP12ihipStream_tbEUlT_E0_NS1_11comp_targetILNS1_3genE8ELNS1_11target_archE1030ELNS1_3gpuE2ELNS1_3repE0EEENS1_52radix_sort_onesweep_histogram_config_static_selectorELNS0_4arch9wavefront6targetE1EEEvSA_
    .private_segment_fixed_size: 0
    .sgpr_count:     4
    .sgpr_spill_count: 0
    .symbol:         _ZN7rocprim17ROCPRIM_400000_NS6detail17trampoline_kernelINS0_14default_configENS1_35radix_sort_onesweep_config_selectorIiiEEZNS1_34radix_sort_onesweep_global_offsetsIS3_Lb0EPiS7_jNS0_19identity_decomposerEEE10hipError_tT1_T2_PT3_SC_jT4_jjP12ihipStream_tbEUlT_E0_NS1_11comp_targetILNS1_3genE8ELNS1_11target_archE1030ELNS1_3gpuE2ELNS1_3repE0EEENS1_52radix_sort_onesweep_histogram_config_static_selectorELNS0_4arch9wavefront6targetE1EEEvSA_.kd
    .uniform_work_group_size: 1
    .uses_dynamic_stack: false
    .vgpr_count:     0
    .vgpr_spill_count: 0
    .wavefront_size: 64
  - .agpr_count:     0
    .args:
      - .offset:         0
        .size:           88
        .value_kind:     by_value
    .group_segment_fixed_size: 0
    .kernarg_segment_align: 8
    .kernarg_segment_size: 88
    .language:       OpenCL C
    .language_version:
      - 2
      - 0
    .max_flat_workgroup_size: 256
    .name:           _ZN7rocprim17ROCPRIM_400000_NS6detail17trampoline_kernelINS0_14default_configENS1_35radix_sort_onesweep_config_selectorIiiEEZZNS1_29radix_sort_onesweep_iterationIS3_Lb0EPiS7_S7_S7_jNS0_19identity_decomposerENS1_16block_id_wrapperIjLb1EEEEE10hipError_tT1_PNSt15iterator_traitsISC_E10value_typeET2_T3_PNSD_ISI_E10value_typeET4_T5_PSN_SO_PNS1_23onesweep_lookback_stateEbbT6_jjT7_P12ihipStream_tbENKUlT_T0_SC_SH_E_clIS7_S7_S7_S7_EEDaSV_SW_SC_SH_EUlSV_E_NS1_11comp_targetILNS1_3genE0ELNS1_11target_archE4294967295ELNS1_3gpuE0ELNS1_3repE0EEENS1_47radix_sort_onesweep_sort_config_static_selectorELNS0_4arch9wavefront6targetE1EEEvSC_
    .private_segment_fixed_size: 0
    .sgpr_count:     4
    .sgpr_spill_count: 0
    .symbol:         _ZN7rocprim17ROCPRIM_400000_NS6detail17trampoline_kernelINS0_14default_configENS1_35radix_sort_onesweep_config_selectorIiiEEZZNS1_29radix_sort_onesweep_iterationIS3_Lb0EPiS7_S7_S7_jNS0_19identity_decomposerENS1_16block_id_wrapperIjLb1EEEEE10hipError_tT1_PNSt15iterator_traitsISC_E10value_typeET2_T3_PNSD_ISI_E10value_typeET4_T5_PSN_SO_PNS1_23onesweep_lookback_stateEbbT6_jjT7_P12ihipStream_tbENKUlT_T0_SC_SH_E_clIS7_S7_S7_S7_EEDaSV_SW_SC_SH_EUlSV_E_NS1_11comp_targetILNS1_3genE0ELNS1_11target_archE4294967295ELNS1_3gpuE0ELNS1_3repE0EEENS1_47radix_sort_onesweep_sort_config_static_selectorELNS0_4arch9wavefront6targetE1EEEvSC_.kd
    .uniform_work_group_size: 1
    .uses_dynamic_stack: false
    .vgpr_count:     0
    .vgpr_spill_count: 0
    .wavefront_size: 64
  - .agpr_count:     0
    .args:
      - .offset:         0
        .size:           88
        .value_kind:     by_value
    .group_segment_fixed_size: 0
    .kernarg_segment_align: 8
    .kernarg_segment_size: 88
    .language:       OpenCL C
    .language_version:
      - 2
      - 0
    .max_flat_workgroup_size: 1024
    .name:           _ZN7rocprim17ROCPRIM_400000_NS6detail17trampoline_kernelINS0_14default_configENS1_35radix_sort_onesweep_config_selectorIiiEEZZNS1_29radix_sort_onesweep_iterationIS3_Lb0EPiS7_S7_S7_jNS0_19identity_decomposerENS1_16block_id_wrapperIjLb1EEEEE10hipError_tT1_PNSt15iterator_traitsISC_E10value_typeET2_T3_PNSD_ISI_E10value_typeET4_T5_PSN_SO_PNS1_23onesweep_lookback_stateEbbT6_jjT7_P12ihipStream_tbENKUlT_T0_SC_SH_E_clIS7_S7_S7_S7_EEDaSV_SW_SC_SH_EUlSV_E_NS1_11comp_targetILNS1_3genE6ELNS1_11target_archE950ELNS1_3gpuE13ELNS1_3repE0EEENS1_47radix_sort_onesweep_sort_config_static_selectorELNS0_4arch9wavefront6targetE1EEEvSC_
    .private_segment_fixed_size: 0
    .sgpr_count:     4
    .sgpr_spill_count: 0
    .symbol:         _ZN7rocprim17ROCPRIM_400000_NS6detail17trampoline_kernelINS0_14default_configENS1_35radix_sort_onesweep_config_selectorIiiEEZZNS1_29radix_sort_onesweep_iterationIS3_Lb0EPiS7_S7_S7_jNS0_19identity_decomposerENS1_16block_id_wrapperIjLb1EEEEE10hipError_tT1_PNSt15iterator_traitsISC_E10value_typeET2_T3_PNSD_ISI_E10value_typeET4_T5_PSN_SO_PNS1_23onesweep_lookback_stateEbbT6_jjT7_P12ihipStream_tbENKUlT_T0_SC_SH_E_clIS7_S7_S7_S7_EEDaSV_SW_SC_SH_EUlSV_E_NS1_11comp_targetILNS1_3genE6ELNS1_11target_archE950ELNS1_3gpuE13ELNS1_3repE0EEENS1_47radix_sort_onesweep_sort_config_static_selectorELNS0_4arch9wavefront6targetE1EEEvSC_.kd
    .uniform_work_group_size: 1
    .uses_dynamic_stack: false
    .vgpr_count:     0
    .vgpr_spill_count: 0
    .wavefront_size: 64
  - .agpr_count:     0
    .args:
      - .offset:         0
        .size:           88
        .value_kind:     by_value
    .group_segment_fixed_size: 0
    .kernarg_segment_align: 8
    .kernarg_segment_size: 88
    .language:       OpenCL C
    .language_version:
      - 2
      - 0
    .max_flat_workgroup_size: 1024
    .name:           _ZN7rocprim17ROCPRIM_400000_NS6detail17trampoline_kernelINS0_14default_configENS1_35radix_sort_onesweep_config_selectorIiiEEZZNS1_29radix_sort_onesweep_iterationIS3_Lb0EPiS7_S7_S7_jNS0_19identity_decomposerENS1_16block_id_wrapperIjLb1EEEEE10hipError_tT1_PNSt15iterator_traitsISC_E10value_typeET2_T3_PNSD_ISI_E10value_typeET4_T5_PSN_SO_PNS1_23onesweep_lookback_stateEbbT6_jjT7_P12ihipStream_tbENKUlT_T0_SC_SH_E_clIS7_S7_S7_S7_EEDaSV_SW_SC_SH_EUlSV_E_NS1_11comp_targetILNS1_3genE5ELNS1_11target_archE942ELNS1_3gpuE9ELNS1_3repE0EEENS1_47radix_sort_onesweep_sort_config_static_selectorELNS0_4arch9wavefront6targetE1EEEvSC_
    .private_segment_fixed_size: 0
    .sgpr_count:     4
    .sgpr_spill_count: 0
    .symbol:         _ZN7rocprim17ROCPRIM_400000_NS6detail17trampoline_kernelINS0_14default_configENS1_35radix_sort_onesweep_config_selectorIiiEEZZNS1_29radix_sort_onesweep_iterationIS3_Lb0EPiS7_S7_S7_jNS0_19identity_decomposerENS1_16block_id_wrapperIjLb1EEEEE10hipError_tT1_PNSt15iterator_traitsISC_E10value_typeET2_T3_PNSD_ISI_E10value_typeET4_T5_PSN_SO_PNS1_23onesweep_lookback_stateEbbT6_jjT7_P12ihipStream_tbENKUlT_T0_SC_SH_E_clIS7_S7_S7_S7_EEDaSV_SW_SC_SH_EUlSV_E_NS1_11comp_targetILNS1_3genE5ELNS1_11target_archE942ELNS1_3gpuE9ELNS1_3repE0EEENS1_47radix_sort_onesweep_sort_config_static_selectorELNS0_4arch9wavefront6targetE1EEEvSC_.kd
    .uniform_work_group_size: 1
    .uses_dynamic_stack: false
    .vgpr_count:     0
    .vgpr_spill_count: 0
    .wavefront_size: 64
  - .agpr_count:     0
    .args:
      - .offset:         0
        .size:           88
        .value_kind:     by_value
    .group_segment_fixed_size: 0
    .kernarg_segment_align: 8
    .kernarg_segment_size: 88
    .language:       OpenCL C
    .language_version:
      - 2
      - 0
    .max_flat_workgroup_size: 512
    .name:           _ZN7rocprim17ROCPRIM_400000_NS6detail17trampoline_kernelINS0_14default_configENS1_35radix_sort_onesweep_config_selectorIiiEEZZNS1_29radix_sort_onesweep_iterationIS3_Lb0EPiS7_S7_S7_jNS0_19identity_decomposerENS1_16block_id_wrapperIjLb1EEEEE10hipError_tT1_PNSt15iterator_traitsISC_E10value_typeET2_T3_PNSD_ISI_E10value_typeET4_T5_PSN_SO_PNS1_23onesweep_lookback_stateEbbT6_jjT7_P12ihipStream_tbENKUlT_T0_SC_SH_E_clIS7_S7_S7_S7_EEDaSV_SW_SC_SH_EUlSV_E_NS1_11comp_targetILNS1_3genE2ELNS1_11target_archE906ELNS1_3gpuE6ELNS1_3repE0EEENS1_47radix_sort_onesweep_sort_config_static_selectorELNS0_4arch9wavefront6targetE1EEEvSC_
    .private_segment_fixed_size: 0
    .sgpr_count:     4
    .sgpr_spill_count: 0
    .symbol:         _ZN7rocprim17ROCPRIM_400000_NS6detail17trampoline_kernelINS0_14default_configENS1_35radix_sort_onesweep_config_selectorIiiEEZZNS1_29radix_sort_onesweep_iterationIS3_Lb0EPiS7_S7_S7_jNS0_19identity_decomposerENS1_16block_id_wrapperIjLb1EEEEE10hipError_tT1_PNSt15iterator_traitsISC_E10value_typeET2_T3_PNSD_ISI_E10value_typeET4_T5_PSN_SO_PNS1_23onesweep_lookback_stateEbbT6_jjT7_P12ihipStream_tbENKUlT_T0_SC_SH_E_clIS7_S7_S7_S7_EEDaSV_SW_SC_SH_EUlSV_E_NS1_11comp_targetILNS1_3genE2ELNS1_11target_archE906ELNS1_3gpuE6ELNS1_3repE0EEENS1_47radix_sort_onesweep_sort_config_static_selectorELNS0_4arch9wavefront6targetE1EEEvSC_.kd
    .uniform_work_group_size: 1
    .uses_dynamic_stack: false
    .vgpr_count:     0
    .vgpr_spill_count: 0
    .wavefront_size: 64
  - .agpr_count:     0
    .args:
      - .offset:         0
        .size:           88
        .value_kind:     by_value
      - .offset:         88
        .size:           4
        .value_kind:     hidden_block_count_x
      - .offset:         92
        .size:           4
        .value_kind:     hidden_block_count_y
      - .offset:         96
        .size:           4
        .value_kind:     hidden_block_count_z
      - .offset:         100
        .size:           2
        .value_kind:     hidden_group_size_x
      - .offset:         102
        .size:           2
        .value_kind:     hidden_group_size_y
      - .offset:         104
        .size:           2
        .value_kind:     hidden_group_size_z
      - .offset:         106
        .size:           2
        .value_kind:     hidden_remainder_x
      - .offset:         108
        .size:           2
        .value_kind:     hidden_remainder_y
      - .offset:         110
        .size:           2
        .value_kind:     hidden_remainder_z
      - .offset:         128
        .size:           8
        .value_kind:     hidden_global_offset_x
      - .offset:         136
        .size:           8
        .value_kind:     hidden_global_offset_y
      - .offset:         144
        .size:           8
        .value_kind:     hidden_global_offset_z
      - .offset:         152
        .size:           2
        .value_kind:     hidden_grid_dims
    .group_segment_fixed_size: 10280
    .kernarg_segment_align: 8
    .kernarg_segment_size: 344
    .language:       OpenCL C
    .language_version:
      - 2
      - 0
    .max_flat_workgroup_size: 512
    .name:           _ZN7rocprim17ROCPRIM_400000_NS6detail17trampoline_kernelINS0_14default_configENS1_35radix_sort_onesweep_config_selectorIiiEEZZNS1_29radix_sort_onesweep_iterationIS3_Lb0EPiS7_S7_S7_jNS0_19identity_decomposerENS1_16block_id_wrapperIjLb1EEEEE10hipError_tT1_PNSt15iterator_traitsISC_E10value_typeET2_T3_PNSD_ISI_E10value_typeET4_T5_PSN_SO_PNS1_23onesweep_lookback_stateEbbT6_jjT7_P12ihipStream_tbENKUlT_T0_SC_SH_E_clIS7_S7_S7_S7_EEDaSV_SW_SC_SH_EUlSV_E_NS1_11comp_targetILNS1_3genE4ELNS1_11target_archE910ELNS1_3gpuE8ELNS1_3repE0EEENS1_47radix_sort_onesweep_sort_config_static_selectorELNS0_4arch9wavefront6targetE1EEEvSC_
    .private_segment_fixed_size: 0
    .sgpr_count:     76
    .sgpr_spill_count: 0
    .symbol:         _ZN7rocprim17ROCPRIM_400000_NS6detail17trampoline_kernelINS0_14default_configENS1_35radix_sort_onesweep_config_selectorIiiEEZZNS1_29radix_sort_onesweep_iterationIS3_Lb0EPiS7_S7_S7_jNS0_19identity_decomposerENS1_16block_id_wrapperIjLb1EEEEE10hipError_tT1_PNSt15iterator_traitsISC_E10value_typeET2_T3_PNSD_ISI_E10value_typeET4_T5_PSN_SO_PNS1_23onesweep_lookback_stateEbbT6_jjT7_P12ihipStream_tbENKUlT_T0_SC_SH_E_clIS7_S7_S7_S7_EEDaSV_SW_SC_SH_EUlSV_E_NS1_11comp_targetILNS1_3genE4ELNS1_11target_archE910ELNS1_3gpuE8ELNS1_3repE0EEENS1_47radix_sort_onesweep_sort_config_static_selectorELNS0_4arch9wavefront6targetE1EEEvSC_.kd
    .uniform_work_group_size: 1
    .uses_dynamic_stack: false
    .vgpr_count:     83
    .vgpr_spill_count: 0
    .wavefront_size: 64
  - .agpr_count:     0
    .args:
      - .offset:         0
        .size:           88
        .value_kind:     by_value
    .group_segment_fixed_size: 0
    .kernarg_segment_align: 8
    .kernarg_segment_size: 88
    .language:       OpenCL C
    .language_version:
      - 2
      - 0
    .max_flat_workgroup_size: 256
    .name:           _ZN7rocprim17ROCPRIM_400000_NS6detail17trampoline_kernelINS0_14default_configENS1_35radix_sort_onesweep_config_selectorIiiEEZZNS1_29radix_sort_onesweep_iterationIS3_Lb0EPiS7_S7_S7_jNS0_19identity_decomposerENS1_16block_id_wrapperIjLb1EEEEE10hipError_tT1_PNSt15iterator_traitsISC_E10value_typeET2_T3_PNSD_ISI_E10value_typeET4_T5_PSN_SO_PNS1_23onesweep_lookback_stateEbbT6_jjT7_P12ihipStream_tbENKUlT_T0_SC_SH_E_clIS7_S7_S7_S7_EEDaSV_SW_SC_SH_EUlSV_E_NS1_11comp_targetILNS1_3genE3ELNS1_11target_archE908ELNS1_3gpuE7ELNS1_3repE0EEENS1_47radix_sort_onesweep_sort_config_static_selectorELNS0_4arch9wavefront6targetE1EEEvSC_
    .private_segment_fixed_size: 0
    .sgpr_count:     4
    .sgpr_spill_count: 0
    .symbol:         _ZN7rocprim17ROCPRIM_400000_NS6detail17trampoline_kernelINS0_14default_configENS1_35radix_sort_onesweep_config_selectorIiiEEZZNS1_29radix_sort_onesweep_iterationIS3_Lb0EPiS7_S7_S7_jNS0_19identity_decomposerENS1_16block_id_wrapperIjLb1EEEEE10hipError_tT1_PNSt15iterator_traitsISC_E10value_typeET2_T3_PNSD_ISI_E10value_typeET4_T5_PSN_SO_PNS1_23onesweep_lookback_stateEbbT6_jjT7_P12ihipStream_tbENKUlT_T0_SC_SH_E_clIS7_S7_S7_S7_EEDaSV_SW_SC_SH_EUlSV_E_NS1_11comp_targetILNS1_3genE3ELNS1_11target_archE908ELNS1_3gpuE7ELNS1_3repE0EEENS1_47radix_sort_onesweep_sort_config_static_selectorELNS0_4arch9wavefront6targetE1EEEvSC_.kd
    .uniform_work_group_size: 1
    .uses_dynamic_stack: false
    .vgpr_count:     0
    .vgpr_spill_count: 0
    .wavefront_size: 64
  - .agpr_count:     0
    .args:
      - .offset:         0
        .size:           88
        .value_kind:     by_value
    .group_segment_fixed_size: 0
    .kernarg_segment_align: 8
    .kernarg_segment_size: 88
    .language:       OpenCL C
    .language_version:
      - 2
      - 0
    .max_flat_workgroup_size: 1024
    .name:           _ZN7rocprim17ROCPRIM_400000_NS6detail17trampoline_kernelINS0_14default_configENS1_35radix_sort_onesweep_config_selectorIiiEEZZNS1_29radix_sort_onesweep_iterationIS3_Lb0EPiS7_S7_S7_jNS0_19identity_decomposerENS1_16block_id_wrapperIjLb1EEEEE10hipError_tT1_PNSt15iterator_traitsISC_E10value_typeET2_T3_PNSD_ISI_E10value_typeET4_T5_PSN_SO_PNS1_23onesweep_lookback_stateEbbT6_jjT7_P12ihipStream_tbENKUlT_T0_SC_SH_E_clIS7_S7_S7_S7_EEDaSV_SW_SC_SH_EUlSV_E_NS1_11comp_targetILNS1_3genE10ELNS1_11target_archE1201ELNS1_3gpuE5ELNS1_3repE0EEENS1_47radix_sort_onesweep_sort_config_static_selectorELNS0_4arch9wavefront6targetE1EEEvSC_
    .private_segment_fixed_size: 0
    .sgpr_count:     4
    .sgpr_spill_count: 0
    .symbol:         _ZN7rocprim17ROCPRIM_400000_NS6detail17trampoline_kernelINS0_14default_configENS1_35radix_sort_onesweep_config_selectorIiiEEZZNS1_29radix_sort_onesweep_iterationIS3_Lb0EPiS7_S7_S7_jNS0_19identity_decomposerENS1_16block_id_wrapperIjLb1EEEEE10hipError_tT1_PNSt15iterator_traitsISC_E10value_typeET2_T3_PNSD_ISI_E10value_typeET4_T5_PSN_SO_PNS1_23onesweep_lookback_stateEbbT6_jjT7_P12ihipStream_tbENKUlT_T0_SC_SH_E_clIS7_S7_S7_S7_EEDaSV_SW_SC_SH_EUlSV_E_NS1_11comp_targetILNS1_3genE10ELNS1_11target_archE1201ELNS1_3gpuE5ELNS1_3repE0EEENS1_47radix_sort_onesweep_sort_config_static_selectorELNS0_4arch9wavefront6targetE1EEEvSC_.kd
    .uniform_work_group_size: 1
    .uses_dynamic_stack: false
    .vgpr_count:     0
    .vgpr_spill_count: 0
    .wavefront_size: 64
  - .agpr_count:     0
    .args:
      - .offset:         0
        .size:           88
        .value_kind:     by_value
    .group_segment_fixed_size: 0
    .kernarg_segment_align: 8
    .kernarg_segment_size: 88
    .language:       OpenCL C
    .language_version:
      - 2
      - 0
    .max_flat_workgroup_size: 1024
    .name:           _ZN7rocprim17ROCPRIM_400000_NS6detail17trampoline_kernelINS0_14default_configENS1_35radix_sort_onesweep_config_selectorIiiEEZZNS1_29radix_sort_onesweep_iterationIS3_Lb0EPiS7_S7_S7_jNS0_19identity_decomposerENS1_16block_id_wrapperIjLb1EEEEE10hipError_tT1_PNSt15iterator_traitsISC_E10value_typeET2_T3_PNSD_ISI_E10value_typeET4_T5_PSN_SO_PNS1_23onesweep_lookback_stateEbbT6_jjT7_P12ihipStream_tbENKUlT_T0_SC_SH_E_clIS7_S7_S7_S7_EEDaSV_SW_SC_SH_EUlSV_E_NS1_11comp_targetILNS1_3genE9ELNS1_11target_archE1100ELNS1_3gpuE3ELNS1_3repE0EEENS1_47radix_sort_onesweep_sort_config_static_selectorELNS0_4arch9wavefront6targetE1EEEvSC_
    .private_segment_fixed_size: 0
    .sgpr_count:     4
    .sgpr_spill_count: 0
    .symbol:         _ZN7rocprim17ROCPRIM_400000_NS6detail17trampoline_kernelINS0_14default_configENS1_35radix_sort_onesweep_config_selectorIiiEEZZNS1_29radix_sort_onesweep_iterationIS3_Lb0EPiS7_S7_S7_jNS0_19identity_decomposerENS1_16block_id_wrapperIjLb1EEEEE10hipError_tT1_PNSt15iterator_traitsISC_E10value_typeET2_T3_PNSD_ISI_E10value_typeET4_T5_PSN_SO_PNS1_23onesweep_lookback_stateEbbT6_jjT7_P12ihipStream_tbENKUlT_T0_SC_SH_E_clIS7_S7_S7_S7_EEDaSV_SW_SC_SH_EUlSV_E_NS1_11comp_targetILNS1_3genE9ELNS1_11target_archE1100ELNS1_3gpuE3ELNS1_3repE0EEENS1_47radix_sort_onesweep_sort_config_static_selectorELNS0_4arch9wavefront6targetE1EEEvSC_.kd
    .uniform_work_group_size: 1
    .uses_dynamic_stack: false
    .vgpr_count:     0
    .vgpr_spill_count: 0
    .wavefront_size: 64
  - .agpr_count:     0
    .args:
      - .offset:         0
        .size:           88
        .value_kind:     by_value
    .group_segment_fixed_size: 0
    .kernarg_segment_align: 8
    .kernarg_segment_size: 88
    .language:       OpenCL C
    .language_version:
      - 2
      - 0
    .max_flat_workgroup_size: 1024
    .name:           _ZN7rocprim17ROCPRIM_400000_NS6detail17trampoline_kernelINS0_14default_configENS1_35radix_sort_onesweep_config_selectorIiiEEZZNS1_29radix_sort_onesweep_iterationIS3_Lb0EPiS7_S7_S7_jNS0_19identity_decomposerENS1_16block_id_wrapperIjLb1EEEEE10hipError_tT1_PNSt15iterator_traitsISC_E10value_typeET2_T3_PNSD_ISI_E10value_typeET4_T5_PSN_SO_PNS1_23onesweep_lookback_stateEbbT6_jjT7_P12ihipStream_tbENKUlT_T0_SC_SH_E_clIS7_S7_S7_S7_EEDaSV_SW_SC_SH_EUlSV_E_NS1_11comp_targetILNS1_3genE8ELNS1_11target_archE1030ELNS1_3gpuE2ELNS1_3repE0EEENS1_47radix_sort_onesweep_sort_config_static_selectorELNS0_4arch9wavefront6targetE1EEEvSC_
    .private_segment_fixed_size: 0
    .sgpr_count:     4
    .sgpr_spill_count: 0
    .symbol:         _ZN7rocprim17ROCPRIM_400000_NS6detail17trampoline_kernelINS0_14default_configENS1_35radix_sort_onesweep_config_selectorIiiEEZZNS1_29radix_sort_onesweep_iterationIS3_Lb0EPiS7_S7_S7_jNS0_19identity_decomposerENS1_16block_id_wrapperIjLb1EEEEE10hipError_tT1_PNSt15iterator_traitsISC_E10value_typeET2_T3_PNSD_ISI_E10value_typeET4_T5_PSN_SO_PNS1_23onesweep_lookback_stateEbbT6_jjT7_P12ihipStream_tbENKUlT_T0_SC_SH_E_clIS7_S7_S7_S7_EEDaSV_SW_SC_SH_EUlSV_E_NS1_11comp_targetILNS1_3genE8ELNS1_11target_archE1030ELNS1_3gpuE2ELNS1_3repE0EEENS1_47radix_sort_onesweep_sort_config_static_selectorELNS0_4arch9wavefront6targetE1EEEvSC_.kd
    .uniform_work_group_size: 1
    .uses_dynamic_stack: false
    .vgpr_count:     0
    .vgpr_spill_count: 0
    .wavefront_size: 64
  - .agpr_count:     0
    .args:
      - .offset:         0
        .size:           88
        .value_kind:     by_value
    .group_segment_fixed_size: 0
    .kernarg_segment_align: 8
    .kernarg_segment_size: 88
    .language:       OpenCL C
    .language_version:
      - 2
      - 0
    .max_flat_workgroup_size: 256
    .name:           _ZN7rocprim17ROCPRIM_400000_NS6detail17trampoline_kernelINS0_14default_configENS1_35radix_sort_onesweep_config_selectorIiiEEZZNS1_29radix_sort_onesweep_iterationIS3_Lb0EPiS7_S7_S7_jNS0_19identity_decomposerENS1_16block_id_wrapperIjLb0EEEEE10hipError_tT1_PNSt15iterator_traitsISC_E10value_typeET2_T3_PNSD_ISI_E10value_typeET4_T5_PSN_SO_PNS1_23onesweep_lookback_stateEbbT6_jjT7_P12ihipStream_tbENKUlT_T0_SC_SH_E_clIS7_S7_S7_S7_EEDaSV_SW_SC_SH_EUlSV_E_NS1_11comp_targetILNS1_3genE0ELNS1_11target_archE4294967295ELNS1_3gpuE0ELNS1_3repE0EEENS1_47radix_sort_onesweep_sort_config_static_selectorELNS0_4arch9wavefront6targetE1EEEvSC_
    .private_segment_fixed_size: 0
    .sgpr_count:     4
    .sgpr_spill_count: 0
    .symbol:         _ZN7rocprim17ROCPRIM_400000_NS6detail17trampoline_kernelINS0_14default_configENS1_35radix_sort_onesweep_config_selectorIiiEEZZNS1_29radix_sort_onesweep_iterationIS3_Lb0EPiS7_S7_S7_jNS0_19identity_decomposerENS1_16block_id_wrapperIjLb0EEEEE10hipError_tT1_PNSt15iterator_traitsISC_E10value_typeET2_T3_PNSD_ISI_E10value_typeET4_T5_PSN_SO_PNS1_23onesweep_lookback_stateEbbT6_jjT7_P12ihipStream_tbENKUlT_T0_SC_SH_E_clIS7_S7_S7_S7_EEDaSV_SW_SC_SH_EUlSV_E_NS1_11comp_targetILNS1_3genE0ELNS1_11target_archE4294967295ELNS1_3gpuE0ELNS1_3repE0EEENS1_47radix_sort_onesweep_sort_config_static_selectorELNS0_4arch9wavefront6targetE1EEEvSC_.kd
    .uniform_work_group_size: 1
    .uses_dynamic_stack: false
    .vgpr_count:     0
    .vgpr_spill_count: 0
    .wavefront_size: 64
  - .agpr_count:     0
    .args:
      - .offset:         0
        .size:           88
        .value_kind:     by_value
    .group_segment_fixed_size: 0
    .kernarg_segment_align: 8
    .kernarg_segment_size: 88
    .language:       OpenCL C
    .language_version:
      - 2
      - 0
    .max_flat_workgroup_size: 1024
    .name:           _ZN7rocprim17ROCPRIM_400000_NS6detail17trampoline_kernelINS0_14default_configENS1_35radix_sort_onesweep_config_selectorIiiEEZZNS1_29radix_sort_onesweep_iterationIS3_Lb0EPiS7_S7_S7_jNS0_19identity_decomposerENS1_16block_id_wrapperIjLb0EEEEE10hipError_tT1_PNSt15iterator_traitsISC_E10value_typeET2_T3_PNSD_ISI_E10value_typeET4_T5_PSN_SO_PNS1_23onesweep_lookback_stateEbbT6_jjT7_P12ihipStream_tbENKUlT_T0_SC_SH_E_clIS7_S7_S7_S7_EEDaSV_SW_SC_SH_EUlSV_E_NS1_11comp_targetILNS1_3genE6ELNS1_11target_archE950ELNS1_3gpuE13ELNS1_3repE0EEENS1_47radix_sort_onesweep_sort_config_static_selectorELNS0_4arch9wavefront6targetE1EEEvSC_
    .private_segment_fixed_size: 0
    .sgpr_count:     4
    .sgpr_spill_count: 0
    .symbol:         _ZN7rocprim17ROCPRIM_400000_NS6detail17trampoline_kernelINS0_14default_configENS1_35radix_sort_onesweep_config_selectorIiiEEZZNS1_29radix_sort_onesweep_iterationIS3_Lb0EPiS7_S7_S7_jNS0_19identity_decomposerENS1_16block_id_wrapperIjLb0EEEEE10hipError_tT1_PNSt15iterator_traitsISC_E10value_typeET2_T3_PNSD_ISI_E10value_typeET4_T5_PSN_SO_PNS1_23onesweep_lookback_stateEbbT6_jjT7_P12ihipStream_tbENKUlT_T0_SC_SH_E_clIS7_S7_S7_S7_EEDaSV_SW_SC_SH_EUlSV_E_NS1_11comp_targetILNS1_3genE6ELNS1_11target_archE950ELNS1_3gpuE13ELNS1_3repE0EEENS1_47radix_sort_onesweep_sort_config_static_selectorELNS0_4arch9wavefront6targetE1EEEvSC_.kd
    .uniform_work_group_size: 1
    .uses_dynamic_stack: false
    .vgpr_count:     0
    .vgpr_spill_count: 0
    .wavefront_size: 64
  - .agpr_count:     0
    .args:
      - .offset:         0
        .size:           88
        .value_kind:     by_value
    .group_segment_fixed_size: 0
    .kernarg_segment_align: 8
    .kernarg_segment_size: 88
    .language:       OpenCL C
    .language_version:
      - 2
      - 0
    .max_flat_workgroup_size: 1024
    .name:           _ZN7rocprim17ROCPRIM_400000_NS6detail17trampoline_kernelINS0_14default_configENS1_35radix_sort_onesweep_config_selectorIiiEEZZNS1_29radix_sort_onesweep_iterationIS3_Lb0EPiS7_S7_S7_jNS0_19identity_decomposerENS1_16block_id_wrapperIjLb0EEEEE10hipError_tT1_PNSt15iterator_traitsISC_E10value_typeET2_T3_PNSD_ISI_E10value_typeET4_T5_PSN_SO_PNS1_23onesweep_lookback_stateEbbT6_jjT7_P12ihipStream_tbENKUlT_T0_SC_SH_E_clIS7_S7_S7_S7_EEDaSV_SW_SC_SH_EUlSV_E_NS1_11comp_targetILNS1_3genE5ELNS1_11target_archE942ELNS1_3gpuE9ELNS1_3repE0EEENS1_47radix_sort_onesweep_sort_config_static_selectorELNS0_4arch9wavefront6targetE1EEEvSC_
    .private_segment_fixed_size: 0
    .sgpr_count:     4
    .sgpr_spill_count: 0
    .symbol:         _ZN7rocprim17ROCPRIM_400000_NS6detail17trampoline_kernelINS0_14default_configENS1_35radix_sort_onesweep_config_selectorIiiEEZZNS1_29radix_sort_onesweep_iterationIS3_Lb0EPiS7_S7_S7_jNS0_19identity_decomposerENS1_16block_id_wrapperIjLb0EEEEE10hipError_tT1_PNSt15iterator_traitsISC_E10value_typeET2_T3_PNSD_ISI_E10value_typeET4_T5_PSN_SO_PNS1_23onesweep_lookback_stateEbbT6_jjT7_P12ihipStream_tbENKUlT_T0_SC_SH_E_clIS7_S7_S7_S7_EEDaSV_SW_SC_SH_EUlSV_E_NS1_11comp_targetILNS1_3genE5ELNS1_11target_archE942ELNS1_3gpuE9ELNS1_3repE0EEENS1_47radix_sort_onesweep_sort_config_static_selectorELNS0_4arch9wavefront6targetE1EEEvSC_.kd
    .uniform_work_group_size: 1
    .uses_dynamic_stack: false
    .vgpr_count:     0
    .vgpr_spill_count: 0
    .wavefront_size: 64
  - .agpr_count:     0
    .args:
      - .offset:         0
        .size:           88
        .value_kind:     by_value
    .group_segment_fixed_size: 0
    .kernarg_segment_align: 8
    .kernarg_segment_size: 88
    .language:       OpenCL C
    .language_version:
      - 2
      - 0
    .max_flat_workgroup_size: 512
    .name:           _ZN7rocprim17ROCPRIM_400000_NS6detail17trampoline_kernelINS0_14default_configENS1_35radix_sort_onesweep_config_selectorIiiEEZZNS1_29radix_sort_onesweep_iterationIS3_Lb0EPiS7_S7_S7_jNS0_19identity_decomposerENS1_16block_id_wrapperIjLb0EEEEE10hipError_tT1_PNSt15iterator_traitsISC_E10value_typeET2_T3_PNSD_ISI_E10value_typeET4_T5_PSN_SO_PNS1_23onesweep_lookback_stateEbbT6_jjT7_P12ihipStream_tbENKUlT_T0_SC_SH_E_clIS7_S7_S7_S7_EEDaSV_SW_SC_SH_EUlSV_E_NS1_11comp_targetILNS1_3genE2ELNS1_11target_archE906ELNS1_3gpuE6ELNS1_3repE0EEENS1_47radix_sort_onesweep_sort_config_static_selectorELNS0_4arch9wavefront6targetE1EEEvSC_
    .private_segment_fixed_size: 0
    .sgpr_count:     4
    .sgpr_spill_count: 0
    .symbol:         _ZN7rocprim17ROCPRIM_400000_NS6detail17trampoline_kernelINS0_14default_configENS1_35radix_sort_onesweep_config_selectorIiiEEZZNS1_29radix_sort_onesweep_iterationIS3_Lb0EPiS7_S7_S7_jNS0_19identity_decomposerENS1_16block_id_wrapperIjLb0EEEEE10hipError_tT1_PNSt15iterator_traitsISC_E10value_typeET2_T3_PNSD_ISI_E10value_typeET4_T5_PSN_SO_PNS1_23onesweep_lookback_stateEbbT6_jjT7_P12ihipStream_tbENKUlT_T0_SC_SH_E_clIS7_S7_S7_S7_EEDaSV_SW_SC_SH_EUlSV_E_NS1_11comp_targetILNS1_3genE2ELNS1_11target_archE906ELNS1_3gpuE6ELNS1_3repE0EEENS1_47radix_sort_onesweep_sort_config_static_selectorELNS0_4arch9wavefront6targetE1EEEvSC_.kd
    .uniform_work_group_size: 1
    .uses_dynamic_stack: false
    .vgpr_count:     0
    .vgpr_spill_count: 0
    .wavefront_size: 64
  - .agpr_count:     0
    .args:
      - .offset:         0
        .size:           88
        .value_kind:     by_value
      - .offset:         88
        .size:           4
        .value_kind:     hidden_block_count_x
      - .offset:         92
        .size:           4
        .value_kind:     hidden_block_count_y
      - .offset:         96
        .size:           4
        .value_kind:     hidden_block_count_z
      - .offset:         100
        .size:           2
        .value_kind:     hidden_group_size_x
      - .offset:         102
        .size:           2
        .value_kind:     hidden_group_size_y
      - .offset:         104
        .size:           2
        .value_kind:     hidden_group_size_z
      - .offset:         106
        .size:           2
        .value_kind:     hidden_remainder_x
      - .offset:         108
        .size:           2
        .value_kind:     hidden_remainder_y
      - .offset:         110
        .size:           2
        .value_kind:     hidden_remainder_z
      - .offset:         128
        .size:           8
        .value_kind:     hidden_global_offset_x
      - .offset:         136
        .size:           8
        .value_kind:     hidden_global_offset_y
      - .offset:         144
        .size:           8
        .value_kind:     hidden_global_offset_z
      - .offset:         152
        .size:           2
        .value_kind:     hidden_grid_dims
    .group_segment_fixed_size: 10280
    .kernarg_segment_align: 8
    .kernarg_segment_size: 344
    .language:       OpenCL C
    .language_version:
      - 2
      - 0
    .max_flat_workgroup_size: 512
    .name:           _ZN7rocprim17ROCPRIM_400000_NS6detail17trampoline_kernelINS0_14default_configENS1_35radix_sort_onesweep_config_selectorIiiEEZZNS1_29radix_sort_onesweep_iterationIS3_Lb0EPiS7_S7_S7_jNS0_19identity_decomposerENS1_16block_id_wrapperIjLb0EEEEE10hipError_tT1_PNSt15iterator_traitsISC_E10value_typeET2_T3_PNSD_ISI_E10value_typeET4_T5_PSN_SO_PNS1_23onesweep_lookback_stateEbbT6_jjT7_P12ihipStream_tbENKUlT_T0_SC_SH_E_clIS7_S7_S7_S7_EEDaSV_SW_SC_SH_EUlSV_E_NS1_11comp_targetILNS1_3genE4ELNS1_11target_archE910ELNS1_3gpuE8ELNS1_3repE0EEENS1_47radix_sort_onesweep_sort_config_static_selectorELNS0_4arch9wavefront6targetE1EEEvSC_
    .private_segment_fixed_size: 0
    .sgpr_count:     73
    .sgpr_spill_count: 0
    .symbol:         _ZN7rocprim17ROCPRIM_400000_NS6detail17trampoline_kernelINS0_14default_configENS1_35radix_sort_onesweep_config_selectorIiiEEZZNS1_29radix_sort_onesweep_iterationIS3_Lb0EPiS7_S7_S7_jNS0_19identity_decomposerENS1_16block_id_wrapperIjLb0EEEEE10hipError_tT1_PNSt15iterator_traitsISC_E10value_typeET2_T3_PNSD_ISI_E10value_typeET4_T5_PSN_SO_PNS1_23onesweep_lookback_stateEbbT6_jjT7_P12ihipStream_tbENKUlT_T0_SC_SH_E_clIS7_S7_S7_S7_EEDaSV_SW_SC_SH_EUlSV_E_NS1_11comp_targetILNS1_3genE4ELNS1_11target_archE910ELNS1_3gpuE8ELNS1_3repE0EEENS1_47radix_sort_onesweep_sort_config_static_selectorELNS0_4arch9wavefront6targetE1EEEvSC_.kd
    .uniform_work_group_size: 1
    .uses_dynamic_stack: false
    .vgpr_count:     83
    .vgpr_spill_count: 0
    .wavefront_size: 64
  - .agpr_count:     0
    .args:
      - .offset:         0
        .size:           88
        .value_kind:     by_value
    .group_segment_fixed_size: 0
    .kernarg_segment_align: 8
    .kernarg_segment_size: 88
    .language:       OpenCL C
    .language_version:
      - 2
      - 0
    .max_flat_workgroup_size: 256
    .name:           _ZN7rocprim17ROCPRIM_400000_NS6detail17trampoline_kernelINS0_14default_configENS1_35radix_sort_onesweep_config_selectorIiiEEZZNS1_29radix_sort_onesweep_iterationIS3_Lb0EPiS7_S7_S7_jNS0_19identity_decomposerENS1_16block_id_wrapperIjLb0EEEEE10hipError_tT1_PNSt15iterator_traitsISC_E10value_typeET2_T3_PNSD_ISI_E10value_typeET4_T5_PSN_SO_PNS1_23onesweep_lookback_stateEbbT6_jjT7_P12ihipStream_tbENKUlT_T0_SC_SH_E_clIS7_S7_S7_S7_EEDaSV_SW_SC_SH_EUlSV_E_NS1_11comp_targetILNS1_3genE3ELNS1_11target_archE908ELNS1_3gpuE7ELNS1_3repE0EEENS1_47radix_sort_onesweep_sort_config_static_selectorELNS0_4arch9wavefront6targetE1EEEvSC_
    .private_segment_fixed_size: 0
    .sgpr_count:     4
    .sgpr_spill_count: 0
    .symbol:         _ZN7rocprim17ROCPRIM_400000_NS6detail17trampoline_kernelINS0_14default_configENS1_35radix_sort_onesweep_config_selectorIiiEEZZNS1_29radix_sort_onesweep_iterationIS3_Lb0EPiS7_S7_S7_jNS0_19identity_decomposerENS1_16block_id_wrapperIjLb0EEEEE10hipError_tT1_PNSt15iterator_traitsISC_E10value_typeET2_T3_PNSD_ISI_E10value_typeET4_T5_PSN_SO_PNS1_23onesweep_lookback_stateEbbT6_jjT7_P12ihipStream_tbENKUlT_T0_SC_SH_E_clIS7_S7_S7_S7_EEDaSV_SW_SC_SH_EUlSV_E_NS1_11comp_targetILNS1_3genE3ELNS1_11target_archE908ELNS1_3gpuE7ELNS1_3repE0EEENS1_47radix_sort_onesweep_sort_config_static_selectorELNS0_4arch9wavefront6targetE1EEEvSC_.kd
    .uniform_work_group_size: 1
    .uses_dynamic_stack: false
    .vgpr_count:     0
    .vgpr_spill_count: 0
    .wavefront_size: 64
  - .agpr_count:     0
    .args:
      - .offset:         0
        .size:           88
        .value_kind:     by_value
    .group_segment_fixed_size: 0
    .kernarg_segment_align: 8
    .kernarg_segment_size: 88
    .language:       OpenCL C
    .language_version:
      - 2
      - 0
    .max_flat_workgroup_size: 1024
    .name:           _ZN7rocprim17ROCPRIM_400000_NS6detail17trampoline_kernelINS0_14default_configENS1_35radix_sort_onesweep_config_selectorIiiEEZZNS1_29radix_sort_onesweep_iterationIS3_Lb0EPiS7_S7_S7_jNS0_19identity_decomposerENS1_16block_id_wrapperIjLb0EEEEE10hipError_tT1_PNSt15iterator_traitsISC_E10value_typeET2_T3_PNSD_ISI_E10value_typeET4_T5_PSN_SO_PNS1_23onesweep_lookback_stateEbbT6_jjT7_P12ihipStream_tbENKUlT_T0_SC_SH_E_clIS7_S7_S7_S7_EEDaSV_SW_SC_SH_EUlSV_E_NS1_11comp_targetILNS1_3genE10ELNS1_11target_archE1201ELNS1_3gpuE5ELNS1_3repE0EEENS1_47radix_sort_onesweep_sort_config_static_selectorELNS0_4arch9wavefront6targetE1EEEvSC_
    .private_segment_fixed_size: 0
    .sgpr_count:     4
    .sgpr_spill_count: 0
    .symbol:         _ZN7rocprim17ROCPRIM_400000_NS6detail17trampoline_kernelINS0_14default_configENS1_35radix_sort_onesweep_config_selectorIiiEEZZNS1_29radix_sort_onesweep_iterationIS3_Lb0EPiS7_S7_S7_jNS0_19identity_decomposerENS1_16block_id_wrapperIjLb0EEEEE10hipError_tT1_PNSt15iterator_traitsISC_E10value_typeET2_T3_PNSD_ISI_E10value_typeET4_T5_PSN_SO_PNS1_23onesweep_lookback_stateEbbT6_jjT7_P12ihipStream_tbENKUlT_T0_SC_SH_E_clIS7_S7_S7_S7_EEDaSV_SW_SC_SH_EUlSV_E_NS1_11comp_targetILNS1_3genE10ELNS1_11target_archE1201ELNS1_3gpuE5ELNS1_3repE0EEENS1_47radix_sort_onesweep_sort_config_static_selectorELNS0_4arch9wavefront6targetE1EEEvSC_.kd
    .uniform_work_group_size: 1
    .uses_dynamic_stack: false
    .vgpr_count:     0
    .vgpr_spill_count: 0
    .wavefront_size: 64
  - .agpr_count:     0
    .args:
      - .offset:         0
        .size:           88
        .value_kind:     by_value
    .group_segment_fixed_size: 0
    .kernarg_segment_align: 8
    .kernarg_segment_size: 88
    .language:       OpenCL C
    .language_version:
      - 2
      - 0
    .max_flat_workgroup_size: 1024
    .name:           _ZN7rocprim17ROCPRIM_400000_NS6detail17trampoline_kernelINS0_14default_configENS1_35radix_sort_onesweep_config_selectorIiiEEZZNS1_29radix_sort_onesweep_iterationIS3_Lb0EPiS7_S7_S7_jNS0_19identity_decomposerENS1_16block_id_wrapperIjLb0EEEEE10hipError_tT1_PNSt15iterator_traitsISC_E10value_typeET2_T3_PNSD_ISI_E10value_typeET4_T5_PSN_SO_PNS1_23onesweep_lookback_stateEbbT6_jjT7_P12ihipStream_tbENKUlT_T0_SC_SH_E_clIS7_S7_S7_S7_EEDaSV_SW_SC_SH_EUlSV_E_NS1_11comp_targetILNS1_3genE9ELNS1_11target_archE1100ELNS1_3gpuE3ELNS1_3repE0EEENS1_47radix_sort_onesweep_sort_config_static_selectorELNS0_4arch9wavefront6targetE1EEEvSC_
    .private_segment_fixed_size: 0
    .sgpr_count:     4
    .sgpr_spill_count: 0
    .symbol:         _ZN7rocprim17ROCPRIM_400000_NS6detail17trampoline_kernelINS0_14default_configENS1_35radix_sort_onesweep_config_selectorIiiEEZZNS1_29radix_sort_onesweep_iterationIS3_Lb0EPiS7_S7_S7_jNS0_19identity_decomposerENS1_16block_id_wrapperIjLb0EEEEE10hipError_tT1_PNSt15iterator_traitsISC_E10value_typeET2_T3_PNSD_ISI_E10value_typeET4_T5_PSN_SO_PNS1_23onesweep_lookback_stateEbbT6_jjT7_P12ihipStream_tbENKUlT_T0_SC_SH_E_clIS7_S7_S7_S7_EEDaSV_SW_SC_SH_EUlSV_E_NS1_11comp_targetILNS1_3genE9ELNS1_11target_archE1100ELNS1_3gpuE3ELNS1_3repE0EEENS1_47radix_sort_onesweep_sort_config_static_selectorELNS0_4arch9wavefront6targetE1EEEvSC_.kd
    .uniform_work_group_size: 1
    .uses_dynamic_stack: false
    .vgpr_count:     0
    .vgpr_spill_count: 0
    .wavefront_size: 64
  - .agpr_count:     0
    .args:
      - .offset:         0
        .size:           88
        .value_kind:     by_value
    .group_segment_fixed_size: 0
    .kernarg_segment_align: 8
    .kernarg_segment_size: 88
    .language:       OpenCL C
    .language_version:
      - 2
      - 0
    .max_flat_workgroup_size: 1024
    .name:           _ZN7rocprim17ROCPRIM_400000_NS6detail17trampoline_kernelINS0_14default_configENS1_35radix_sort_onesweep_config_selectorIiiEEZZNS1_29radix_sort_onesweep_iterationIS3_Lb0EPiS7_S7_S7_jNS0_19identity_decomposerENS1_16block_id_wrapperIjLb0EEEEE10hipError_tT1_PNSt15iterator_traitsISC_E10value_typeET2_T3_PNSD_ISI_E10value_typeET4_T5_PSN_SO_PNS1_23onesweep_lookback_stateEbbT6_jjT7_P12ihipStream_tbENKUlT_T0_SC_SH_E_clIS7_S7_S7_S7_EEDaSV_SW_SC_SH_EUlSV_E_NS1_11comp_targetILNS1_3genE8ELNS1_11target_archE1030ELNS1_3gpuE2ELNS1_3repE0EEENS1_47radix_sort_onesweep_sort_config_static_selectorELNS0_4arch9wavefront6targetE1EEEvSC_
    .private_segment_fixed_size: 0
    .sgpr_count:     4
    .sgpr_spill_count: 0
    .symbol:         _ZN7rocprim17ROCPRIM_400000_NS6detail17trampoline_kernelINS0_14default_configENS1_35radix_sort_onesweep_config_selectorIiiEEZZNS1_29radix_sort_onesweep_iterationIS3_Lb0EPiS7_S7_S7_jNS0_19identity_decomposerENS1_16block_id_wrapperIjLb0EEEEE10hipError_tT1_PNSt15iterator_traitsISC_E10value_typeET2_T3_PNSD_ISI_E10value_typeET4_T5_PSN_SO_PNS1_23onesweep_lookback_stateEbbT6_jjT7_P12ihipStream_tbENKUlT_T0_SC_SH_E_clIS7_S7_S7_S7_EEDaSV_SW_SC_SH_EUlSV_E_NS1_11comp_targetILNS1_3genE8ELNS1_11target_archE1030ELNS1_3gpuE2ELNS1_3repE0EEENS1_47radix_sort_onesweep_sort_config_static_selectorELNS0_4arch9wavefront6targetE1EEEvSC_.kd
    .uniform_work_group_size: 1
    .uses_dynamic_stack: false
    .vgpr_count:     0
    .vgpr_spill_count: 0
    .wavefront_size: 64
  - .agpr_count:     0
    .args:
      - .offset:         0
        .size:           56
        .value_kind:     by_value
    .group_segment_fixed_size: 0
    .kernarg_segment_align: 8
    .kernarg_segment_size: 56
    .language:       OpenCL C
    .language_version:
      - 2
      - 0
    .max_flat_workgroup_size: 256
    .name:           _ZN7rocprim17ROCPRIM_400000_NS6detail17trampoline_kernelINS0_14default_configENS1_22reduce_config_selectorIiEEZNS1_11reduce_implILb1ES3_PiS7_iN6thrust23THRUST_200600_302600_NS7maximumIiEEEE10hipError_tPvRmT1_T2_T3_mT4_P12ihipStream_tbEUlT_E0_NS1_11comp_targetILNS1_3genE0ELNS1_11target_archE4294967295ELNS1_3gpuE0ELNS1_3repE0EEENS1_30default_config_static_selectorELNS0_4arch9wavefront6targetE1EEEvSF_
    .private_segment_fixed_size: 0
    .sgpr_count:     4
    .sgpr_spill_count: 0
    .symbol:         _ZN7rocprim17ROCPRIM_400000_NS6detail17trampoline_kernelINS0_14default_configENS1_22reduce_config_selectorIiEEZNS1_11reduce_implILb1ES3_PiS7_iN6thrust23THRUST_200600_302600_NS7maximumIiEEEE10hipError_tPvRmT1_T2_T3_mT4_P12ihipStream_tbEUlT_E0_NS1_11comp_targetILNS1_3genE0ELNS1_11target_archE4294967295ELNS1_3gpuE0ELNS1_3repE0EEENS1_30default_config_static_selectorELNS0_4arch9wavefront6targetE1EEEvSF_.kd
    .uniform_work_group_size: 1
    .uses_dynamic_stack: false
    .vgpr_count:     0
    .vgpr_spill_count: 0
    .wavefront_size: 64
  - .agpr_count:     0
    .args:
      - .offset:         0
        .size:           56
        .value_kind:     by_value
    .group_segment_fixed_size: 0
    .kernarg_segment_align: 8
    .kernarg_segment_size: 56
    .language:       OpenCL C
    .language_version:
      - 2
      - 0
    .max_flat_workgroup_size: 256
    .name:           _ZN7rocprim17ROCPRIM_400000_NS6detail17trampoline_kernelINS0_14default_configENS1_22reduce_config_selectorIiEEZNS1_11reduce_implILb1ES3_PiS7_iN6thrust23THRUST_200600_302600_NS7maximumIiEEEE10hipError_tPvRmT1_T2_T3_mT4_P12ihipStream_tbEUlT_E0_NS1_11comp_targetILNS1_3genE5ELNS1_11target_archE942ELNS1_3gpuE9ELNS1_3repE0EEENS1_30default_config_static_selectorELNS0_4arch9wavefront6targetE1EEEvSF_
    .private_segment_fixed_size: 0
    .sgpr_count:     4
    .sgpr_spill_count: 0
    .symbol:         _ZN7rocprim17ROCPRIM_400000_NS6detail17trampoline_kernelINS0_14default_configENS1_22reduce_config_selectorIiEEZNS1_11reduce_implILb1ES3_PiS7_iN6thrust23THRUST_200600_302600_NS7maximumIiEEEE10hipError_tPvRmT1_T2_T3_mT4_P12ihipStream_tbEUlT_E0_NS1_11comp_targetILNS1_3genE5ELNS1_11target_archE942ELNS1_3gpuE9ELNS1_3repE0EEENS1_30default_config_static_selectorELNS0_4arch9wavefront6targetE1EEEvSF_.kd
    .uniform_work_group_size: 1
    .uses_dynamic_stack: false
    .vgpr_count:     0
    .vgpr_spill_count: 0
    .wavefront_size: 64
  - .agpr_count:     0
    .args:
      - .offset:         0
        .size:           56
        .value_kind:     by_value
    .group_segment_fixed_size: 16
    .kernarg_segment_align: 8
    .kernarg_segment_size: 56
    .language:       OpenCL C
    .language_version:
      - 2
      - 0
    .max_flat_workgroup_size: 128
    .name:           _ZN7rocprim17ROCPRIM_400000_NS6detail17trampoline_kernelINS0_14default_configENS1_22reduce_config_selectorIiEEZNS1_11reduce_implILb1ES3_PiS7_iN6thrust23THRUST_200600_302600_NS7maximumIiEEEE10hipError_tPvRmT1_T2_T3_mT4_P12ihipStream_tbEUlT_E0_NS1_11comp_targetILNS1_3genE4ELNS1_11target_archE910ELNS1_3gpuE8ELNS1_3repE0EEENS1_30default_config_static_selectorELNS0_4arch9wavefront6targetE1EEEvSF_
    .private_segment_fixed_size: 0
    .sgpr_count:     32
    .sgpr_spill_count: 0
    .symbol:         _ZN7rocprim17ROCPRIM_400000_NS6detail17trampoline_kernelINS0_14default_configENS1_22reduce_config_selectorIiEEZNS1_11reduce_implILb1ES3_PiS7_iN6thrust23THRUST_200600_302600_NS7maximumIiEEEE10hipError_tPvRmT1_T2_T3_mT4_P12ihipStream_tbEUlT_E0_NS1_11comp_targetILNS1_3genE4ELNS1_11target_archE910ELNS1_3gpuE8ELNS1_3repE0EEENS1_30default_config_static_selectorELNS0_4arch9wavefront6targetE1EEEvSF_.kd
    .uniform_work_group_size: 1
    .uses_dynamic_stack: false
    .vgpr_count:     13
    .vgpr_spill_count: 0
    .wavefront_size: 64
  - .agpr_count:     0
    .args:
      - .offset:         0
        .size:           56
        .value_kind:     by_value
    .group_segment_fixed_size: 0
    .kernarg_segment_align: 8
    .kernarg_segment_size: 56
    .language:       OpenCL C
    .language_version:
      - 2
      - 0
    .max_flat_workgroup_size: 256
    .name:           _ZN7rocprim17ROCPRIM_400000_NS6detail17trampoline_kernelINS0_14default_configENS1_22reduce_config_selectorIiEEZNS1_11reduce_implILb1ES3_PiS7_iN6thrust23THRUST_200600_302600_NS7maximumIiEEEE10hipError_tPvRmT1_T2_T3_mT4_P12ihipStream_tbEUlT_E0_NS1_11comp_targetILNS1_3genE3ELNS1_11target_archE908ELNS1_3gpuE7ELNS1_3repE0EEENS1_30default_config_static_selectorELNS0_4arch9wavefront6targetE1EEEvSF_
    .private_segment_fixed_size: 0
    .sgpr_count:     4
    .sgpr_spill_count: 0
    .symbol:         _ZN7rocprim17ROCPRIM_400000_NS6detail17trampoline_kernelINS0_14default_configENS1_22reduce_config_selectorIiEEZNS1_11reduce_implILb1ES3_PiS7_iN6thrust23THRUST_200600_302600_NS7maximumIiEEEE10hipError_tPvRmT1_T2_T3_mT4_P12ihipStream_tbEUlT_E0_NS1_11comp_targetILNS1_3genE3ELNS1_11target_archE908ELNS1_3gpuE7ELNS1_3repE0EEENS1_30default_config_static_selectorELNS0_4arch9wavefront6targetE1EEEvSF_.kd
    .uniform_work_group_size: 1
    .uses_dynamic_stack: false
    .vgpr_count:     0
    .vgpr_spill_count: 0
    .wavefront_size: 64
  - .agpr_count:     0
    .args:
      - .offset:         0
        .size:           56
        .value_kind:     by_value
    .group_segment_fixed_size: 0
    .kernarg_segment_align: 8
    .kernarg_segment_size: 56
    .language:       OpenCL C
    .language_version:
      - 2
      - 0
    .max_flat_workgroup_size: 256
    .name:           _ZN7rocprim17ROCPRIM_400000_NS6detail17trampoline_kernelINS0_14default_configENS1_22reduce_config_selectorIiEEZNS1_11reduce_implILb1ES3_PiS7_iN6thrust23THRUST_200600_302600_NS7maximumIiEEEE10hipError_tPvRmT1_T2_T3_mT4_P12ihipStream_tbEUlT_E0_NS1_11comp_targetILNS1_3genE2ELNS1_11target_archE906ELNS1_3gpuE6ELNS1_3repE0EEENS1_30default_config_static_selectorELNS0_4arch9wavefront6targetE1EEEvSF_
    .private_segment_fixed_size: 0
    .sgpr_count:     4
    .sgpr_spill_count: 0
    .symbol:         _ZN7rocprim17ROCPRIM_400000_NS6detail17trampoline_kernelINS0_14default_configENS1_22reduce_config_selectorIiEEZNS1_11reduce_implILb1ES3_PiS7_iN6thrust23THRUST_200600_302600_NS7maximumIiEEEE10hipError_tPvRmT1_T2_T3_mT4_P12ihipStream_tbEUlT_E0_NS1_11comp_targetILNS1_3genE2ELNS1_11target_archE906ELNS1_3gpuE6ELNS1_3repE0EEENS1_30default_config_static_selectorELNS0_4arch9wavefront6targetE1EEEvSF_.kd
    .uniform_work_group_size: 1
    .uses_dynamic_stack: false
    .vgpr_count:     0
    .vgpr_spill_count: 0
    .wavefront_size: 64
  - .agpr_count:     0
    .args:
      - .offset:         0
        .size:           56
        .value_kind:     by_value
    .group_segment_fixed_size: 0
    .kernarg_segment_align: 8
    .kernarg_segment_size: 56
    .language:       OpenCL C
    .language_version:
      - 2
      - 0
    .max_flat_workgroup_size: 256
    .name:           _ZN7rocprim17ROCPRIM_400000_NS6detail17trampoline_kernelINS0_14default_configENS1_22reduce_config_selectorIiEEZNS1_11reduce_implILb1ES3_PiS7_iN6thrust23THRUST_200600_302600_NS7maximumIiEEEE10hipError_tPvRmT1_T2_T3_mT4_P12ihipStream_tbEUlT_E0_NS1_11comp_targetILNS1_3genE10ELNS1_11target_archE1201ELNS1_3gpuE5ELNS1_3repE0EEENS1_30default_config_static_selectorELNS0_4arch9wavefront6targetE1EEEvSF_
    .private_segment_fixed_size: 0
    .sgpr_count:     4
    .sgpr_spill_count: 0
    .symbol:         _ZN7rocprim17ROCPRIM_400000_NS6detail17trampoline_kernelINS0_14default_configENS1_22reduce_config_selectorIiEEZNS1_11reduce_implILb1ES3_PiS7_iN6thrust23THRUST_200600_302600_NS7maximumIiEEEE10hipError_tPvRmT1_T2_T3_mT4_P12ihipStream_tbEUlT_E0_NS1_11comp_targetILNS1_3genE10ELNS1_11target_archE1201ELNS1_3gpuE5ELNS1_3repE0EEENS1_30default_config_static_selectorELNS0_4arch9wavefront6targetE1EEEvSF_.kd
    .uniform_work_group_size: 1
    .uses_dynamic_stack: false
    .vgpr_count:     0
    .vgpr_spill_count: 0
    .wavefront_size: 64
  - .agpr_count:     0
    .args:
      - .offset:         0
        .size:           56
        .value_kind:     by_value
    .group_segment_fixed_size: 0
    .kernarg_segment_align: 8
    .kernarg_segment_size: 56
    .language:       OpenCL C
    .language_version:
      - 2
      - 0
    .max_flat_workgroup_size: 256
    .name:           _ZN7rocprim17ROCPRIM_400000_NS6detail17trampoline_kernelINS0_14default_configENS1_22reduce_config_selectorIiEEZNS1_11reduce_implILb1ES3_PiS7_iN6thrust23THRUST_200600_302600_NS7maximumIiEEEE10hipError_tPvRmT1_T2_T3_mT4_P12ihipStream_tbEUlT_E0_NS1_11comp_targetILNS1_3genE10ELNS1_11target_archE1200ELNS1_3gpuE4ELNS1_3repE0EEENS1_30default_config_static_selectorELNS0_4arch9wavefront6targetE1EEEvSF_
    .private_segment_fixed_size: 0
    .sgpr_count:     4
    .sgpr_spill_count: 0
    .symbol:         _ZN7rocprim17ROCPRIM_400000_NS6detail17trampoline_kernelINS0_14default_configENS1_22reduce_config_selectorIiEEZNS1_11reduce_implILb1ES3_PiS7_iN6thrust23THRUST_200600_302600_NS7maximumIiEEEE10hipError_tPvRmT1_T2_T3_mT4_P12ihipStream_tbEUlT_E0_NS1_11comp_targetILNS1_3genE10ELNS1_11target_archE1200ELNS1_3gpuE4ELNS1_3repE0EEENS1_30default_config_static_selectorELNS0_4arch9wavefront6targetE1EEEvSF_.kd
    .uniform_work_group_size: 1
    .uses_dynamic_stack: false
    .vgpr_count:     0
    .vgpr_spill_count: 0
    .wavefront_size: 64
  - .agpr_count:     0
    .args:
      - .offset:         0
        .size:           56
        .value_kind:     by_value
    .group_segment_fixed_size: 0
    .kernarg_segment_align: 8
    .kernarg_segment_size: 56
    .language:       OpenCL C
    .language_version:
      - 2
      - 0
    .max_flat_workgroup_size: 256
    .name:           _ZN7rocprim17ROCPRIM_400000_NS6detail17trampoline_kernelINS0_14default_configENS1_22reduce_config_selectorIiEEZNS1_11reduce_implILb1ES3_PiS7_iN6thrust23THRUST_200600_302600_NS7maximumIiEEEE10hipError_tPvRmT1_T2_T3_mT4_P12ihipStream_tbEUlT_E0_NS1_11comp_targetILNS1_3genE9ELNS1_11target_archE1100ELNS1_3gpuE3ELNS1_3repE0EEENS1_30default_config_static_selectorELNS0_4arch9wavefront6targetE1EEEvSF_
    .private_segment_fixed_size: 0
    .sgpr_count:     4
    .sgpr_spill_count: 0
    .symbol:         _ZN7rocprim17ROCPRIM_400000_NS6detail17trampoline_kernelINS0_14default_configENS1_22reduce_config_selectorIiEEZNS1_11reduce_implILb1ES3_PiS7_iN6thrust23THRUST_200600_302600_NS7maximumIiEEEE10hipError_tPvRmT1_T2_T3_mT4_P12ihipStream_tbEUlT_E0_NS1_11comp_targetILNS1_3genE9ELNS1_11target_archE1100ELNS1_3gpuE3ELNS1_3repE0EEENS1_30default_config_static_selectorELNS0_4arch9wavefront6targetE1EEEvSF_.kd
    .uniform_work_group_size: 1
    .uses_dynamic_stack: false
    .vgpr_count:     0
    .vgpr_spill_count: 0
    .wavefront_size: 64
  - .agpr_count:     0
    .args:
      - .offset:         0
        .size:           56
        .value_kind:     by_value
    .group_segment_fixed_size: 0
    .kernarg_segment_align: 8
    .kernarg_segment_size: 56
    .language:       OpenCL C
    .language_version:
      - 2
      - 0
    .max_flat_workgroup_size: 256
    .name:           _ZN7rocprim17ROCPRIM_400000_NS6detail17trampoline_kernelINS0_14default_configENS1_22reduce_config_selectorIiEEZNS1_11reduce_implILb1ES3_PiS7_iN6thrust23THRUST_200600_302600_NS7maximumIiEEEE10hipError_tPvRmT1_T2_T3_mT4_P12ihipStream_tbEUlT_E0_NS1_11comp_targetILNS1_3genE8ELNS1_11target_archE1030ELNS1_3gpuE2ELNS1_3repE0EEENS1_30default_config_static_selectorELNS0_4arch9wavefront6targetE1EEEvSF_
    .private_segment_fixed_size: 0
    .sgpr_count:     4
    .sgpr_spill_count: 0
    .symbol:         _ZN7rocprim17ROCPRIM_400000_NS6detail17trampoline_kernelINS0_14default_configENS1_22reduce_config_selectorIiEEZNS1_11reduce_implILb1ES3_PiS7_iN6thrust23THRUST_200600_302600_NS7maximumIiEEEE10hipError_tPvRmT1_T2_T3_mT4_P12ihipStream_tbEUlT_E0_NS1_11comp_targetILNS1_3genE8ELNS1_11target_archE1030ELNS1_3gpuE2ELNS1_3repE0EEENS1_30default_config_static_selectorELNS0_4arch9wavefront6targetE1EEEvSF_.kd
    .uniform_work_group_size: 1
    .uses_dynamic_stack: false
    .vgpr_count:     0
    .vgpr_spill_count: 0
    .wavefront_size: 64
  - .agpr_count:     0
    .args:
      - .offset:         0
        .size:           40
        .value_kind:     by_value
    .group_segment_fixed_size: 0
    .kernarg_segment_align: 8
    .kernarg_segment_size: 40
    .language:       OpenCL C
    .language_version:
      - 2
      - 0
    .max_flat_workgroup_size: 256
    .name:           _ZN7rocprim17ROCPRIM_400000_NS6detail17trampoline_kernelINS0_14default_configENS1_22reduce_config_selectorIiEEZNS1_11reduce_implILb1ES3_PiS7_iN6thrust23THRUST_200600_302600_NS7maximumIiEEEE10hipError_tPvRmT1_T2_T3_mT4_P12ihipStream_tbEUlT_E1_NS1_11comp_targetILNS1_3genE0ELNS1_11target_archE4294967295ELNS1_3gpuE0ELNS1_3repE0EEENS1_30default_config_static_selectorELNS0_4arch9wavefront6targetE1EEEvSF_
    .private_segment_fixed_size: 0
    .sgpr_count:     4
    .sgpr_spill_count: 0
    .symbol:         _ZN7rocprim17ROCPRIM_400000_NS6detail17trampoline_kernelINS0_14default_configENS1_22reduce_config_selectorIiEEZNS1_11reduce_implILb1ES3_PiS7_iN6thrust23THRUST_200600_302600_NS7maximumIiEEEE10hipError_tPvRmT1_T2_T3_mT4_P12ihipStream_tbEUlT_E1_NS1_11comp_targetILNS1_3genE0ELNS1_11target_archE4294967295ELNS1_3gpuE0ELNS1_3repE0EEENS1_30default_config_static_selectorELNS0_4arch9wavefront6targetE1EEEvSF_.kd
    .uniform_work_group_size: 1
    .uses_dynamic_stack: false
    .vgpr_count:     0
    .vgpr_spill_count: 0
    .wavefront_size: 64
  - .agpr_count:     0
    .args:
      - .offset:         0
        .size:           40
        .value_kind:     by_value
    .group_segment_fixed_size: 0
    .kernarg_segment_align: 8
    .kernarg_segment_size: 40
    .language:       OpenCL C
    .language_version:
      - 2
      - 0
    .max_flat_workgroup_size: 256
    .name:           _ZN7rocprim17ROCPRIM_400000_NS6detail17trampoline_kernelINS0_14default_configENS1_22reduce_config_selectorIiEEZNS1_11reduce_implILb1ES3_PiS7_iN6thrust23THRUST_200600_302600_NS7maximumIiEEEE10hipError_tPvRmT1_T2_T3_mT4_P12ihipStream_tbEUlT_E1_NS1_11comp_targetILNS1_3genE5ELNS1_11target_archE942ELNS1_3gpuE9ELNS1_3repE0EEENS1_30default_config_static_selectorELNS0_4arch9wavefront6targetE1EEEvSF_
    .private_segment_fixed_size: 0
    .sgpr_count:     4
    .sgpr_spill_count: 0
    .symbol:         _ZN7rocprim17ROCPRIM_400000_NS6detail17trampoline_kernelINS0_14default_configENS1_22reduce_config_selectorIiEEZNS1_11reduce_implILb1ES3_PiS7_iN6thrust23THRUST_200600_302600_NS7maximumIiEEEE10hipError_tPvRmT1_T2_T3_mT4_P12ihipStream_tbEUlT_E1_NS1_11comp_targetILNS1_3genE5ELNS1_11target_archE942ELNS1_3gpuE9ELNS1_3repE0EEENS1_30default_config_static_selectorELNS0_4arch9wavefront6targetE1EEEvSF_.kd
    .uniform_work_group_size: 1
    .uses_dynamic_stack: false
    .vgpr_count:     0
    .vgpr_spill_count: 0
    .wavefront_size: 64
  - .agpr_count:     0
    .args:
      - .offset:         0
        .size:           40
        .value_kind:     by_value
    .group_segment_fixed_size: 56
    .kernarg_segment_align: 8
    .kernarg_segment_size: 40
    .language:       OpenCL C
    .language_version:
      - 2
      - 0
    .max_flat_workgroup_size: 128
    .name:           _ZN7rocprim17ROCPRIM_400000_NS6detail17trampoline_kernelINS0_14default_configENS1_22reduce_config_selectorIiEEZNS1_11reduce_implILb1ES3_PiS7_iN6thrust23THRUST_200600_302600_NS7maximumIiEEEE10hipError_tPvRmT1_T2_T3_mT4_P12ihipStream_tbEUlT_E1_NS1_11comp_targetILNS1_3genE4ELNS1_11target_archE910ELNS1_3gpuE8ELNS1_3repE0EEENS1_30default_config_static_selectorELNS0_4arch9wavefront6targetE1EEEvSF_
    .private_segment_fixed_size: 0
    .sgpr_count:     81
    .sgpr_spill_count: 0
    .symbol:         _ZN7rocprim17ROCPRIM_400000_NS6detail17trampoline_kernelINS0_14default_configENS1_22reduce_config_selectorIiEEZNS1_11reduce_implILb1ES3_PiS7_iN6thrust23THRUST_200600_302600_NS7maximumIiEEEE10hipError_tPvRmT1_T2_T3_mT4_P12ihipStream_tbEUlT_E1_NS1_11comp_targetILNS1_3genE4ELNS1_11target_archE910ELNS1_3gpuE8ELNS1_3repE0EEENS1_30default_config_static_selectorELNS0_4arch9wavefront6targetE1EEEvSF_.kd
    .uniform_work_group_size: 1
    .uses_dynamic_stack: false
    .vgpr_count:     35
    .vgpr_spill_count: 0
    .wavefront_size: 64
  - .agpr_count:     0
    .args:
      - .offset:         0
        .size:           40
        .value_kind:     by_value
    .group_segment_fixed_size: 0
    .kernarg_segment_align: 8
    .kernarg_segment_size: 40
    .language:       OpenCL C
    .language_version:
      - 2
      - 0
    .max_flat_workgroup_size: 256
    .name:           _ZN7rocprim17ROCPRIM_400000_NS6detail17trampoline_kernelINS0_14default_configENS1_22reduce_config_selectorIiEEZNS1_11reduce_implILb1ES3_PiS7_iN6thrust23THRUST_200600_302600_NS7maximumIiEEEE10hipError_tPvRmT1_T2_T3_mT4_P12ihipStream_tbEUlT_E1_NS1_11comp_targetILNS1_3genE3ELNS1_11target_archE908ELNS1_3gpuE7ELNS1_3repE0EEENS1_30default_config_static_selectorELNS0_4arch9wavefront6targetE1EEEvSF_
    .private_segment_fixed_size: 0
    .sgpr_count:     4
    .sgpr_spill_count: 0
    .symbol:         _ZN7rocprim17ROCPRIM_400000_NS6detail17trampoline_kernelINS0_14default_configENS1_22reduce_config_selectorIiEEZNS1_11reduce_implILb1ES3_PiS7_iN6thrust23THRUST_200600_302600_NS7maximumIiEEEE10hipError_tPvRmT1_T2_T3_mT4_P12ihipStream_tbEUlT_E1_NS1_11comp_targetILNS1_3genE3ELNS1_11target_archE908ELNS1_3gpuE7ELNS1_3repE0EEENS1_30default_config_static_selectorELNS0_4arch9wavefront6targetE1EEEvSF_.kd
    .uniform_work_group_size: 1
    .uses_dynamic_stack: false
    .vgpr_count:     0
    .vgpr_spill_count: 0
    .wavefront_size: 64
  - .agpr_count:     0
    .args:
      - .offset:         0
        .size:           40
        .value_kind:     by_value
    .group_segment_fixed_size: 0
    .kernarg_segment_align: 8
    .kernarg_segment_size: 40
    .language:       OpenCL C
    .language_version:
      - 2
      - 0
    .max_flat_workgroup_size: 256
    .name:           _ZN7rocprim17ROCPRIM_400000_NS6detail17trampoline_kernelINS0_14default_configENS1_22reduce_config_selectorIiEEZNS1_11reduce_implILb1ES3_PiS7_iN6thrust23THRUST_200600_302600_NS7maximumIiEEEE10hipError_tPvRmT1_T2_T3_mT4_P12ihipStream_tbEUlT_E1_NS1_11comp_targetILNS1_3genE2ELNS1_11target_archE906ELNS1_3gpuE6ELNS1_3repE0EEENS1_30default_config_static_selectorELNS0_4arch9wavefront6targetE1EEEvSF_
    .private_segment_fixed_size: 0
    .sgpr_count:     4
    .sgpr_spill_count: 0
    .symbol:         _ZN7rocprim17ROCPRIM_400000_NS6detail17trampoline_kernelINS0_14default_configENS1_22reduce_config_selectorIiEEZNS1_11reduce_implILb1ES3_PiS7_iN6thrust23THRUST_200600_302600_NS7maximumIiEEEE10hipError_tPvRmT1_T2_T3_mT4_P12ihipStream_tbEUlT_E1_NS1_11comp_targetILNS1_3genE2ELNS1_11target_archE906ELNS1_3gpuE6ELNS1_3repE0EEENS1_30default_config_static_selectorELNS0_4arch9wavefront6targetE1EEEvSF_.kd
    .uniform_work_group_size: 1
    .uses_dynamic_stack: false
    .vgpr_count:     0
    .vgpr_spill_count: 0
    .wavefront_size: 64
  - .agpr_count:     0
    .args:
      - .offset:         0
        .size:           40
        .value_kind:     by_value
    .group_segment_fixed_size: 0
    .kernarg_segment_align: 8
    .kernarg_segment_size: 40
    .language:       OpenCL C
    .language_version:
      - 2
      - 0
    .max_flat_workgroup_size: 256
    .name:           _ZN7rocprim17ROCPRIM_400000_NS6detail17trampoline_kernelINS0_14default_configENS1_22reduce_config_selectorIiEEZNS1_11reduce_implILb1ES3_PiS7_iN6thrust23THRUST_200600_302600_NS7maximumIiEEEE10hipError_tPvRmT1_T2_T3_mT4_P12ihipStream_tbEUlT_E1_NS1_11comp_targetILNS1_3genE10ELNS1_11target_archE1201ELNS1_3gpuE5ELNS1_3repE0EEENS1_30default_config_static_selectorELNS0_4arch9wavefront6targetE1EEEvSF_
    .private_segment_fixed_size: 0
    .sgpr_count:     4
    .sgpr_spill_count: 0
    .symbol:         _ZN7rocprim17ROCPRIM_400000_NS6detail17trampoline_kernelINS0_14default_configENS1_22reduce_config_selectorIiEEZNS1_11reduce_implILb1ES3_PiS7_iN6thrust23THRUST_200600_302600_NS7maximumIiEEEE10hipError_tPvRmT1_T2_T3_mT4_P12ihipStream_tbEUlT_E1_NS1_11comp_targetILNS1_3genE10ELNS1_11target_archE1201ELNS1_3gpuE5ELNS1_3repE0EEENS1_30default_config_static_selectorELNS0_4arch9wavefront6targetE1EEEvSF_.kd
    .uniform_work_group_size: 1
    .uses_dynamic_stack: false
    .vgpr_count:     0
    .vgpr_spill_count: 0
    .wavefront_size: 64
  - .agpr_count:     0
    .args:
      - .offset:         0
        .size:           40
        .value_kind:     by_value
    .group_segment_fixed_size: 0
    .kernarg_segment_align: 8
    .kernarg_segment_size: 40
    .language:       OpenCL C
    .language_version:
      - 2
      - 0
    .max_flat_workgroup_size: 256
    .name:           _ZN7rocprim17ROCPRIM_400000_NS6detail17trampoline_kernelINS0_14default_configENS1_22reduce_config_selectorIiEEZNS1_11reduce_implILb1ES3_PiS7_iN6thrust23THRUST_200600_302600_NS7maximumIiEEEE10hipError_tPvRmT1_T2_T3_mT4_P12ihipStream_tbEUlT_E1_NS1_11comp_targetILNS1_3genE10ELNS1_11target_archE1200ELNS1_3gpuE4ELNS1_3repE0EEENS1_30default_config_static_selectorELNS0_4arch9wavefront6targetE1EEEvSF_
    .private_segment_fixed_size: 0
    .sgpr_count:     4
    .sgpr_spill_count: 0
    .symbol:         _ZN7rocprim17ROCPRIM_400000_NS6detail17trampoline_kernelINS0_14default_configENS1_22reduce_config_selectorIiEEZNS1_11reduce_implILb1ES3_PiS7_iN6thrust23THRUST_200600_302600_NS7maximumIiEEEE10hipError_tPvRmT1_T2_T3_mT4_P12ihipStream_tbEUlT_E1_NS1_11comp_targetILNS1_3genE10ELNS1_11target_archE1200ELNS1_3gpuE4ELNS1_3repE0EEENS1_30default_config_static_selectorELNS0_4arch9wavefront6targetE1EEEvSF_.kd
    .uniform_work_group_size: 1
    .uses_dynamic_stack: false
    .vgpr_count:     0
    .vgpr_spill_count: 0
    .wavefront_size: 64
  - .agpr_count:     0
    .args:
      - .offset:         0
        .size:           40
        .value_kind:     by_value
    .group_segment_fixed_size: 0
    .kernarg_segment_align: 8
    .kernarg_segment_size: 40
    .language:       OpenCL C
    .language_version:
      - 2
      - 0
    .max_flat_workgroup_size: 256
    .name:           _ZN7rocprim17ROCPRIM_400000_NS6detail17trampoline_kernelINS0_14default_configENS1_22reduce_config_selectorIiEEZNS1_11reduce_implILb1ES3_PiS7_iN6thrust23THRUST_200600_302600_NS7maximumIiEEEE10hipError_tPvRmT1_T2_T3_mT4_P12ihipStream_tbEUlT_E1_NS1_11comp_targetILNS1_3genE9ELNS1_11target_archE1100ELNS1_3gpuE3ELNS1_3repE0EEENS1_30default_config_static_selectorELNS0_4arch9wavefront6targetE1EEEvSF_
    .private_segment_fixed_size: 0
    .sgpr_count:     4
    .sgpr_spill_count: 0
    .symbol:         _ZN7rocprim17ROCPRIM_400000_NS6detail17trampoline_kernelINS0_14default_configENS1_22reduce_config_selectorIiEEZNS1_11reduce_implILb1ES3_PiS7_iN6thrust23THRUST_200600_302600_NS7maximumIiEEEE10hipError_tPvRmT1_T2_T3_mT4_P12ihipStream_tbEUlT_E1_NS1_11comp_targetILNS1_3genE9ELNS1_11target_archE1100ELNS1_3gpuE3ELNS1_3repE0EEENS1_30default_config_static_selectorELNS0_4arch9wavefront6targetE1EEEvSF_.kd
    .uniform_work_group_size: 1
    .uses_dynamic_stack: false
    .vgpr_count:     0
    .vgpr_spill_count: 0
    .wavefront_size: 64
  - .agpr_count:     0
    .args:
      - .offset:         0
        .size:           40
        .value_kind:     by_value
    .group_segment_fixed_size: 0
    .kernarg_segment_align: 8
    .kernarg_segment_size: 40
    .language:       OpenCL C
    .language_version:
      - 2
      - 0
    .max_flat_workgroup_size: 256
    .name:           _ZN7rocprim17ROCPRIM_400000_NS6detail17trampoline_kernelINS0_14default_configENS1_22reduce_config_selectorIiEEZNS1_11reduce_implILb1ES3_PiS7_iN6thrust23THRUST_200600_302600_NS7maximumIiEEEE10hipError_tPvRmT1_T2_T3_mT4_P12ihipStream_tbEUlT_E1_NS1_11comp_targetILNS1_3genE8ELNS1_11target_archE1030ELNS1_3gpuE2ELNS1_3repE0EEENS1_30default_config_static_selectorELNS0_4arch9wavefront6targetE1EEEvSF_
    .private_segment_fixed_size: 0
    .sgpr_count:     4
    .sgpr_spill_count: 0
    .symbol:         _ZN7rocprim17ROCPRIM_400000_NS6detail17trampoline_kernelINS0_14default_configENS1_22reduce_config_selectorIiEEZNS1_11reduce_implILb1ES3_PiS7_iN6thrust23THRUST_200600_302600_NS7maximumIiEEEE10hipError_tPvRmT1_T2_T3_mT4_P12ihipStream_tbEUlT_E1_NS1_11comp_targetILNS1_3genE8ELNS1_11target_archE1030ELNS1_3gpuE2ELNS1_3repE0EEENS1_30default_config_static_selectorELNS0_4arch9wavefront6targetE1EEEvSF_.kd
    .uniform_work_group_size: 1
    .uses_dynamic_stack: false
    .vgpr_count:     0
    .vgpr_spill_count: 0
    .wavefront_size: 64
  - .agpr_count:     0
    .args:
      - .address_space:  global
        .offset:         0
        .size:           8
        .value_kind:     global_buffer
      - .address_space:  global
        .offset:         8
        .size:           8
        .value_kind:     global_buffer
      - .address_space:  global
        .offset:         16
        .size:           8
        .value_kind:     global_buffer
      - .address_space:  global
        .offset:         24
        .size:           8
        .value_kind:     global_buffer
      - .address_space:  global
        .offset:         32
        .size:           8
        .value_kind:     global_buffer
      - .offset:         40
        .size:           4
        .value_kind:     by_value
      - .offset:         44
        .size:           4
        .value_kind:     by_value
      - .offset:         48
        .size:           4
        .value_kind:     hidden_block_count_x
      - .offset:         52
        .size:           4
        .value_kind:     hidden_block_count_y
      - .offset:         56
        .size:           4
        .value_kind:     hidden_block_count_z
      - .offset:         60
        .size:           2
        .value_kind:     hidden_group_size_x
      - .offset:         62
        .size:           2
        .value_kind:     hidden_group_size_y
      - .offset:         64
        .size:           2
        .value_kind:     hidden_group_size_z
      - .offset:         66
        .size:           2
        .value_kind:     hidden_remainder_x
      - .offset:         68
        .size:           2
        .value_kind:     hidden_remainder_y
      - .offset:         70
        .size:           2
        .value_kind:     hidden_remainder_z
      - .offset:         88
        .size:           8
        .value_kind:     hidden_global_offset_x
      - .offset:         96
        .size:           8
        .value_kind:     hidden_global_offset_y
      - .offset:         104
        .size:           8
        .value_kind:     hidden_global_offset_z
      - .offset:         112
        .size:           2
        .value_kind:     hidden_grid_dims
    .group_segment_fixed_size: 0
    .kernarg_segment_align: 8
    .kernarg_segment_size: 304
    .language:       OpenCL C
    .language_version:
      - 2
      - 0
    .max_flat_workgroup_size: 1024
    .name:           _Z36insert_batch_no_update_masked_kernelIyjEvPT_PT0_PKS0_PKS2_PKiii
    .private_segment_fixed_size: 0
    .sgpr_count:     22
    .sgpr_spill_count: 0
    .symbol:         _Z36insert_batch_no_update_masked_kernelIyjEvPT_PT0_PKS0_PKS2_PKiii.kd
    .uniform_work_group_size: 1
    .uses_dynamic_stack: false
    .vgpr_count:     16
    .vgpr_spill_count: 0
    .wavefront_size: 64
  - .agpr_count:     0
    .args:
      - .address_space:  global
        .offset:         0
        .size:           8
        .value_kind:     global_buffer
      - .address_space:  global
        .offset:         8
        .size:           8
        .value_kind:     global_buffer
      - .address_space:  global
        .offset:         16
        .size:           8
        .value_kind:     global_buffer
      - .address_space:  global
        .offset:         24
        .size:           8
        .value_kind:     global_buffer
      - .address_space:  global
        .offset:         32
        .size:           8
        .value_kind:     global_buffer
      - .offset:         40
        .size:           4
        .value_kind:     by_value
      - .offset:         44
        .size:           4
        .value_kind:     by_value
      - .offset:         48
        .size:           4
        .value_kind:     hidden_block_count_x
      - .offset:         52
        .size:           4
        .value_kind:     hidden_block_count_y
      - .offset:         56
        .size:           4
        .value_kind:     hidden_block_count_z
      - .offset:         60
        .size:           2
        .value_kind:     hidden_group_size_x
      - .offset:         62
        .size:           2
        .value_kind:     hidden_group_size_y
      - .offset:         64
        .size:           2
        .value_kind:     hidden_group_size_z
      - .offset:         66
        .size:           2
        .value_kind:     hidden_remainder_x
      - .offset:         68
        .size:           2
        .value_kind:     hidden_remainder_y
      - .offset:         70
        .size:           2
        .value_kind:     hidden_remainder_z
      - .offset:         88
        .size:           8
        .value_kind:     hidden_global_offset_x
      - .offset:         96
        .size:           8
        .value_kind:     hidden_global_offset_y
      - .offset:         104
        .size:           8
        .value_kind:     hidden_global_offset_z
      - .offset:         112
        .size:           2
        .value_kind:     hidden_grid_dims
    .group_segment_fixed_size: 0
    .kernarg_segment_align: 8
    .kernarg_segment_size: 304
    .language:       OpenCL C
    .language_version:
      - 2
      - 0
    .max_flat_workgroup_size: 1024
    .name:           _Z28retrieve_batch_masked_kernelIyjEvPT_PT0_PKS0_S3_PKiii
    .private_segment_fixed_size: 0
    .sgpr_count:     26
    .sgpr_spill_count: 0
    .symbol:         _Z28retrieve_batch_masked_kernelIyjEvPT_PT0_PKS0_S3_PKiii.kd
    .uniform_work_group_size: 1
    .uses_dynamic_stack: false
    .vgpr_count:     15
    .vgpr_spill_count: 0
    .wavefront_size: 64
  - .agpr_count:     0
    .args:
      - .offset:         0
        .size:           56
        .value_kind:     by_value
    .group_segment_fixed_size: 0
    .kernarg_segment_align: 8
    .kernarg_segment_size: 56
    .language:       OpenCL C
    .language_version:
      - 2
      - 0
    .max_flat_workgroup_size: 256
    .name:           _ZN7rocprim17ROCPRIM_400000_NS6detail17trampoline_kernelINS0_14default_configENS1_22reduce_config_selectorIjEEZNS1_11reduce_implILb1ES3_PjPiiN6thrust23THRUST_200600_302600_NS7maximumIjEEEE10hipError_tPvRmT1_T2_T3_mT4_P12ihipStream_tbEUlT_E0_NS1_11comp_targetILNS1_3genE0ELNS1_11target_archE4294967295ELNS1_3gpuE0ELNS1_3repE0EEENS1_30default_config_static_selectorELNS0_4arch9wavefront6targetE1EEEvSG_
    .private_segment_fixed_size: 0
    .sgpr_count:     4
    .sgpr_spill_count: 0
    .symbol:         _ZN7rocprim17ROCPRIM_400000_NS6detail17trampoline_kernelINS0_14default_configENS1_22reduce_config_selectorIjEEZNS1_11reduce_implILb1ES3_PjPiiN6thrust23THRUST_200600_302600_NS7maximumIjEEEE10hipError_tPvRmT1_T2_T3_mT4_P12ihipStream_tbEUlT_E0_NS1_11comp_targetILNS1_3genE0ELNS1_11target_archE4294967295ELNS1_3gpuE0ELNS1_3repE0EEENS1_30default_config_static_selectorELNS0_4arch9wavefront6targetE1EEEvSG_.kd
    .uniform_work_group_size: 1
    .uses_dynamic_stack: false
    .vgpr_count:     0
    .vgpr_spill_count: 0
    .wavefront_size: 64
  - .agpr_count:     0
    .args:
      - .offset:         0
        .size:           56
        .value_kind:     by_value
    .group_segment_fixed_size: 0
    .kernarg_segment_align: 8
    .kernarg_segment_size: 56
    .language:       OpenCL C
    .language_version:
      - 2
      - 0
    .max_flat_workgroup_size: 256
    .name:           _ZN7rocprim17ROCPRIM_400000_NS6detail17trampoline_kernelINS0_14default_configENS1_22reduce_config_selectorIjEEZNS1_11reduce_implILb1ES3_PjPiiN6thrust23THRUST_200600_302600_NS7maximumIjEEEE10hipError_tPvRmT1_T2_T3_mT4_P12ihipStream_tbEUlT_E0_NS1_11comp_targetILNS1_3genE5ELNS1_11target_archE942ELNS1_3gpuE9ELNS1_3repE0EEENS1_30default_config_static_selectorELNS0_4arch9wavefront6targetE1EEEvSG_
    .private_segment_fixed_size: 0
    .sgpr_count:     4
    .sgpr_spill_count: 0
    .symbol:         _ZN7rocprim17ROCPRIM_400000_NS6detail17trampoline_kernelINS0_14default_configENS1_22reduce_config_selectorIjEEZNS1_11reduce_implILb1ES3_PjPiiN6thrust23THRUST_200600_302600_NS7maximumIjEEEE10hipError_tPvRmT1_T2_T3_mT4_P12ihipStream_tbEUlT_E0_NS1_11comp_targetILNS1_3genE5ELNS1_11target_archE942ELNS1_3gpuE9ELNS1_3repE0EEENS1_30default_config_static_selectorELNS0_4arch9wavefront6targetE1EEEvSG_.kd
    .uniform_work_group_size: 1
    .uses_dynamic_stack: false
    .vgpr_count:     0
    .vgpr_spill_count: 0
    .wavefront_size: 64
  - .agpr_count:     0
    .args:
      - .offset:         0
        .size:           56
        .value_kind:     by_value
    .group_segment_fixed_size: 16
    .kernarg_segment_align: 8
    .kernarg_segment_size: 56
    .language:       OpenCL C
    .language_version:
      - 2
      - 0
    .max_flat_workgroup_size: 128
    .name:           _ZN7rocprim17ROCPRIM_400000_NS6detail17trampoline_kernelINS0_14default_configENS1_22reduce_config_selectorIjEEZNS1_11reduce_implILb1ES3_PjPiiN6thrust23THRUST_200600_302600_NS7maximumIjEEEE10hipError_tPvRmT1_T2_T3_mT4_P12ihipStream_tbEUlT_E0_NS1_11comp_targetILNS1_3genE4ELNS1_11target_archE910ELNS1_3gpuE8ELNS1_3repE0EEENS1_30default_config_static_selectorELNS0_4arch9wavefront6targetE1EEEvSG_
    .private_segment_fixed_size: 0
    .sgpr_count:     32
    .sgpr_spill_count: 0
    .symbol:         _ZN7rocprim17ROCPRIM_400000_NS6detail17trampoline_kernelINS0_14default_configENS1_22reduce_config_selectorIjEEZNS1_11reduce_implILb1ES3_PjPiiN6thrust23THRUST_200600_302600_NS7maximumIjEEEE10hipError_tPvRmT1_T2_T3_mT4_P12ihipStream_tbEUlT_E0_NS1_11comp_targetILNS1_3genE4ELNS1_11target_archE910ELNS1_3gpuE8ELNS1_3repE0EEENS1_30default_config_static_selectorELNS0_4arch9wavefront6targetE1EEEvSG_.kd
    .uniform_work_group_size: 1
    .uses_dynamic_stack: false
    .vgpr_count:     13
    .vgpr_spill_count: 0
    .wavefront_size: 64
  - .agpr_count:     0
    .args:
      - .offset:         0
        .size:           56
        .value_kind:     by_value
    .group_segment_fixed_size: 0
    .kernarg_segment_align: 8
    .kernarg_segment_size: 56
    .language:       OpenCL C
    .language_version:
      - 2
      - 0
    .max_flat_workgroup_size: 256
    .name:           _ZN7rocprim17ROCPRIM_400000_NS6detail17trampoline_kernelINS0_14default_configENS1_22reduce_config_selectorIjEEZNS1_11reduce_implILb1ES3_PjPiiN6thrust23THRUST_200600_302600_NS7maximumIjEEEE10hipError_tPvRmT1_T2_T3_mT4_P12ihipStream_tbEUlT_E0_NS1_11comp_targetILNS1_3genE3ELNS1_11target_archE908ELNS1_3gpuE7ELNS1_3repE0EEENS1_30default_config_static_selectorELNS0_4arch9wavefront6targetE1EEEvSG_
    .private_segment_fixed_size: 0
    .sgpr_count:     4
    .sgpr_spill_count: 0
    .symbol:         _ZN7rocprim17ROCPRIM_400000_NS6detail17trampoline_kernelINS0_14default_configENS1_22reduce_config_selectorIjEEZNS1_11reduce_implILb1ES3_PjPiiN6thrust23THRUST_200600_302600_NS7maximumIjEEEE10hipError_tPvRmT1_T2_T3_mT4_P12ihipStream_tbEUlT_E0_NS1_11comp_targetILNS1_3genE3ELNS1_11target_archE908ELNS1_3gpuE7ELNS1_3repE0EEENS1_30default_config_static_selectorELNS0_4arch9wavefront6targetE1EEEvSG_.kd
    .uniform_work_group_size: 1
    .uses_dynamic_stack: false
    .vgpr_count:     0
    .vgpr_spill_count: 0
    .wavefront_size: 64
  - .agpr_count:     0
    .args:
      - .offset:         0
        .size:           56
        .value_kind:     by_value
    .group_segment_fixed_size: 0
    .kernarg_segment_align: 8
    .kernarg_segment_size: 56
    .language:       OpenCL C
    .language_version:
      - 2
      - 0
    .max_flat_workgroup_size: 256
    .name:           _ZN7rocprim17ROCPRIM_400000_NS6detail17trampoline_kernelINS0_14default_configENS1_22reduce_config_selectorIjEEZNS1_11reduce_implILb1ES3_PjPiiN6thrust23THRUST_200600_302600_NS7maximumIjEEEE10hipError_tPvRmT1_T2_T3_mT4_P12ihipStream_tbEUlT_E0_NS1_11comp_targetILNS1_3genE2ELNS1_11target_archE906ELNS1_3gpuE6ELNS1_3repE0EEENS1_30default_config_static_selectorELNS0_4arch9wavefront6targetE1EEEvSG_
    .private_segment_fixed_size: 0
    .sgpr_count:     4
    .sgpr_spill_count: 0
    .symbol:         _ZN7rocprim17ROCPRIM_400000_NS6detail17trampoline_kernelINS0_14default_configENS1_22reduce_config_selectorIjEEZNS1_11reduce_implILb1ES3_PjPiiN6thrust23THRUST_200600_302600_NS7maximumIjEEEE10hipError_tPvRmT1_T2_T3_mT4_P12ihipStream_tbEUlT_E0_NS1_11comp_targetILNS1_3genE2ELNS1_11target_archE906ELNS1_3gpuE6ELNS1_3repE0EEENS1_30default_config_static_selectorELNS0_4arch9wavefront6targetE1EEEvSG_.kd
    .uniform_work_group_size: 1
    .uses_dynamic_stack: false
    .vgpr_count:     0
    .vgpr_spill_count: 0
    .wavefront_size: 64
  - .agpr_count:     0
    .args:
      - .offset:         0
        .size:           56
        .value_kind:     by_value
    .group_segment_fixed_size: 0
    .kernarg_segment_align: 8
    .kernarg_segment_size: 56
    .language:       OpenCL C
    .language_version:
      - 2
      - 0
    .max_flat_workgroup_size: 256
    .name:           _ZN7rocprim17ROCPRIM_400000_NS6detail17trampoline_kernelINS0_14default_configENS1_22reduce_config_selectorIjEEZNS1_11reduce_implILb1ES3_PjPiiN6thrust23THRUST_200600_302600_NS7maximumIjEEEE10hipError_tPvRmT1_T2_T3_mT4_P12ihipStream_tbEUlT_E0_NS1_11comp_targetILNS1_3genE10ELNS1_11target_archE1201ELNS1_3gpuE5ELNS1_3repE0EEENS1_30default_config_static_selectorELNS0_4arch9wavefront6targetE1EEEvSG_
    .private_segment_fixed_size: 0
    .sgpr_count:     4
    .sgpr_spill_count: 0
    .symbol:         _ZN7rocprim17ROCPRIM_400000_NS6detail17trampoline_kernelINS0_14default_configENS1_22reduce_config_selectorIjEEZNS1_11reduce_implILb1ES3_PjPiiN6thrust23THRUST_200600_302600_NS7maximumIjEEEE10hipError_tPvRmT1_T2_T3_mT4_P12ihipStream_tbEUlT_E0_NS1_11comp_targetILNS1_3genE10ELNS1_11target_archE1201ELNS1_3gpuE5ELNS1_3repE0EEENS1_30default_config_static_selectorELNS0_4arch9wavefront6targetE1EEEvSG_.kd
    .uniform_work_group_size: 1
    .uses_dynamic_stack: false
    .vgpr_count:     0
    .vgpr_spill_count: 0
    .wavefront_size: 64
  - .agpr_count:     0
    .args:
      - .offset:         0
        .size:           56
        .value_kind:     by_value
    .group_segment_fixed_size: 0
    .kernarg_segment_align: 8
    .kernarg_segment_size: 56
    .language:       OpenCL C
    .language_version:
      - 2
      - 0
    .max_flat_workgroup_size: 256
    .name:           _ZN7rocprim17ROCPRIM_400000_NS6detail17trampoline_kernelINS0_14default_configENS1_22reduce_config_selectorIjEEZNS1_11reduce_implILb1ES3_PjPiiN6thrust23THRUST_200600_302600_NS7maximumIjEEEE10hipError_tPvRmT1_T2_T3_mT4_P12ihipStream_tbEUlT_E0_NS1_11comp_targetILNS1_3genE10ELNS1_11target_archE1200ELNS1_3gpuE4ELNS1_3repE0EEENS1_30default_config_static_selectorELNS0_4arch9wavefront6targetE1EEEvSG_
    .private_segment_fixed_size: 0
    .sgpr_count:     4
    .sgpr_spill_count: 0
    .symbol:         _ZN7rocprim17ROCPRIM_400000_NS6detail17trampoline_kernelINS0_14default_configENS1_22reduce_config_selectorIjEEZNS1_11reduce_implILb1ES3_PjPiiN6thrust23THRUST_200600_302600_NS7maximumIjEEEE10hipError_tPvRmT1_T2_T3_mT4_P12ihipStream_tbEUlT_E0_NS1_11comp_targetILNS1_3genE10ELNS1_11target_archE1200ELNS1_3gpuE4ELNS1_3repE0EEENS1_30default_config_static_selectorELNS0_4arch9wavefront6targetE1EEEvSG_.kd
    .uniform_work_group_size: 1
    .uses_dynamic_stack: false
    .vgpr_count:     0
    .vgpr_spill_count: 0
    .wavefront_size: 64
  - .agpr_count:     0
    .args:
      - .offset:         0
        .size:           56
        .value_kind:     by_value
    .group_segment_fixed_size: 0
    .kernarg_segment_align: 8
    .kernarg_segment_size: 56
    .language:       OpenCL C
    .language_version:
      - 2
      - 0
    .max_flat_workgroup_size: 256
    .name:           _ZN7rocprim17ROCPRIM_400000_NS6detail17trampoline_kernelINS0_14default_configENS1_22reduce_config_selectorIjEEZNS1_11reduce_implILb1ES3_PjPiiN6thrust23THRUST_200600_302600_NS7maximumIjEEEE10hipError_tPvRmT1_T2_T3_mT4_P12ihipStream_tbEUlT_E0_NS1_11comp_targetILNS1_3genE9ELNS1_11target_archE1100ELNS1_3gpuE3ELNS1_3repE0EEENS1_30default_config_static_selectorELNS0_4arch9wavefront6targetE1EEEvSG_
    .private_segment_fixed_size: 0
    .sgpr_count:     4
    .sgpr_spill_count: 0
    .symbol:         _ZN7rocprim17ROCPRIM_400000_NS6detail17trampoline_kernelINS0_14default_configENS1_22reduce_config_selectorIjEEZNS1_11reduce_implILb1ES3_PjPiiN6thrust23THRUST_200600_302600_NS7maximumIjEEEE10hipError_tPvRmT1_T2_T3_mT4_P12ihipStream_tbEUlT_E0_NS1_11comp_targetILNS1_3genE9ELNS1_11target_archE1100ELNS1_3gpuE3ELNS1_3repE0EEENS1_30default_config_static_selectorELNS0_4arch9wavefront6targetE1EEEvSG_.kd
    .uniform_work_group_size: 1
    .uses_dynamic_stack: false
    .vgpr_count:     0
    .vgpr_spill_count: 0
    .wavefront_size: 64
  - .agpr_count:     0
    .args:
      - .offset:         0
        .size:           56
        .value_kind:     by_value
    .group_segment_fixed_size: 0
    .kernarg_segment_align: 8
    .kernarg_segment_size: 56
    .language:       OpenCL C
    .language_version:
      - 2
      - 0
    .max_flat_workgroup_size: 256
    .name:           _ZN7rocprim17ROCPRIM_400000_NS6detail17trampoline_kernelINS0_14default_configENS1_22reduce_config_selectorIjEEZNS1_11reduce_implILb1ES3_PjPiiN6thrust23THRUST_200600_302600_NS7maximumIjEEEE10hipError_tPvRmT1_T2_T3_mT4_P12ihipStream_tbEUlT_E0_NS1_11comp_targetILNS1_3genE8ELNS1_11target_archE1030ELNS1_3gpuE2ELNS1_3repE0EEENS1_30default_config_static_selectorELNS0_4arch9wavefront6targetE1EEEvSG_
    .private_segment_fixed_size: 0
    .sgpr_count:     4
    .sgpr_spill_count: 0
    .symbol:         _ZN7rocprim17ROCPRIM_400000_NS6detail17trampoline_kernelINS0_14default_configENS1_22reduce_config_selectorIjEEZNS1_11reduce_implILb1ES3_PjPiiN6thrust23THRUST_200600_302600_NS7maximumIjEEEE10hipError_tPvRmT1_T2_T3_mT4_P12ihipStream_tbEUlT_E0_NS1_11comp_targetILNS1_3genE8ELNS1_11target_archE1030ELNS1_3gpuE2ELNS1_3repE0EEENS1_30default_config_static_selectorELNS0_4arch9wavefront6targetE1EEEvSG_.kd
    .uniform_work_group_size: 1
    .uses_dynamic_stack: false
    .vgpr_count:     0
    .vgpr_spill_count: 0
    .wavefront_size: 64
  - .agpr_count:     0
    .args:
      - .offset:         0
        .size:           40
        .value_kind:     by_value
    .group_segment_fixed_size: 0
    .kernarg_segment_align: 8
    .kernarg_segment_size: 40
    .language:       OpenCL C
    .language_version:
      - 2
      - 0
    .max_flat_workgroup_size: 256
    .name:           _ZN7rocprim17ROCPRIM_400000_NS6detail17trampoline_kernelINS0_14default_configENS1_22reduce_config_selectorIjEEZNS1_11reduce_implILb1ES3_PjPiiN6thrust23THRUST_200600_302600_NS7maximumIjEEEE10hipError_tPvRmT1_T2_T3_mT4_P12ihipStream_tbEUlT_E1_NS1_11comp_targetILNS1_3genE0ELNS1_11target_archE4294967295ELNS1_3gpuE0ELNS1_3repE0EEENS1_30default_config_static_selectorELNS0_4arch9wavefront6targetE1EEEvSG_
    .private_segment_fixed_size: 0
    .sgpr_count:     4
    .sgpr_spill_count: 0
    .symbol:         _ZN7rocprim17ROCPRIM_400000_NS6detail17trampoline_kernelINS0_14default_configENS1_22reduce_config_selectorIjEEZNS1_11reduce_implILb1ES3_PjPiiN6thrust23THRUST_200600_302600_NS7maximumIjEEEE10hipError_tPvRmT1_T2_T3_mT4_P12ihipStream_tbEUlT_E1_NS1_11comp_targetILNS1_3genE0ELNS1_11target_archE4294967295ELNS1_3gpuE0ELNS1_3repE0EEENS1_30default_config_static_selectorELNS0_4arch9wavefront6targetE1EEEvSG_.kd
    .uniform_work_group_size: 1
    .uses_dynamic_stack: false
    .vgpr_count:     0
    .vgpr_spill_count: 0
    .wavefront_size: 64
  - .agpr_count:     0
    .args:
      - .offset:         0
        .size:           40
        .value_kind:     by_value
    .group_segment_fixed_size: 0
    .kernarg_segment_align: 8
    .kernarg_segment_size: 40
    .language:       OpenCL C
    .language_version:
      - 2
      - 0
    .max_flat_workgroup_size: 256
    .name:           _ZN7rocprim17ROCPRIM_400000_NS6detail17trampoline_kernelINS0_14default_configENS1_22reduce_config_selectorIjEEZNS1_11reduce_implILb1ES3_PjPiiN6thrust23THRUST_200600_302600_NS7maximumIjEEEE10hipError_tPvRmT1_T2_T3_mT4_P12ihipStream_tbEUlT_E1_NS1_11comp_targetILNS1_3genE5ELNS1_11target_archE942ELNS1_3gpuE9ELNS1_3repE0EEENS1_30default_config_static_selectorELNS0_4arch9wavefront6targetE1EEEvSG_
    .private_segment_fixed_size: 0
    .sgpr_count:     4
    .sgpr_spill_count: 0
    .symbol:         _ZN7rocprim17ROCPRIM_400000_NS6detail17trampoline_kernelINS0_14default_configENS1_22reduce_config_selectorIjEEZNS1_11reduce_implILb1ES3_PjPiiN6thrust23THRUST_200600_302600_NS7maximumIjEEEE10hipError_tPvRmT1_T2_T3_mT4_P12ihipStream_tbEUlT_E1_NS1_11comp_targetILNS1_3genE5ELNS1_11target_archE942ELNS1_3gpuE9ELNS1_3repE0EEENS1_30default_config_static_selectorELNS0_4arch9wavefront6targetE1EEEvSG_.kd
    .uniform_work_group_size: 1
    .uses_dynamic_stack: false
    .vgpr_count:     0
    .vgpr_spill_count: 0
    .wavefront_size: 64
  - .agpr_count:     0
    .args:
      - .offset:         0
        .size:           40
        .value_kind:     by_value
    .group_segment_fixed_size: 56
    .kernarg_segment_align: 8
    .kernarg_segment_size: 40
    .language:       OpenCL C
    .language_version:
      - 2
      - 0
    .max_flat_workgroup_size: 128
    .name:           _ZN7rocprim17ROCPRIM_400000_NS6detail17trampoline_kernelINS0_14default_configENS1_22reduce_config_selectorIjEEZNS1_11reduce_implILb1ES3_PjPiiN6thrust23THRUST_200600_302600_NS7maximumIjEEEE10hipError_tPvRmT1_T2_T3_mT4_P12ihipStream_tbEUlT_E1_NS1_11comp_targetILNS1_3genE4ELNS1_11target_archE910ELNS1_3gpuE8ELNS1_3repE0EEENS1_30default_config_static_selectorELNS0_4arch9wavefront6targetE1EEEvSG_
    .private_segment_fixed_size: 0
    .sgpr_count:     81
    .sgpr_spill_count: 0
    .symbol:         _ZN7rocprim17ROCPRIM_400000_NS6detail17trampoline_kernelINS0_14default_configENS1_22reduce_config_selectorIjEEZNS1_11reduce_implILb1ES3_PjPiiN6thrust23THRUST_200600_302600_NS7maximumIjEEEE10hipError_tPvRmT1_T2_T3_mT4_P12ihipStream_tbEUlT_E1_NS1_11comp_targetILNS1_3genE4ELNS1_11target_archE910ELNS1_3gpuE8ELNS1_3repE0EEENS1_30default_config_static_selectorELNS0_4arch9wavefront6targetE1EEEvSG_.kd
    .uniform_work_group_size: 1
    .uses_dynamic_stack: false
    .vgpr_count:     35
    .vgpr_spill_count: 0
    .wavefront_size: 64
  - .agpr_count:     0
    .args:
      - .offset:         0
        .size:           40
        .value_kind:     by_value
    .group_segment_fixed_size: 0
    .kernarg_segment_align: 8
    .kernarg_segment_size: 40
    .language:       OpenCL C
    .language_version:
      - 2
      - 0
    .max_flat_workgroup_size: 256
    .name:           _ZN7rocprim17ROCPRIM_400000_NS6detail17trampoline_kernelINS0_14default_configENS1_22reduce_config_selectorIjEEZNS1_11reduce_implILb1ES3_PjPiiN6thrust23THRUST_200600_302600_NS7maximumIjEEEE10hipError_tPvRmT1_T2_T3_mT4_P12ihipStream_tbEUlT_E1_NS1_11comp_targetILNS1_3genE3ELNS1_11target_archE908ELNS1_3gpuE7ELNS1_3repE0EEENS1_30default_config_static_selectorELNS0_4arch9wavefront6targetE1EEEvSG_
    .private_segment_fixed_size: 0
    .sgpr_count:     4
    .sgpr_spill_count: 0
    .symbol:         _ZN7rocprim17ROCPRIM_400000_NS6detail17trampoline_kernelINS0_14default_configENS1_22reduce_config_selectorIjEEZNS1_11reduce_implILb1ES3_PjPiiN6thrust23THRUST_200600_302600_NS7maximumIjEEEE10hipError_tPvRmT1_T2_T3_mT4_P12ihipStream_tbEUlT_E1_NS1_11comp_targetILNS1_3genE3ELNS1_11target_archE908ELNS1_3gpuE7ELNS1_3repE0EEENS1_30default_config_static_selectorELNS0_4arch9wavefront6targetE1EEEvSG_.kd
    .uniform_work_group_size: 1
    .uses_dynamic_stack: false
    .vgpr_count:     0
    .vgpr_spill_count: 0
    .wavefront_size: 64
  - .agpr_count:     0
    .args:
      - .offset:         0
        .size:           40
        .value_kind:     by_value
    .group_segment_fixed_size: 0
    .kernarg_segment_align: 8
    .kernarg_segment_size: 40
    .language:       OpenCL C
    .language_version:
      - 2
      - 0
    .max_flat_workgroup_size: 256
    .name:           _ZN7rocprim17ROCPRIM_400000_NS6detail17trampoline_kernelINS0_14default_configENS1_22reduce_config_selectorIjEEZNS1_11reduce_implILb1ES3_PjPiiN6thrust23THRUST_200600_302600_NS7maximumIjEEEE10hipError_tPvRmT1_T2_T3_mT4_P12ihipStream_tbEUlT_E1_NS1_11comp_targetILNS1_3genE2ELNS1_11target_archE906ELNS1_3gpuE6ELNS1_3repE0EEENS1_30default_config_static_selectorELNS0_4arch9wavefront6targetE1EEEvSG_
    .private_segment_fixed_size: 0
    .sgpr_count:     4
    .sgpr_spill_count: 0
    .symbol:         _ZN7rocprim17ROCPRIM_400000_NS6detail17trampoline_kernelINS0_14default_configENS1_22reduce_config_selectorIjEEZNS1_11reduce_implILb1ES3_PjPiiN6thrust23THRUST_200600_302600_NS7maximumIjEEEE10hipError_tPvRmT1_T2_T3_mT4_P12ihipStream_tbEUlT_E1_NS1_11comp_targetILNS1_3genE2ELNS1_11target_archE906ELNS1_3gpuE6ELNS1_3repE0EEENS1_30default_config_static_selectorELNS0_4arch9wavefront6targetE1EEEvSG_.kd
    .uniform_work_group_size: 1
    .uses_dynamic_stack: false
    .vgpr_count:     0
    .vgpr_spill_count: 0
    .wavefront_size: 64
  - .agpr_count:     0
    .args:
      - .offset:         0
        .size:           40
        .value_kind:     by_value
    .group_segment_fixed_size: 0
    .kernarg_segment_align: 8
    .kernarg_segment_size: 40
    .language:       OpenCL C
    .language_version:
      - 2
      - 0
    .max_flat_workgroup_size: 256
    .name:           _ZN7rocprim17ROCPRIM_400000_NS6detail17trampoline_kernelINS0_14default_configENS1_22reduce_config_selectorIjEEZNS1_11reduce_implILb1ES3_PjPiiN6thrust23THRUST_200600_302600_NS7maximumIjEEEE10hipError_tPvRmT1_T2_T3_mT4_P12ihipStream_tbEUlT_E1_NS1_11comp_targetILNS1_3genE10ELNS1_11target_archE1201ELNS1_3gpuE5ELNS1_3repE0EEENS1_30default_config_static_selectorELNS0_4arch9wavefront6targetE1EEEvSG_
    .private_segment_fixed_size: 0
    .sgpr_count:     4
    .sgpr_spill_count: 0
    .symbol:         _ZN7rocprim17ROCPRIM_400000_NS6detail17trampoline_kernelINS0_14default_configENS1_22reduce_config_selectorIjEEZNS1_11reduce_implILb1ES3_PjPiiN6thrust23THRUST_200600_302600_NS7maximumIjEEEE10hipError_tPvRmT1_T2_T3_mT4_P12ihipStream_tbEUlT_E1_NS1_11comp_targetILNS1_3genE10ELNS1_11target_archE1201ELNS1_3gpuE5ELNS1_3repE0EEENS1_30default_config_static_selectorELNS0_4arch9wavefront6targetE1EEEvSG_.kd
    .uniform_work_group_size: 1
    .uses_dynamic_stack: false
    .vgpr_count:     0
    .vgpr_spill_count: 0
    .wavefront_size: 64
  - .agpr_count:     0
    .args:
      - .offset:         0
        .size:           40
        .value_kind:     by_value
    .group_segment_fixed_size: 0
    .kernarg_segment_align: 8
    .kernarg_segment_size: 40
    .language:       OpenCL C
    .language_version:
      - 2
      - 0
    .max_flat_workgroup_size: 256
    .name:           _ZN7rocprim17ROCPRIM_400000_NS6detail17trampoline_kernelINS0_14default_configENS1_22reduce_config_selectorIjEEZNS1_11reduce_implILb1ES3_PjPiiN6thrust23THRUST_200600_302600_NS7maximumIjEEEE10hipError_tPvRmT1_T2_T3_mT4_P12ihipStream_tbEUlT_E1_NS1_11comp_targetILNS1_3genE10ELNS1_11target_archE1200ELNS1_3gpuE4ELNS1_3repE0EEENS1_30default_config_static_selectorELNS0_4arch9wavefront6targetE1EEEvSG_
    .private_segment_fixed_size: 0
    .sgpr_count:     4
    .sgpr_spill_count: 0
    .symbol:         _ZN7rocprim17ROCPRIM_400000_NS6detail17trampoline_kernelINS0_14default_configENS1_22reduce_config_selectorIjEEZNS1_11reduce_implILb1ES3_PjPiiN6thrust23THRUST_200600_302600_NS7maximumIjEEEE10hipError_tPvRmT1_T2_T3_mT4_P12ihipStream_tbEUlT_E1_NS1_11comp_targetILNS1_3genE10ELNS1_11target_archE1200ELNS1_3gpuE4ELNS1_3repE0EEENS1_30default_config_static_selectorELNS0_4arch9wavefront6targetE1EEEvSG_.kd
    .uniform_work_group_size: 1
    .uses_dynamic_stack: false
    .vgpr_count:     0
    .vgpr_spill_count: 0
    .wavefront_size: 64
  - .agpr_count:     0
    .args:
      - .offset:         0
        .size:           40
        .value_kind:     by_value
    .group_segment_fixed_size: 0
    .kernarg_segment_align: 8
    .kernarg_segment_size: 40
    .language:       OpenCL C
    .language_version:
      - 2
      - 0
    .max_flat_workgroup_size: 256
    .name:           _ZN7rocprim17ROCPRIM_400000_NS6detail17trampoline_kernelINS0_14default_configENS1_22reduce_config_selectorIjEEZNS1_11reduce_implILb1ES3_PjPiiN6thrust23THRUST_200600_302600_NS7maximumIjEEEE10hipError_tPvRmT1_T2_T3_mT4_P12ihipStream_tbEUlT_E1_NS1_11comp_targetILNS1_3genE9ELNS1_11target_archE1100ELNS1_3gpuE3ELNS1_3repE0EEENS1_30default_config_static_selectorELNS0_4arch9wavefront6targetE1EEEvSG_
    .private_segment_fixed_size: 0
    .sgpr_count:     4
    .sgpr_spill_count: 0
    .symbol:         _ZN7rocprim17ROCPRIM_400000_NS6detail17trampoline_kernelINS0_14default_configENS1_22reduce_config_selectorIjEEZNS1_11reduce_implILb1ES3_PjPiiN6thrust23THRUST_200600_302600_NS7maximumIjEEEE10hipError_tPvRmT1_T2_T3_mT4_P12ihipStream_tbEUlT_E1_NS1_11comp_targetILNS1_3genE9ELNS1_11target_archE1100ELNS1_3gpuE3ELNS1_3repE0EEENS1_30default_config_static_selectorELNS0_4arch9wavefront6targetE1EEEvSG_.kd
    .uniform_work_group_size: 1
    .uses_dynamic_stack: false
    .vgpr_count:     0
    .vgpr_spill_count: 0
    .wavefront_size: 64
  - .agpr_count:     0
    .args:
      - .offset:         0
        .size:           40
        .value_kind:     by_value
    .group_segment_fixed_size: 0
    .kernarg_segment_align: 8
    .kernarg_segment_size: 40
    .language:       OpenCL C
    .language_version:
      - 2
      - 0
    .max_flat_workgroup_size: 256
    .name:           _ZN7rocprim17ROCPRIM_400000_NS6detail17trampoline_kernelINS0_14default_configENS1_22reduce_config_selectorIjEEZNS1_11reduce_implILb1ES3_PjPiiN6thrust23THRUST_200600_302600_NS7maximumIjEEEE10hipError_tPvRmT1_T2_T3_mT4_P12ihipStream_tbEUlT_E1_NS1_11comp_targetILNS1_3genE8ELNS1_11target_archE1030ELNS1_3gpuE2ELNS1_3repE0EEENS1_30default_config_static_selectorELNS0_4arch9wavefront6targetE1EEEvSG_
    .private_segment_fixed_size: 0
    .sgpr_count:     4
    .sgpr_spill_count: 0
    .symbol:         _ZN7rocprim17ROCPRIM_400000_NS6detail17trampoline_kernelINS0_14default_configENS1_22reduce_config_selectorIjEEZNS1_11reduce_implILb1ES3_PjPiiN6thrust23THRUST_200600_302600_NS7maximumIjEEEE10hipError_tPvRmT1_T2_T3_mT4_P12ihipStream_tbEUlT_E1_NS1_11comp_targetILNS1_3genE8ELNS1_11target_archE1030ELNS1_3gpuE2ELNS1_3repE0EEENS1_30default_config_static_selectorELNS0_4arch9wavefront6targetE1EEEvSG_.kd
    .uniform_work_group_size: 1
    .uses_dynamic_stack: false
    .vgpr_count:     0
    .vgpr_spill_count: 0
    .wavefront_size: 64
  - .agpr_count:     0
    .args:
      - .offset:         0
        .size:           72
        .value_kind:     by_value
    .group_segment_fixed_size: 0
    .kernarg_segment_align: 8
    .kernarg_segment_size: 72
    .language:       OpenCL C
    .language_version:
      - 2
      - 0
    .max_flat_workgroup_size: 256
    .name:           _ZN7rocprim17ROCPRIM_400000_NS6detail17trampoline_kernelINS0_14default_configENS1_22reduce_config_selectorIiEEZNS1_11reduce_implILb1ES3_N6thrust23THRUST_200600_302600_NS11hip_rocprim26transform_input_iterator_tIiNS8_12zip_iteratorINS8_5tupleIPjPiNS8_9null_typeESF_SF_SF_SF_SF_SF_SF_EEEEN6dUtils22getValueFilteredByMaskIjiEEEESE_iNS8_7maximumIjEEEE10hipError_tPvRmT1_T2_T3_mT4_P12ihipStream_tbEUlT_E0_NS1_11comp_targetILNS1_3genE0ELNS1_11target_archE4294967295ELNS1_3gpuE0ELNS1_3repE0EEENS1_30default_config_static_selectorELNS0_4arch9wavefront6targetE1EEEvSR_
    .private_segment_fixed_size: 0
    .sgpr_count:     4
    .sgpr_spill_count: 0
    .symbol:         _ZN7rocprim17ROCPRIM_400000_NS6detail17trampoline_kernelINS0_14default_configENS1_22reduce_config_selectorIiEEZNS1_11reduce_implILb1ES3_N6thrust23THRUST_200600_302600_NS11hip_rocprim26transform_input_iterator_tIiNS8_12zip_iteratorINS8_5tupleIPjPiNS8_9null_typeESF_SF_SF_SF_SF_SF_SF_EEEEN6dUtils22getValueFilteredByMaskIjiEEEESE_iNS8_7maximumIjEEEE10hipError_tPvRmT1_T2_T3_mT4_P12ihipStream_tbEUlT_E0_NS1_11comp_targetILNS1_3genE0ELNS1_11target_archE4294967295ELNS1_3gpuE0ELNS1_3repE0EEENS1_30default_config_static_selectorELNS0_4arch9wavefront6targetE1EEEvSR_.kd
    .uniform_work_group_size: 1
    .uses_dynamic_stack: false
    .vgpr_count:     0
    .vgpr_spill_count: 0
    .wavefront_size: 64
  - .agpr_count:     0
    .args:
      - .offset:         0
        .size:           72
        .value_kind:     by_value
    .group_segment_fixed_size: 0
    .kernarg_segment_align: 8
    .kernarg_segment_size: 72
    .language:       OpenCL C
    .language_version:
      - 2
      - 0
    .max_flat_workgroup_size: 256
    .name:           _ZN7rocprim17ROCPRIM_400000_NS6detail17trampoline_kernelINS0_14default_configENS1_22reduce_config_selectorIiEEZNS1_11reduce_implILb1ES3_N6thrust23THRUST_200600_302600_NS11hip_rocprim26transform_input_iterator_tIiNS8_12zip_iteratorINS8_5tupleIPjPiNS8_9null_typeESF_SF_SF_SF_SF_SF_SF_EEEEN6dUtils22getValueFilteredByMaskIjiEEEESE_iNS8_7maximumIjEEEE10hipError_tPvRmT1_T2_T3_mT4_P12ihipStream_tbEUlT_E0_NS1_11comp_targetILNS1_3genE5ELNS1_11target_archE942ELNS1_3gpuE9ELNS1_3repE0EEENS1_30default_config_static_selectorELNS0_4arch9wavefront6targetE1EEEvSR_
    .private_segment_fixed_size: 0
    .sgpr_count:     4
    .sgpr_spill_count: 0
    .symbol:         _ZN7rocprim17ROCPRIM_400000_NS6detail17trampoline_kernelINS0_14default_configENS1_22reduce_config_selectorIiEEZNS1_11reduce_implILb1ES3_N6thrust23THRUST_200600_302600_NS11hip_rocprim26transform_input_iterator_tIiNS8_12zip_iteratorINS8_5tupleIPjPiNS8_9null_typeESF_SF_SF_SF_SF_SF_SF_EEEEN6dUtils22getValueFilteredByMaskIjiEEEESE_iNS8_7maximumIjEEEE10hipError_tPvRmT1_T2_T3_mT4_P12ihipStream_tbEUlT_E0_NS1_11comp_targetILNS1_3genE5ELNS1_11target_archE942ELNS1_3gpuE9ELNS1_3repE0EEENS1_30default_config_static_selectorELNS0_4arch9wavefront6targetE1EEEvSR_.kd
    .uniform_work_group_size: 1
    .uses_dynamic_stack: false
    .vgpr_count:     0
    .vgpr_spill_count: 0
    .wavefront_size: 64
  - .agpr_count:     0
    .args:
      - .offset:         0
        .size:           72
        .value_kind:     by_value
    .group_segment_fixed_size: 16
    .kernarg_segment_align: 8
    .kernarg_segment_size: 72
    .language:       OpenCL C
    .language_version:
      - 2
      - 0
    .max_flat_workgroup_size: 128
    .name:           _ZN7rocprim17ROCPRIM_400000_NS6detail17trampoline_kernelINS0_14default_configENS1_22reduce_config_selectorIiEEZNS1_11reduce_implILb1ES3_N6thrust23THRUST_200600_302600_NS11hip_rocprim26transform_input_iterator_tIiNS8_12zip_iteratorINS8_5tupleIPjPiNS8_9null_typeESF_SF_SF_SF_SF_SF_SF_EEEEN6dUtils22getValueFilteredByMaskIjiEEEESE_iNS8_7maximumIjEEEE10hipError_tPvRmT1_T2_T3_mT4_P12ihipStream_tbEUlT_E0_NS1_11comp_targetILNS1_3genE4ELNS1_11target_archE910ELNS1_3gpuE8ELNS1_3repE0EEENS1_30default_config_static_selectorELNS0_4arch9wavefront6targetE1EEEvSR_
    .private_segment_fixed_size: 0
    .sgpr_count:     35
    .sgpr_spill_count: 0
    .symbol:         _ZN7rocprim17ROCPRIM_400000_NS6detail17trampoline_kernelINS0_14default_configENS1_22reduce_config_selectorIiEEZNS1_11reduce_implILb1ES3_N6thrust23THRUST_200600_302600_NS11hip_rocprim26transform_input_iterator_tIiNS8_12zip_iteratorINS8_5tupleIPjPiNS8_9null_typeESF_SF_SF_SF_SF_SF_SF_EEEEN6dUtils22getValueFilteredByMaskIjiEEEESE_iNS8_7maximumIjEEEE10hipError_tPvRmT1_T2_T3_mT4_P12ihipStream_tbEUlT_E0_NS1_11comp_targetILNS1_3genE4ELNS1_11target_archE910ELNS1_3gpuE8ELNS1_3repE0EEENS1_30default_config_static_selectorELNS0_4arch9wavefront6targetE1EEEvSR_.kd
    .uniform_work_group_size: 1
    .uses_dynamic_stack: false
    .vgpr_count:     21
    .vgpr_spill_count: 0
    .wavefront_size: 64
  - .agpr_count:     0
    .args:
      - .offset:         0
        .size:           72
        .value_kind:     by_value
    .group_segment_fixed_size: 0
    .kernarg_segment_align: 8
    .kernarg_segment_size: 72
    .language:       OpenCL C
    .language_version:
      - 2
      - 0
    .max_flat_workgroup_size: 256
    .name:           _ZN7rocprim17ROCPRIM_400000_NS6detail17trampoline_kernelINS0_14default_configENS1_22reduce_config_selectorIiEEZNS1_11reduce_implILb1ES3_N6thrust23THRUST_200600_302600_NS11hip_rocprim26transform_input_iterator_tIiNS8_12zip_iteratorINS8_5tupleIPjPiNS8_9null_typeESF_SF_SF_SF_SF_SF_SF_EEEEN6dUtils22getValueFilteredByMaskIjiEEEESE_iNS8_7maximumIjEEEE10hipError_tPvRmT1_T2_T3_mT4_P12ihipStream_tbEUlT_E0_NS1_11comp_targetILNS1_3genE3ELNS1_11target_archE908ELNS1_3gpuE7ELNS1_3repE0EEENS1_30default_config_static_selectorELNS0_4arch9wavefront6targetE1EEEvSR_
    .private_segment_fixed_size: 0
    .sgpr_count:     4
    .sgpr_spill_count: 0
    .symbol:         _ZN7rocprim17ROCPRIM_400000_NS6detail17trampoline_kernelINS0_14default_configENS1_22reduce_config_selectorIiEEZNS1_11reduce_implILb1ES3_N6thrust23THRUST_200600_302600_NS11hip_rocprim26transform_input_iterator_tIiNS8_12zip_iteratorINS8_5tupleIPjPiNS8_9null_typeESF_SF_SF_SF_SF_SF_SF_EEEEN6dUtils22getValueFilteredByMaskIjiEEEESE_iNS8_7maximumIjEEEE10hipError_tPvRmT1_T2_T3_mT4_P12ihipStream_tbEUlT_E0_NS1_11comp_targetILNS1_3genE3ELNS1_11target_archE908ELNS1_3gpuE7ELNS1_3repE0EEENS1_30default_config_static_selectorELNS0_4arch9wavefront6targetE1EEEvSR_.kd
    .uniform_work_group_size: 1
    .uses_dynamic_stack: false
    .vgpr_count:     0
    .vgpr_spill_count: 0
    .wavefront_size: 64
  - .agpr_count:     0
    .args:
      - .offset:         0
        .size:           72
        .value_kind:     by_value
    .group_segment_fixed_size: 0
    .kernarg_segment_align: 8
    .kernarg_segment_size: 72
    .language:       OpenCL C
    .language_version:
      - 2
      - 0
    .max_flat_workgroup_size: 256
    .name:           _ZN7rocprim17ROCPRIM_400000_NS6detail17trampoline_kernelINS0_14default_configENS1_22reduce_config_selectorIiEEZNS1_11reduce_implILb1ES3_N6thrust23THRUST_200600_302600_NS11hip_rocprim26transform_input_iterator_tIiNS8_12zip_iteratorINS8_5tupleIPjPiNS8_9null_typeESF_SF_SF_SF_SF_SF_SF_EEEEN6dUtils22getValueFilteredByMaskIjiEEEESE_iNS8_7maximumIjEEEE10hipError_tPvRmT1_T2_T3_mT4_P12ihipStream_tbEUlT_E0_NS1_11comp_targetILNS1_3genE2ELNS1_11target_archE906ELNS1_3gpuE6ELNS1_3repE0EEENS1_30default_config_static_selectorELNS0_4arch9wavefront6targetE1EEEvSR_
    .private_segment_fixed_size: 0
    .sgpr_count:     4
    .sgpr_spill_count: 0
    .symbol:         _ZN7rocprim17ROCPRIM_400000_NS6detail17trampoline_kernelINS0_14default_configENS1_22reduce_config_selectorIiEEZNS1_11reduce_implILb1ES3_N6thrust23THRUST_200600_302600_NS11hip_rocprim26transform_input_iterator_tIiNS8_12zip_iteratorINS8_5tupleIPjPiNS8_9null_typeESF_SF_SF_SF_SF_SF_SF_EEEEN6dUtils22getValueFilteredByMaskIjiEEEESE_iNS8_7maximumIjEEEE10hipError_tPvRmT1_T2_T3_mT4_P12ihipStream_tbEUlT_E0_NS1_11comp_targetILNS1_3genE2ELNS1_11target_archE906ELNS1_3gpuE6ELNS1_3repE0EEENS1_30default_config_static_selectorELNS0_4arch9wavefront6targetE1EEEvSR_.kd
    .uniform_work_group_size: 1
    .uses_dynamic_stack: false
    .vgpr_count:     0
    .vgpr_spill_count: 0
    .wavefront_size: 64
  - .agpr_count:     0
    .args:
      - .offset:         0
        .size:           72
        .value_kind:     by_value
    .group_segment_fixed_size: 0
    .kernarg_segment_align: 8
    .kernarg_segment_size: 72
    .language:       OpenCL C
    .language_version:
      - 2
      - 0
    .max_flat_workgroup_size: 256
    .name:           _ZN7rocprim17ROCPRIM_400000_NS6detail17trampoline_kernelINS0_14default_configENS1_22reduce_config_selectorIiEEZNS1_11reduce_implILb1ES3_N6thrust23THRUST_200600_302600_NS11hip_rocprim26transform_input_iterator_tIiNS8_12zip_iteratorINS8_5tupleIPjPiNS8_9null_typeESF_SF_SF_SF_SF_SF_SF_EEEEN6dUtils22getValueFilteredByMaskIjiEEEESE_iNS8_7maximumIjEEEE10hipError_tPvRmT1_T2_T3_mT4_P12ihipStream_tbEUlT_E0_NS1_11comp_targetILNS1_3genE10ELNS1_11target_archE1201ELNS1_3gpuE5ELNS1_3repE0EEENS1_30default_config_static_selectorELNS0_4arch9wavefront6targetE1EEEvSR_
    .private_segment_fixed_size: 0
    .sgpr_count:     4
    .sgpr_spill_count: 0
    .symbol:         _ZN7rocprim17ROCPRIM_400000_NS6detail17trampoline_kernelINS0_14default_configENS1_22reduce_config_selectorIiEEZNS1_11reduce_implILb1ES3_N6thrust23THRUST_200600_302600_NS11hip_rocprim26transform_input_iterator_tIiNS8_12zip_iteratorINS8_5tupleIPjPiNS8_9null_typeESF_SF_SF_SF_SF_SF_SF_EEEEN6dUtils22getValueFilteredByMaskIjiEEEESE_iNS8_7maximumIjEEEE10hipError_tPvRmT1_T2_T3_mT4_P12ihipStream_tbEUlT_E0_NS1_11comp_targetILNS1_3genE10ELNS1_11target_archE1201ELNS1_3gpuE5ELNS1_3repE0EEENS1_30default_config_static_selectorELNS0_4arch9wavefront6targetE1EEEvSR_.kd
    .uniform_work_group_size: 1
    .uses_dynamic_stack: false
    .vgpr_count:     0
    .vgpr_spill_count: 0
    .wavefront_size: 64
  - .agpr_count:     0
    .args:
      - .offset:         0
        .size:           72
        .value_kind:     by_value
    .group_segment_fixed_size: 0
    .kernarg_segment_align: 8
    .kernarg_segment_size: 72
    .language:       OpenCL C
    .language_version:
      - 2
      - 0
    .max_flat_workgroup_size: 256
    .name:           _ZN7rocprim17ROCPRIM_400000_NS6detail17trampoline_kernelINS0_14default_configENS1_22reduce_config_selectorIiEEZNS1_11reduce_implILb1ES3_N6thrust23THRUST_200600_302600_NS11hip_rocprim26transform_input_iterator_tIiNS8_12zip_iteratorINS8_5tupleIPjPiNS8_9null_typeESF_SF_SF_SF_SF_SF_SF_EEEEN6dUtils22getValueFilteredByMaskIjiEEEESE_iNS8_7maximumIjEEEE10hipError_tPvRmT1_T2_T3_mT4_P12ihipStream_tbEUlT_E0_NS1_11comp_targetILNS1_3genE10ELNS1_11target_archE1200ELNS1_3gpuE4ELNS1_3repE0EEENS1_30default_config_static_selectorELNS0_4arch9wavefront6targetE1EEEvSR_
    .private_segment_fixed_size: 0
    .sgpr_count:     4
    .sgpr_spill_count: 0
    .symbol:         _ZN7rocprim17ROCPRIM_400000_NS6detail17trampoline_kernelINS0_14default_configENS1_22reduce_config_selectorIiEEZNS1_11reduce_implILb1ES3_N6thrust23THRUST_200600_302600_NS11hip_rocprim26transform_input_iterator_tIiNS8_12zip_iteratorINS8_5tupleIPjPiNS8_9null_typeESF_SF_SF_SF_SF_SF_SF_EEEEN6dUtils22getValueFilteredByMaskIjiEEEESE_iNS8_7maximumIjEEEE10hipError_tPvRmT1_T2_T3_mT4_P12ihipStream_tbEUlT_E0_NS1_11comp_targetILNS1_3genE10ELNS1_11target_archE1200ELNS1_3gpuE4ELNS1_3repE0EEENS1_30default_config_static_selectorELNS0_4arch9wavefront6targetE1EEEvSR_.kd
    .uniform_work_group_size: 1
    .uses_dynamic_stack: false
    .vgpr_count:     0
    .vgpr_spill_count: 0
    .wavefront_size: 64
  - .agpr_count:     0
    .args:
      - .offset:         0
        .size:           72
        .value_kind:     by_value
    .group_segment_fixed_size: 0
    .kernarg_segment_align: 8
    .kernarg_segment_size: 72
    .language:       OpenCL C
    .language_version:
      - 2
      - 0
    .max_flat_workgroup_size: 256
    .name:           _ZN7rocprim17ROCPRIM_400000_NS6detail17trampoline_kernelINS0_14default_configENS1_22reduce_config_selectorIiEEZNS1_11reduce_implILb1ES3_N6thrust23THRUST_200600_302600_NS11hip_rocprim26transform_input_iterator_tIiNS8_12zip_iteratorINS8_5tupleIPjPiNS8_9null_typeESF_SF_SF_SF_SF_SF_SF_EEEEN6dUtils22getValueFilteredByMaskIjiEEEESE_iNS8_7maximumIjEEEE10hipError_tPvRmT1_T2_T3_mT4_P12ihipStream_tbEUlT_E0_NS1_11comp_targetILNS1_3genE9ELNS1_11target_archE1100ELNS1_3gpuE3ELNS1_3repE0EEENS1_30default_config_static_selectorELNS0_4arch9wavefront6targetE1EEEvSR_
    .private_segment_fixed_size: 0
    .sgpr_count:     4
    .sgpr_spill_count: 0
    .symbol:         _ZN7rocprim17ROCPRIM_400000_NS6detail17trampoline_kernelINS0_14default_configENS1_22reduce_config_selectorIiEEZNS1_11reduce_implILb1ES3_N6thrust23THRUST_200600_302600_NS11hip_rocprim26transform_input_iterator_tIiNS8_12zip_iteratorINS8_5tupleIPjPiNS8_9null_typeESF_SF_SF_SF_SF_SF_SF_EEEEN6dUtils22getValueFilteredByMaskIjiEEEESE_iNS8_7maximumIjEEEE10hipError_tPvRmT1_T2_T3_mT4_P12ihipStream_tbEUlT_E0_NS1_11comp_targetILNS1_3genE9ELNS1_11target_archE1100ELNS1_3gpuE3ELNS1_3repE0EEENS1_30default_config_static_selectorELNS0_4arch9wavefront6targetE1EEEvSR_.kd
    .uniform_work_group_size: 1
    .uses_dynamic_stack: false
    .vgpr_count:     0
    .vgpr_spill_count: 0
    .wavefront_size: 64
  - .agpr_count:     0
    .args:
      - .offset:         0
        .size:           72
        .value_kind:     by_value
    .group_segment_fixed_size: 0
    .kernarg_segment_align: 8
    .kernarg_segment_size: 72
    .language:       OpenCL C
    .language_version:
      - 2
      - 0
    .max_flat_workgroup_size: 256
    .name:           _ZN7rocprim17ROCPRIM_400000_NS6detail17trampoline_kernelINS0_14default_configENS1_22reduce_config_selectorIiEEZNS1_11reduce_implILb1ES3_N6thrust23THRUST_200600_302600_NS11hip_rocprim26transform_input_iterator_tIiNS8_12zip_iteratorINS8_5tupleIPjPiNS8_9null_typeESF_SF_SF_SF_SF_SF_SF_EEEEN6dUtils22getValueFilteredByMaskIjiEEEESE_iNS8_7maximumIjEEEE10hipError_tPvRmT1_T2_T3_mT4_P12ihipStream_tbEUlT_E0_NS1_11comp_targetILNS1_3genE8ELNS1_11target_archE1030ELNS1_3gpuE2ELNS1_3repE0EEENS1_30default_config_static_selectorELNS0_4arch9wavefront6targetE1EEEvSR_
    .private_segment_fixed_size: 0
    .sgpr_count:     4
    .sgpr_spill_count: 0
    .symbol:         _ZN7rocprim17ROCPRIM_400000_NS6detail17trampoline_kernelINS0_14default_configENS1_22reduce_config_selectorIiEEZNS1_11reduce_implILb1ES3_N6thrust23THRUST_200600_302600_NS11hip_rocprim26transform_input_iterator_tIiNS8_12zip_iteratorINS8_5tupleIPjPiNS8_9null_typeESF_SF_SF_SF_SF_SF_SF_EEEEN6dUtils22getValueFilteredByMaskIjiEEEESE_iNS8_7maximumIjEEEE10hipError_tPvRmT1_T2_T3_mT4_P12ihipStream_tbEUlT_E0_NS1_11comp_targetILNS1_3genE8ELNS1_11target_archE1030ELNS1_3gpuE2ELNS1_3repE0EEENS1_30default_config_static_selectorELNS0_4arch9wavefront6targetE1EEEvSR_.kd
    .uniform_work_group_size: 1
    .uses_dynamic_stack: false
    .vgpr_count:     0
    .vgpr_spill_count: 0
    .wavefront_size: 64
  - .agpr_count:     0
    .args:
      - .offset:         0
        .size:           56
        .value_kind:     by_value
    .group_segment_fixed_size: 0
    .kernarg_segment_align: 8
    .kernarg_segment_size: 56
    .language:       OpenCL C
    .language_version:
      - 2
      - 0
    .max_flat_workgroup_size: 256
    .name:           _ZN7rocprim17ROCPRIM_400000_NS6detail17trampoline_kernelINS0_14default_configENS1_22reduce_config_selectorIiEEZNS1_11reduce_implILb1ES3_N6thrust23THRUST_200600_302600_NS11hip_rocprim26transform_input_iterator_tIiNS8_12zip_iteratorINS8_5tupleIPjPiNS8_9null_typeESF_SF_SF_SF_SF_SF_SF_EEEEN6dUtils22getValueFilteredByMaskIjiEEEESE_iNS8_7maximumIjEEEE10hipError_tPvRmT1_T2_T3_mT4_P12ihipStream_tbEUlT_E1_NS1_11comp_targetILNS1_3genE0ELNS1_11target_archE4294967295ELNS1_3gpuE0ELNS1_3repE0EEENS1_30default_config_static_selectorELNS0_4arch9wavefront6targetE1EEEvSR_
    .private_segment_fixed_size: 0
    .sgpr_count:     4
    .sgpr_spill_count: 0
    .symbol:         _ZN7rocprim17ROCPRIM_400000_NS6detail17trampoline_kernelINS0_14default_configENS1_22reduce_config_selectorIiEEZNS1_11reduce_implILb1ES3_N6thrust23THRUST_200600_302600_NS11hip_rocprim26transform_input_iterator_tIiNS8_12zip_iteratorINS8_5tupleIPjPiNS8_9null_typeESF_SF_SF_SF_SF_SF_SF_EEEEN6dUtils22getValueFilteredByMaskIjiEEEESE_iNS8_7maximumIjEEEE10hipError_tPvRmT1_T2_T3_mT4_P12ihipStream_tbEUlT_E1_NS1_11comp_targetILNS1_3genE0ELNS1_11target_archE4294967295ELNS1_3gpuE0ELNS1_3repE0EEENS1_30default_config_static_selectorELNS0_4arch9wavefront6targetE1EEEvSR_.kd
    .uniform_work_group_size: 1
    .uses_dynamic_stack: false
    .vgpr_count:     0
    .vgpr_spill_count: 0
    .wavefront_size: 64
  - .agpr_count:     0
    .args:
      - .offset:         0
        .size:           56
        .value_kind:     by_value
    .group_segment_fixed_size: 0
    .kernarg_segment_align: 8
    .kernarg_segment_size: 56
    .language:       OpenCL C
    .language_version:
      - 2
      - 0
    .max_flat_workgroup_size: 256
    .name:           _ZN7rocprim17ROCPRIM_400000_NS6detail17trampoline_kernelINS0_14default_configENS1_22reduce_config_selectorIiEEZNS1_11reduce_implILb1ES3_N6thrust23THRUST_200600_302600_NS11hip_rocprim26transform_input_iterator_tIiNS8_12zip_iteratorINS8_5tupleIPjPiNS8_9null_typeESF_SF_SF_SF_SF_SF_SF_EEEEN6dUtils22getValueFilteredByMaskIjiEEEESE_iNS8_7maximumIjEEEE10hipError_tPvRmT1_T2_T3_mT4_P12ihipStream_tbEUlT_E1_NS1_11comp_targetILNS1_3genE5ELNS1_11target_archE942ELNS1_3gpuE9ELNS1_3repE0EEENS1_30default_config_static_selectorELNS0_4arch9wavefront6targetE1EEEvSR_
    .private_segment_fixed_size: 0
    .sgpr_count:     4
    .sgpr_spill_count: 0
    .symbol:         _ZN7rocprim17ROCPRIM_400000_NS6detail17trampoline_kernelINS0_14default_configENS1_22reduce_config_selectorIiEEZNS1_11reduce_implILb1ES3_N6thrust23THRUST_200600_302600_NS11hip_rocprim26transform_input_iterator_tIiNS8_12zip_iteratorINS8_5tupleIPjPiNS8_9null_typeESF_SF_SF_SF_SF_SF_SF_EEEEN6dUtils22getValueFilteredByMaskIjiEEEESE_iNS8_7maximumIjEEEE10hipError_tPvRmT1_T2_T3_mT4_P12ihipStream_tbEUlT_E1_NS1_11comp_targetILNS1_3genE5ELNS1_11target_archE942ELNS1_3gpuE9ELNS1_3repE0EEENS1_30default_config_static_selectorELNS0_4arch9wavefront6targetE1EEEvSR_.kd
    .uniform_work_group_size: 1
    .uses_dynamic_stack: false
    .vgpr_count:     0
    .vgpr_spill_count: 0
    .wavefront_size: 64
  - .agpr_count:     0
    .args:
      - .offset:         0
        .size:           56
        .value_kind:     by_value
    .group_segment_fixed_size: 56
    .kernarg_segment_align: 8
    .kernarg_segment_size: 56
    .language:       OpenCL C
    .language_version:
      - 2
      - 0
    .max_flat_workgroup_size: 128
    .name:           _ZN7rocprim17ROCPRIM_400000_NS6detail17trampoline_kernelINS0_14default_configENS1_22reduce_config_selectorIiEEZNS1_11reduce_implILb1ES3_N6thrust23THRUST_200600_302600_NS11hip_rocprim26transform_input_iterator_tIiNS8_12zip_iteratorINS8_5tupleIPjPiNS8_9null_typeESF_SF_SF_SF_SF_SF_SF_EEEEN6dUtils22getValueFilteredByMaskIjiEEEESE_iNS8_7maximumIjEEEE10hipError_tPvRmT1_T2_T3_mT4_P12ihipStream_tbEUlT_E1_NS1_11comp_targetILNS1_3genE4ELNS1_11target_archE910ELNS1_3gpuE8ELNS1_3repE0EEENS1_30default_config_static_selectorELNS0_4arch9wavefront6targetE1EEEvSR_
    .private_segment_fixed_size: 0
    .sgpr_count:     88
    .sgpr_spill_count: 0
    .symbol:         _ZN7rocprim17ROCPRIM_400000_NS6detail17trampoline_kernelINS0_14default_configENS1_22reduce_config_selectorIiEEZNS1_11reduce_implILb1ES3_N6thrust23THRUST_200600_302600_NS11hip_rocprim26transform_input_iterator_tIiNS8_12zip_iteratorINS8_5tupleIPjPiNS8_9null_typeESF_SF_SF_SF_SF_SF_SF_EEEEN6dUtils22getValueFilteredByMaskIjiEEEESE_iNS8_7maximumIjEEEE10hipError_tPvRmT1_T2_T3_mT4_P12ihipStream_tbEUlT_E1_NS1_11comp_targetILNS1_3genE4ELNS1_11target_archE910ELNS1_3gpuE8ELNS1_3repE0EEENS1_30default_config_static_selectorELNS0_4arch9wavefront6targetE1EEEvSR_.kd
    .uniform_work_group_size: 1
    .uses_dynamic_stack: false
    .vgpr_count:     64
    .vgpr_spill_count: 0
    .wavefront_size: 64
  - .agpr_count:     0
    .args:
      - .offset:         0
        .size:           56
        .value_kind:     by_value
    .group_segment_fixed_size: 0
    .kernarg_segment_align: 8
    .kernarg_segment_size: 56
    .language:       OpenCL C
    .language_version:
      - 2
      - 0
    .max_flat_workgroup_size: 256
    .name:           _ZN7rocprim17ROCPRIM_400000_NS6detail17trampoline_kernelINS0_14default_configENS1_22reduce_config_selectorIiEEZNS1_11reduce_implILb1ES3_N6thrust23THRUST_200600_302600_NS11hip_rocprim26transform_input_iterator_tIiNS8_12zip_iteratorINS8_5tupleIPjPiNS8_9null_typeESF_SF_SF_SF_SF_SF_SF_EEEEN6dUtils22getValueFilteredByMaskIjiEEEESE_iNS8_7maximumIjEEEE10hipError_tPvRmT1_T2_T3_mT4_P12ihipStream_tbEUlT_E1_NS1_11comp_targetILNS1_3genE3ELNS1_11target_archE908ELNS1_3gpuE7ELNS1_3repE0EEENS1_30default_config_static_selectorELNS0_4arch9wavefront6targetE1EEEvSR_
    .private_segment_fixed_size: 0
    .sgpr_count:     4
    .sgpr_spill_count: 0
    .symbol:         _ZN7rocprim17ROCPRIM_400000_NS6detail17trampoline_kernelINS0_14default_configENS1_22reduce_config_selectorIiEEZNS1_11reduce_implILb1ES3_N6thrust23THRUST_200600_302600_NS11hip_rocprim26transform_input_iterator_tIiNS8_12zip_iteratorINS8_5tupleIPjPiNS8_9null_typeESF_SF_SF_SF_SF_SF_SF_EEEEN6dUtils22getValueFilteredByMaskIjiEEEESE_iNS8_7maximumIjEEEE10hipError_tPvRmT1_T2_T3_mT4_P12ihipStream_tbEUlT_E1_NS1_11comp_targetILNS1_3genE3ELNS1_11target_archE908ELNS1_3gpuE7ELNS1_3repE0EEENS1_30default_config_static_selectorELNS0_4arch9wavefront6targetE1EEEvSR_.kd
    .uniform_work_group_size: 1
    .uses_dynamic_stack: false
    .vgpr_count:     0
    .vgpr_spill_count: 0
    .wavefront_size: 64
  - .agpr_count:     0
    .args:
      - .offset:         0
        .size:           56
        .value_kind:     by_value
    .group_segment_fixed_size: 0
    .kernarg_segment_align: 8
    .kernarg_segment_size: 56
    .language:       OpenCL C
    .language_version:
      - 2
      - 0
    .max_flat_workgroup_size: 256
    .name:           _ZN7rocprim17ROCPRIM_400000_NS6detail17trampoline_kernelINS0_14default_configENS1_22reduce_config_selectorIiEEZNS1_11reduce_implILb1ES3_N6thrust23THRUST_200600_302600_NS11hip_rocprim26transform_input_iterator_tIiNS8_12zip_iteratorINS8_5tupleIPjPiNS8_9null_typeESF_SF_SF_SF_SF_SF_SF_EEEEN6dUtils22getValueFilteredByMaskIjiEEEESE_iNS8_7maximumIjEEEE10hipError_tPvRmT1_T2_T3_mT4_P12ihipStream_tbEUlT_E1_NS1_11comp_targetILNS1_3genE2ELNS1_11target_archE906ELNS1_3gpuE6ELNS1_3repE0EEENS1_30default_config_static_selectorELNS0_4arch9wavefront6targetE1EEEvSR_
    .private_segment_fixed_size: 0
    .sgpr_count:     4
    .sgpr_spill_count: 0
    .symbol:         _ZN7rocprim17ROCPRIM_400000_NS6detail17trampoline_kernelINS0_14default_configENS1_22reduce_config_selectorIiEEZNS1_11reduce_implILb1ES3_N6thrust23THRUST_200600_302600_NS11hip_rocprim26transform_input_iterator_tIiNS8_12zip_iteratorINS8_5tupleIPjPiNS8_9null_typeESF_SF_SF_SF_SF_SF_SF_EEEEN6dUtils22getValueFilteredByMaskIjiEEEESE_iNS8_7maximumIjEEEE10hipError_tPvRmT1_T2_T3_mT4_P12ihipStream_tbEUlT_E1_NS1_11comp_targetILNS1_3genE2ELNS1_11target_archE906ELNS1_3gpuE6ELNS1_3repE0EEENS1_30default_config_static_selectorELNS0_4arch9wavefront6targetE1EEEvSR_.kd
    .uniform_work_group_size: 1
    .uses_dynamic_stack: false
    .vgpr_count:     0
    .vgpr_spill_count: 0
    .wavefront_size: 64
  - .agpr_count:     0
    .args:
      - .offset:         0
        .size:           56
        .value_kind:     by_value
    .group_segment_fixed_size: 0
    .kernarg_segment_align: 8
    .kernarg_segment_size: 56
    .language:       OpenCL C
    .language_version:
      - 2
      - 0
    .max_flat_workgroup_size: 256
    .name:           _ZN7rocprim17ROCPRIM_400000_NS6detail17trampoline_kernelINS0_14default_configENS1_22reduce_config_selectorIiEEZNS1_11reduce_implILb1ES3_N6thrust23THRUST_200600_302600_NS11hip_rocprim26transform_input_iterator_tIiNS8_12zip_iteratorINS8_5tupleIPjPiNS8_9null_typeESF_SF_SF_SF_SF_SF_SF_EEEEN6dUtils22getValueFilteredByMaskIjiEEEESE_iNS8_7maximumIjEEEE10hipError_tPvRmT1_T2_T3_mT4_P12ihipStream_tbEUlT_E1_NS1_11comp_targetILNS1_3genE10ELNS1_11target_archE1201ELNS1_3gpuE5ELNS1_3repE0EEENS1_30default_config_static_selectorELNS0_4arch9wavefront6targetE1EEEvSR_
    .private_segment_fixed_size: 0
    .sgpr_count:     4
    .sgpr_spill_count: 0
    .symbol:         _ZN7rocprim17ROCPRIM_400000_NS6detail17trampoline_kernelINS0_14default_configENS1_22reduce_config_selectorIiEEZNS1_11reduce_implILb1ES3_N6thrust23THRUST_200600_302600_NS11hip_rocprim26transform_input_iterator_tIiNS8_12zip_iteratorINS8_5tupleIPjPiNS8_9null_typeESF_SF_SF_SF_SF_SF_SF_EEEEN6dUtils22getValueFilteredByMaskIjiEEEESE_iNS8_7maximumIjEEEE10hipError_tPvRmT1_T2_T3_mT4_P12ihipStream_tbEUlT_E1_NS1_11comp_targetILNS1_3genE10ELNS1_11target_archE1201ELNS1_3gpuE5ELNS1_3repE0EEENS1_30default_config_static_selectorELNS0_4arch9wavefront6targetE1EEEvSR_.kd
    .uniform_work_group_size: 1
    .uses_dynamic_stack: false
    .vgpr_count:     0
    .vgpr_spill_count: 0
    .wavefront_size: 64
  - .agpr_count:     0
    .args:
      - .offset:         0
        .size:           56
        .value_kind:     by_value
    .group_segment_fixed_size: 0
    .kernarg_segment_align: 8
    .kernarg_segment_size: 56
    .language:       OpenCL C
    .language_version:
      - 2
      - 0
    .max_flat_workgroup_size: 256
    .name:           _ZN7rocprim17ROCPRIM_400000_NS6detail17trampoline_kernelINS0_14default_configENS1_22reduce_config_selectorIiEEZNS1_11reduce_implILb1ES3_N6thrust23THRUST_200600_302600_NS11hip_rocprim26transform_input_iterator_tIiNS8_12zip_iteratorINS8_5tupleIPjPiNS8_9null_typeESF_SF_SF_SF_SF_SF_SF_EEEEN6dUtils22getValueFilteredByMaskIjiEEEESE_iNS8_7maximumIjEEEE10hipError_tPvRmT1_T2_T3_mT4_P12ihipStream_tbEUlT_E1_NS1_11comp_targetILNS1_3genE10ELNS1_11target_archE1200ELNS1_3gpuE4ELNS1_3repE0EEENS1_30default_config_static_selectorELNS0_4arch9wavefront6targetE1EEEvSR_
    .private_segment_fixed_size: 0
    .sgpr_count:     4
    .sgpr_spill_count: 0
    .symbol:         _ZN7rocprim17ROCPRIM_400000_NS6detail17trampoline_kernelINS0_14default_configENS1_22reduce_config_selectorIiEEZNS1_11reduce_implILb1ES3_N6thrust23THRUST_200600_302600_NS11hip_rocprim26transform_input_iterator_tIiNS8_12zip_iteratorINS8_5tupleIPjPiNS8_9null_typeESF_SF_SF_SF_SF_SF_SF_EEEEN6dUtils22getValueFilteredByMaskIjiEEEESE_iNS8_7maximumIjEEEE10hipError_tPvRmT1_T2_T3_mT4_P12ihipStream_tbEUlT_E1_NS1_11comp_targetILNS1_3genE10ELNS1_11target_archE1200ELNS1_3gpuE4ELNS1_3repE0EEENS1_30default_config_static_selectorELNS0_4arch9wavefront6targetE1EEEvSR_.kd
    .uniform_work_group_size: 1
    .uses_dynamic_stack: false
    .vgpr_count:     0
    .vgpr_spill_count: 0
    .wavefront_size: 64
  - .agpr_count:     0
    .args:
      - .offset:         0
        .size:           56
        .value_kind:     by_value
    .group_segment_fixed_size: 0
    .kernarg_segment_align: 8
    .kernarg_segment_size: 56
    .language:       OpenCL C
    .language_version:
      - 2
      - 0
    .max_flat_workgroup_size: 256
    .name:           _ZN7rocprim17ROCPRIM_400000_NS6detail17trampoline_kernelINS0_14default_configENS1_22reduce_config_selectorIiEEZNS1_11reduce_implILb1ES3_N6thrust23THRUST_200600_302600_NS11hip_rocprim26transform_input_iterator_tIiNS8_12zip_iteratorINS8_5tupleIPjPiNS8_9null_typeESF_SF_SF_SF_SF_SF_SF_EEEEN6dUtils22getValueFilteredByMaskIjiEEEESE_iNS8_7maximumIjEEEE10hipError_tPvRmT1_T2_T3_mT4_P12ihipStream_tbEUlT_E1_NS1_11comp_targetILNS1_3genE9ELNS1_11target_archE1100ELNS1_3gpuE3ELNS1_3repE0EEENS1_30default_config_static_selectorELNS0_4arch9wavefront6targetE1EEEvSR_
    .private_segment_fixed_size: 0
    .sgpr_count:     4
    .sgpr_spill_count: 0
    .symbol:         _ZN7rocprim17ROCPRIM_400000_NS6detail17trampoline_kernelINS0_14default_configENS1_22reduce_config_selectorIiEEZNS1_11reduce_implILb1ES3_N6thrust23THRUST_200600_302600_NS11hip_rocprim26transform_input_iterator_tIiNS8_12zip_iteratorINS8_5tupleIPjPiNS8_9null_typeESF_SF_SF_SF_SF_SF_SF_EEEEN6dUtils22getValueFilteredByMaskIjiEEEESE_iNS8_7maximumIjEEEE10hipError_tPvRmT1_T2_T3_mT4_P12ihipStream_tbEUlT_E1_NS1_11comp_targetILNS1_3genE9ELNS1_11target_archE1100ELNS1_3gpuE3ELNS1_3repE0EEENS1_30default_config_static_selectorELNS0_4arch9wavefront6targetE1EEEvSR_.kd
    .uniform_work_group_size: 1
    .uses_dynamic_stack: false
    .vgpr_count:     0
    .vgpr_spill_count: 0
    .wavefront_size: 64
  - .agpr_count:     0
    .args:
      - .offset:         0
        .size:           56
        .value_kind:     by_value
    .group_segment_fixed_size: 0
    .kernarg_segment_align: 8
    .kernarg_segment_size: 56
    .language:       OpenCL C
    .language_version:
      - 2
      - 0
    .max_flat_workgroup_size: 256
    .name:           _ZN7rocprim17ROCPRIM_400000_NS6detail17trampoline_kernelINS0_14default_configENS1_22reduce_config_selectorIiEEZNS1_11reduce_implILb1ES3_N6thrust23THRUST_200600_302600_NS11hip_rocprim26transform_input_iterator_tIiNS8_12zip_iteratorINS8_5tupleIPjPiNS8_9null_typeESF_SF_SF_SF_SF_SF_SF_EEEEN6dUtils22getValueFilteredByMaskIjiEEEESE_iNS8_7maximumIjEEEE10hipError_tPvRmT1_T2_T3_mT4_P12ihipStream_tbEUlT_E1_NS1_11comp_targetILNS1_3genE8ELNS1_11target_archE1030ELNS1_3gpuE2ELNS1_3repE0EEENS1_30default_config_static_selectorELNS0_4arch9wavefront6targetE1EEEvSR_
    .private_segment_fixed_size: 0
    .sgpr_count:     4
    .sgpr_spill_count: 0
    .symbol:         _ZN7rocprim17ROCPRIM_400000_NS6detail17trampoline_kernelINS0_14default_configENS1_22reduce_config_selectorIiEEZNS1_11reduce_implILb1ES3_N6thrust23THRUST_200600_302600_NS11hip_rocprim26transform_input_iterator_tIiNS8_12zip_iteratorINS8_5tupleIPjPiNS8_9null_typeESF_SF_SF_SF_SF_SF_SF_EEEEN6dUtils22getValueFilteredByMaskIjiEEEESE_iNS8_7maximumIjEEEE10hipError_tPvRmT1_T2_T3_mT4_P12ihipStream_tbEUlT_E1_NS1_11comp_targetILNS1_3genE8ELNS1_11target_archE1030ELNS1_3gpuE2ELNS1_3repE0EEENS1_30default_config_static_selectorELNS0_4arch9wavefront6targetE1EEEvSR_.kd
    .uniform_work_group_size: 1
    .uses_dynamic_stack: false
    .vgpr_count:     0
    .vgpr_spill_count: 0
    .wavefront_size: 64
  - .agpr_count:     0
    .args:
      - .address_space:  global
        .offset:         0
        .size:           8
        .value_kind:     global_buffer
      - .address_space:  global
        .offset:         8
        .size:           8
        .value_kind:     global_buffer
      - .address_space:  global
        .offset:         16
        .size:           8
        .value_kind:     global_buffer
      - .address_space:  global
        .offset:         24
        .size:           8
        .value_kind:     global_buffer
      - .address_space:  global
        .offset:         32
        .size:           8
        .value_kind:     global_buffer
      - .offset:         40
        .size:           4
        .value_kind:     by_value
      - .offset:         44
        .size:           4
        .value_kind:     by_value
      - .offset:         48
        .size:           4
        .value_kind:     hidden_block_count_x
      - .offset:         52
        .size:           4
        .value_kind:     hidden_block_count_y
      - .offset:         56
        .size:           4
        .value_kind:     hidden_block_count_z
      - .offset:         60
        .size:           2
        .value_kind:     hidden_group_size_x
      - .offset:         62
        .size:           2
        .value_kind:     hidden_group_size_y
      - .offset:         64
        .size:           2
        .value_kind:     hidden_group_size_z
      - .offset:         66
        .size:           2
        .value_kind:     hidden_remainder_x
      - .offset:         68
        .size:           2
        .value_kind:     hidden_remainder_y
      - .offset:         70
        .size:           2
        .value_kind:     hidden_remainder_z
      - .offset:         88
        .size:           8
        .value_kind:     hidden_global_offset_x
      - .offset:         96
        .size:           8
        .value_kind:     hidden_global_offset_y
      - .offset:         104
        .size:           8
        .value_kind:     hidden_global_offset_z
      - .offset:         112
        .size:           2
        .value_kind:     hidden_grid_dims
    .group_segment_fixed_size: 0
    .kernarg_segment_align: 8
    .kernarg_segment_size: 304
    .language:       OpenCL C
    .language_version:
      - 2
      - 0
    .max_flat_workgroup_size: 1024
    .name:           _Z36insert_batch_no_update_masked_kernelIjjEvPT_PT0_PKS0_PKS2_PKiii
    .private_segment_fixed_size: 0
    .sgpr_count:     18
    .sgpr_spill_count: 0
    .symbol:         _Z36insert_batch_no_update_masked_kernelIjjEvPT_PT0_PKS0_PKS2_PKiii.kd
    .uniform_work_group_size: 1
    .uses_dynamic_stack: false
    .vgpr_count:     12
    .vgpr_spill_count: 0
    .wavefront_size: 64
  - .agpr_count:     0
    .args:
      - .address_space:  global
        .offset:         0
        .size:           8
        .value_kind:     global_buffer
      - .address_space:  global
        .offset:         8
        .size:           8
        .value_kind:     global_buffer
      - .offset:         16
        .size:           4
        .value_kind:     by_value
      - .offset:         24
        .size:           4
        .value_kind:     hidden_block_count_x
      - .offset:         28
        .size:           4
        .value_kind:     hidden_block_count_y
      - .offset:         32
        .size:           4
        .value_kind:     hidden_block_count_z
      - .offset:         36
        .size:           2
        .value_kind:     hidden_group_size_x
      - .offset:         38
        .size:           2
        .value_kind:     hidden_group_size_y
      - .offset:         40
        .size:           2
        .value_kind:     hidden_group_size_z
      - .offset:         42
        .size:           2
        .value_kind:     hidden_remainder_x
      - .offset:         44
        .size:           2
        .value_kind:     hidden_remainder_y
      - .offset:         46
        .size:           2
        .value_kind:     hidden_remainder_z
      - .offset:         64
        .size:           8
        .value_kind:     hidden_global_offset_x
      - .offset:         72
        .size:           8
        .value_kind:     hidden_global_offset_y
      - .offset:         80
        .size:           8
        .value_kind:     hidden_global_offset_z
      - .offset:         88
        .size:           2
        .value_kind:     hidden_grid_dims
    .group_segment_fixed_size: 0
    .kernarg_segment_align: 8
    .kernarg_segment_size: 280
    .language:       OpenCL C
    .language_version:
      - 2
      - 0
    .max_flat_workgroup_size: 1024
    .name:           _Z17getEntryIndicatorIyjEvPiPT_i
    .private_segment_fixed_size: 0
    .sgpr_count:     11
    .sgpr_spill_count: 0
    .symbol:         _Z17getEntryIndicatorIyjEvPiPT_i.kd
    .uniform_work_group_size: 1
    .uses_dynamic_stack: false
    .vgpr_count:     5
    .vgpr_spill_count: 0
    .wavefront_size: 64
  - .agpr_count:     0
    .args:
      - .address_space:  global
        .offset:         0
        .size:           8
        .value_kind:     global_buffer
      - .address_space:  global
        .offset:         8
        .size:           8
        .value_kind:     global_buffer
      - .address_space:  global
        .offset:         16
        .size:           8
        .value_kind:     global_buffer
      - .address_space:  global
        .offset:         24
        .size:           8
        .value_kind:     global_buffer
      - .address_space:  global
        .offset:         32
        .size:           8
        .value_kind:     global_buffer
      - .offset:         40
        .size:           4
        .value_kind:     by_value
      - .offset:         48
        .size:           4
        .value_kind:     hidden_block_count_x
      - .offset:         52
        .size:           4
        .value_kind:     hidden_block_count_y
      - .offset:         56
        .size:           4
        .value_kind:     hidden_block_count_z
      - .offset:         60
        .size:           2
        .value_kind:     hidden_group_size_x
      - .offset:         62
        .size:           2
        .value_kind:     hidden_group_size_y
      - .offset:         64
        .size:           2
        .value_kind:     hidden_group_size_z
      - .offset:         66
        .size:           2
        .value_kind:     hidden_remainder_x
      - .offset:         68
        .size:           2
        .value_kind:     hidden_remainder_y
      - .offset:         70
        .size:           2
        .value_kind:     hidden_remainder_z
      - .offset:         88
        .size:           8
        .value_kind:     hidden_global_offset_x
      - .offset:         96
        .size:           8
        .value_kind:     hidden_global_offset_y
      - .offset:         104
        .size:           8
        .value_kind:     hidden_global_offset_z
      - .offset:         112
        .size:           2
        .value_kind:     hidden_grid_dims
    .group_segment_fixed_size: 0
    .kernarg_segment_align: 8
    .kernarg_segment_size: 304
    .language:       OpenCL C
    .language_version:
      - 2
      - 0
    .max_flat_workgroup_size: 1024
    .name:           _Z15gatherKeyValuesIyjEvPKiPKT_PKT0_PS2_PS5_i
    .private_segment_fixed_size: 0
    .sgpr_count:     22
    .sgpr_spill_count: 0
    .symbol:         _Z15gatherKeyValuesIyjEvPKiPKT_PKT0_PS2_PS5_i.kd
    .uniform_work_group_size: 1
    .uses_dynamic_stack: false
    .vgpr_count:     14
    .vgpr_spill_count: 0
    .wavefront_size: 64
  - .agpr_count:     0
    .args:
      - .offset:         0
        .size:           48
        .value_kind:     by_value
    .group_segment_fixed_size: 0
    .kernarg_segment_align: 8
    .kernarg_segment_size: 48
    .language:       OpenCL C
    .language_version:
      - 2
      - 0
    .max_flat_workgroup_size: 256
    .name:           _ZN7rocprim17ROCPRIM_400000_NS6detail17trampoline_kernelINS0_13kernel_configILj256ELj4ELj4294967295EEENS1_37radix_sort_block_sort_config_selectorIjyEEZNS1_21radix_sort_block_sortIS4_Lb0EPjS8_PyS9_NS0_19identity_decomposerEEE10hipError_tT1_T2_T3_T4_jRjT5_jjP12ihipStream_tbEUlT_E_NS1_11comp_targetILNS1_3genE0ELNS1_11target_archE4294967295ELNS1_3gpuE0ELNS1_3repE0EEENS1_44radix_sort_block_sort_config_static_selectorELNS0_4arch9wavefront6targetE1EEEvSC_
    .private_segment_fixed_size: 0
    .sgpr_count:     4
    .sgpr_spill_count: 0
    .symbol:         _ZN7rocprim17ROCPRIM_400000_NS6detail17trampoline_kernelINS0_13kernel_configILj256ELj4ELj4294967295EEENS1_37radix_sort_block_sort_config_selectorIjyEEZNS1_21radix_sort_block_sortIS4_Lb0EPjS8_PyS9_NS0_19identity_decomposerEEE10hipError_tT1_T2_T3_T4_jRjT5_jjP12ihipStream_tbEUlT_E_NS1_11comp_targetILNS1_3genE0ELNS1_11target_archE4294967295ELNS1_3gpuE0ELNS1_3repE0EEENS1_44radix_sort_block_sort_config_static_selectorELNS0_4arch9wavefront6targetE1EEEvSC_.kd
    .uniform_work_group_size: 1
    .uses_dynamic_stack: false
    .vgpr_count:     0
    .vgpr_spill_count: 0
    .wavefront_size: 64
  - .agpr_count:     0
    .args:
      - .offset:         0
        .size:           48
        .value_kind:     by_value
    .group_segment_fixed_size: 0
    .kernarg_segment_align: 8
    .kernarg_segment_size: 48
    .language:       OpenCL C
    .language_version:
      - 2
      - 0
    .max_flat_workgroup_size: 256
    .name:           _ZN7rocprim17ROCPRIM_400000_NS6detail17trampoline_kernelINS0_13kernel_configILj256ELj4ELj4294967295EEENS1_37radix_sort_block_sort_config_selectorIjyEEZNS1_21radix_sort_block_sortIS4_Lb0EPjS8_PyS9_NS0_19identity_decomposerEEE10hipError_tT1_T2_T3_T4_jRjT5_jjP12ihipStream_tbEUlT_E_NS1_11comp_targetILNS1_3genE5ELNS1_11target_archE942ELNS1_3gpuE9ELNS1_3repE0EEENS1_44radix_sort_block_sort_config_static_selectorELNS0_4arch9wavefront6targetE1EEEvSC_
    .private_segment_fixed_size: 0
    .sgpr_count:     4
    .sgpr_spill_count: 0
    .symbol:         _ZN7rocprim17ROCPRIM_400000_NS6detail17trampoline_kernelINS0_13kernel_configILj256ELj4ELj4294967295EEENS1_37radix_sort_block_sort_config_selectorIjyEEZNS1_21radix_sort_block_sortIS4_Lb0EPjS8_PyS9_NS0_19identity_decomposerEEE10hipError_tT1_T2_T3_T4_jRjT5_jjP12ihipStream_tbEUlT_E_NS1_11comp_targetILNS1_3genE5ELNS1_11target_archE942ELNS1_3gpuE9ELNS1_3repE0EEENS1_44radix_sort_block_sort_config_static_selectorELNS0_4arch9wavefront6targetE1EEEvSC_.kd
    .uniform_work_group_size: 1
    .uses_dynamic_stack: false
    .vgpr_count:     0
    .vgpr_spill_count: 0
    .wavefront_size: 64
  - .agpr_count:     0
    .args:
      - .offset:         0
        .size:           48
        .value_kind:     by_value
      - .offset:         48
        .size:           4
        .value_kind:     hidden_block_count_x
      - .offset:         52
        .size:           4
        .value_kind:     hidden_block_count_y
      - .offset:         56
        .size:           4
        .value_kind:     hidden_block_count_z
      - .offset:         60
        .size:           2
        .value_kind:     hidden_group_size_x
      - .offset:         62
        .size:           2
        .value_kind:     hidden_group_size_y
      - .offset:         64
        .size:           2
        .value_kind:     hidden_group_size_z
      - .offset:         66
        .size:           2
        .value_kind:     hidden_remainder_x
      - .offset:         68
        .size:           2
        .value_kind:     hidden_remainder_y
      - .offset:         70
        .size:           2
        .value_kind:     hidden_remainder_z
      - .offset:         88
        .size:           8
        .value_kind:     hidden_global_offset_x
      - .offset:         96
        .size:           8
        .value_kind:     hidden_global_offset_y
      - .offset:         104
        .size:           8
        .value_kind:     hidden_global_offset_z
      - .offset:         112
        .size:           2
        .value_kind:     hidden_grid_dims
    .group_segment_fixed_size: 8192
    .kernarg_segment_align: 8
    .kernarg_segment_size: 304
    .language:       OpenCL C
    .language_version:
      - 2
      - 0
    .max_flat_workgroup_size: 256
    .name:           _ZN7rocprim17ROCPRIM_400000_NS6detail17trampoline_kernelINS0_13kernel_configILj256ELj4ELj4294967295EEENS1_37radix_sort_block_sort_config_selectorIjyEEZNS1_21radix_sort_block_sortIS4_Lb0EPjS8_PyS9_NS0_19identity_decomposerEEE10hipError_tT1_T2_T3_T4_jRjT5_jjP12ihipStream_tbEUlT_E_NS1_11comp_targetILNS1_3genE4ELNS1_11target_archE910ELNS1_3gpuE8ELNS1_3repE0EEENS1_44radix_sort_block_sort_config_static_selectorELNS0_4arch9wavefront6targetE1EEEvSC_
    .private_segment_fixed_size: 0
    .sgpr_count:     52
    .sgpr_spill_count: 0
    .symbol:         _ZN7rocprim17ROCPRIM_400000_NS6detail17trampoline_kernelINS0_13kernel_configILj256ELj4ELj4294967295EEENS1_37radix_sort_block_sort_config_selectorIjyEEZNS1_21radix_sort_block_sortIS4_Lb0EPjS8_PyS9_NS0_19identity_decomposerEEE10hipError_tT1_T2_T3_T4_jRjT5_jjP12ihipStream_tbEUlT_E_NS1_11comp_targetILNS1_3genE4ELNS1_11target_archE910ELNS1_3gpuE8ELNS1_3repE0EEENS1_44radix_sort_block_sort_config_static_selectorELNS0_4arch9wavefront6targetE1EEEvSC_.kd
    .uniform_work_group_size: 1
    .uses_dynamic_stack: false
    .vgpr_count:     53
    .vgpr_spill_count: 0
    .wavefront_size: 64
  - .agpr_count:     0
    .args:
      - .offset:         0
        .size:           48
        .value_kind:     by_value
    .group_segment_fixed_size: 0
    .kernarg_segment_align: 8
    .kernarg_segment_size: 48
    .language:       OpenCL C
    .language_version:
      - 2
      - 0
    .max_flat_workgroup_size: 256
    .name:           _ZN7rocprim17ROCPRIM_400000_NS6detail17trampoline_kernelINS0_13kernel_configILj256ELj4ELj4294967295EEENS1_37radix_sort_block_sort_config_selectorIjyEEZNS1_21radix_sort_block_sortIS4_Lb0EPjS8_PyS9_NS0_19identity_decomposerEEE10hipError_tT1_T2_T3_T4_jRjT5_jjP12ihipStream_tbEUlT_E_NS1_11comp_targetILNS1_3genE3ELNS1_11target_archE908ELNS1_3gpuE7ELNS1_3repE0EEENS1_44radix_sort_block_sort_config_static_selectorELNS0_4arch9wavefront6targetE1EEEvSC_
    .private_segment_fixed_size: 0
    .sgpr_count:     4
    .sgpr_spill_count: 0
    .symbol:         _ZN7rocprim17ROCPRIM_400000_NS6detail17trampoline_kernelINS0_13kernel_configILj256ELj4ELj4294967295EEENS1_37radix_sort_block_sort_config_selectorIjyEEZNS1_21radix_sort_block_sortIS4_Lb0EPjS8_PyS9_NS0_19identity_decomposerEEE10hipError_tT1_T2_T3_T4_jRjT5_jjP12ihipStream_tbEUlT_E_NS1_11comp_targetILNS1_3genE3ELNS1_11target_archE908ELNS1_3gpuE7ELNS1_3repE0EEENS1_44radix_sort_block_sort_config_static_selectorELNS0_4arch9wavefront6targetE1EEEvSC_.kd
    .uniform_work_group_size: 1
    .uses_dynamic_stack: false
    .vgpr_count:     0
    .vgpr_spill_count: 0
    .wavefront_size: 64
  - .agpr_count:     0
    .args:
      - .offset:         0
        .size:           48
        .value_kind:     by_value
    .group_segment_fixed_size: 0
    .kernarg_segment_align: 8
    .kernarg_segment_size: 48
    .language:       OpenCL C
    .language_version:
      - 2
      - 0
    .max_flat_workgroup_size: 256
    .name:           _ZN7rocprim17ROCPRIM_400000_NS6detail17trampoline_kernelINS0_13kernel_configILj256ELj4ELj4294967295EEENS1_37radix_sort_block_sort_config_selectorIjyEEZNS1_21radix_sort_block_sortIS4_Lb0EPjS8_PyS9_NS0_19identity_decomposerEEE10hipError_tT1_T2_T3_T4_jRjT5_jjP12ihipStream_tbEUlT_E_NS1_11comp_targetILNS1_3genE2ELNS1_11target_archE906ELNS1_3gpuE6ELNS1_3repE0EEENS1_44radix_sort_block_sort_config_static_selectorELNS0_4arch9wavefront6targetE1EEEvSC_
    .private_segment_fixed_size: 0
    .sgpr_count:     4
    .sgpr_spill_count: 0
    .symbol:         _ZN7rocprim17ROCPRIM_400000_NS6detail17trampoline_kernelINS0_13kernel_configILj256ELj4ELj4294967295EEENS1_37radix_sort_block_sort_config_selectorIjyEEZNS1_21radix_sort_block_sortIS4_Lb0EPjS8_PyS9_NS0_19identity_decomposerEEE10hipError_tT1_T2_T3_T4_jRjT5_jjP12ihipStream_tbEUlT_E_NS1_11comp_targetILNS1_3genE2ELNS1_11target_archE906ELNS1_3gpuE6ELNS1_3repE0EEENS1_44radix_sort_block_sort_config_static_selectorELNS0_4arch9wavefront6targetE1EEEvSC_.kd
    .uniform_work_group_size: 1
    .uses_dynamic_stack: false
    .vgpr_count:     0
    .vgpr_spill_count: 0
    .wavefront_size: 64
  - .agpr_count:     0
    .args:
      - .offset:         0
        .size:           48
        .value_kind:     by_value
    .group_segment_fixed_size: 0
    .kernarg_segment_align: 8
    .kernarg_segment_size: 48
    .language:       OpenCL C
    .language_version:
      - 2
      - 0
    .max_flat_workgroup_size: 256
    .name:           _ZN7rocprim17ROCPRIM_400000_NS6detail17trampoline_kernelINS0_13kernel_configILj256ELj4ELj4294967295EEENS1_37radix_sort_block_sort_config_selectorIjyEEZNS1_21radix_sort_block_sortIS4_Lb0EPjS8_PyS9_NS0_19identity_decomposerEEE10hipError_tT1_T2_T3_T4_jRjT5_jjP12ihipStream_tbEUlT_E_NS1_11comp_targetILNS1_3genE10ELNS1_11target_archE1201ELNS1_3gpuE5ELNS1_3repE0EEENS1_44radix_sort_block_sort_config_static_selectorELNS0_4arch9wavefront6targetE1EEEvSC_
    .private_segment_fixed_size: 0
    .sgpr_count:     4
    .sgpr_spill_count: 0
    .symbol:         _ZN7rocprim17ROCPRIM_400000_NS6detail17trampoline_kernelINS0_13kernel_configILj256ELj4ELj4294967295EEENS1_37radix_sort_block_sort_config_selectorIjyEEZNS1_21radix_sort_block_sortIS4_Lb0EPjS8_PyS9_NS0_19identity_decomposerEEE10hipError_tT1_T2_T3_T4_jRjT5_jjP12ihipStream_tbEUlT_E_NS1_11comp_targetILNS1_3genE10ELNS1_11target_archE1201ELNS1_3gpuE5ELNS1_3repE0EEENS1_44radix_sort_block_sort_config_static_selectorELNS0_4arch9wavefront6targetE1EEEvSC_.kd
    .uniform_work_group_size: 1
    .uses_dynamic_stack: false
    .vgpr_count:     0
    .vgpr_spill_count: 0
    .wavefront_size: 64
  - .agpr_count:     0
    .args:
      - .offset:         0
        .size:           48
        .value_kind:     by_value
    .group_segment_fixed_size: 0
    .kernarg_segment_align: 8
    .kernarg_segment_size: 48
    .language:       OpenCL C
    .language_version:
      - 2
      - 0
    .max_flat_workgroup_size: 256
    .name:           _ZN7rocprim17ROCPRIM_400000_NS6detail17trampoline_kernelINS0_13kernel_configILj256ELj4ELj4294967295EEENS1_37radix_sort_block_sort_config_selectorIjyEEZNS1_21radix_sort_block_sortIS4_Lb0EPjS8_PyS9_NS0_19identity_decomposerEEE10hipError_tT1_T2_T3_T4_jRjT5_jjP12ihipStream_tbEUlT_E_NS1_11comp_targetILNS1_3genE10ELNS1_11target_archE1200ELNS1_3gpuE4ELNS1_3repE0EEENS1_44radix_sort_block_sort_config_static_selectorELNS0_4arch9wavefront6targetE1EEEvSC_
    .private_segment_fixed_size: 0
    .sgpr_count:     4
    .sgpr_spill_count: 0
    .symbol:         _ZN7rocprim17ROCPRIM_400000_NS6detail17trampoline_kernelINS0_13kernel_configILj256ELj4ELj4294967295EEENS1_37radix_sort_block_sort_config_selectorIjyEEZNS1_21radix_sort_block_sortIS4_Lb0EPjS8_PyS9_NS0_19identity_decomposerEEE10hipError_tT1_T2_T3_T4_jRjT5_jjP12ihipStream_tbEUlT_E_NS1_11comp_targetILNS1_3genE10ELNS1_11target_archE1200ELNS1_3gpuE4ELNS1_3repE0EEENS1_44radix_sort_block_sort_config_static_selectorELNS0_4arch9wavefront6targetE1EEEvSC_.kd
    .uniform_work_group_size: 1
    .uses_dynamic_stack: false
    .vgpr_count:     0
    .vgpr_spill_count: 0
    .wavefront_size: 64
  - .agpr_count:     0
    .args:
      - .offset:         0
        .size:           48
        .value_kind:     by_value
    .group_segment_fixed_size: 0
    .kernarg_segment_align: 8
    .kernarg_segment_size: 48
    .language:       OpenCL C
    .language_version:
      - 2
      - 0
    .max_flat_workgroup_size: 256
    .name:           _ZN7rocprim17ROCPRIM_400000_NS6detail17trampoline_kernelINS0_13kernel_configILj256ELj4ELj4294967295EEENS1_37radix_sort_block_sort_config_selectorIjyEEZNS1_21radix_sort_block_sortIS4_Lb0EPjS8_PyS9_NS0_19identity_decomposerEEE10hipError_tT1_T2_T3_T4_jRjT5_jjP12ihipStream_tbEUlT_E_NS1_11comp_targetILNS1_3genE9ELNS1_11target_archE1100ELNS1_3gpuE3ELNS1_3repE0EEENS1_44radix_sort_block_sort_config_static_selectorELNS0_4arch9wavefront6targetE1EEEvSC_
    .private_segment_fixed_size: 0
    .sgpr_count:     4
    .sgpr_spill_count: 0
    .symbol:         _ZN7rocprim17ROCPRIM_400000_NS6detail17trampoline_kernelINS0_13kernel_configILj256ELj4ELj4294967295EEENS1_37radix_sort_block_sort_config_selectorIjyEEZNS1_21radix_sort_block_sortIS4_Lb0EPjS8_PyS9_NS0_19identity_decomposerEEE10hipError_tT1_T2_T3_T4_jRjT5_jjP12ihipStream_tbEUlT_E_NS1_11comp_targetILNS1_3genE9ELNS1_11target_archE1100ELNS1_3gpuE3ELNS1_3repE0EEENS1_44radix_sort_block_sort_config_static_selectorELNS0_4arch9wavefront6targetE1EEEvSC_.kd
    .uniform_work_group_size: 1
    .uses_dynamic_stack: false
    .vgpr_count:     0
    .vgpr_spill_count: 0
    .wavefront_size: 64
  - .agpr_count:     0
    .args:
      - .offset:         0
        .size:           48
        .value_kind:     by_value
    .group_segment_fixed_size: 0
    .kernarg_segment_align: 8
    .kernarg_segment_size: 48
    .language:       OpenCL C
    .language_version:
      - 2
      - 0
    .max_flat_workgroup_size: 256
    .name:           _ZN7rocprim17ROCPRIM_400000_NS6detail17trampoline_kernelINS0_13kernel_configILj256ELj4ELj4294967295EEENS1_37radix_sort_block_sort_config_selectorIjyEEZNS1_21radix_sort_block_sortIS4_Lb0EPjS8_PyS9_NS0_19identity_decomposerEEE10hipError_tT1_T2_T3_T4_jRjT5_jjP12ihipStream_tbEUlT_E_NS1_11comp_targetILNS1_3genE8ELNS1_11target_archE1030ELNS1_3gpuE2ELNS1_3repE0EEENS1_44radix_sort_block_sort_config_static_selectorELNS0_4arch9wavefront6targetE1EEEvSC_
    .private_segment_fixed_size: 0
    .sgpr_count:     4
    .sgpr_spill_count: 0
    .symbol:         _ZN7rocprim17ROCPRIM_400000_NS6detail17trampoline_kernelINS0_13kernel_configILj256ELj4ELj4294967295EEENS1_37radix_sort_block_sort_config_selectorIjyEEZNS1_21radix_sort_block_sortIS4_Lb0EPjS8_PyS9_NS0_19identity_decomposerEEE10hipError_tT1_T2_T3_T4_jRjT5_jjP12ihipStream_tbEUlT_E_NS1_11comp_targetILNS1_3genE8ELNS1_11target_archE1030ELNS1_3gpuE2ELNS1_3repE0EEENS1_44radix_sort_block_sort_config_static_selectorELNS0_4arch9wavefront6targetE1EEEvSC_.kd
    .uniform_work_group_size: 1
    .uses_dynamic_stack: false
    .vgpr_count:     0
    .vgpr_spill_count: 0
    .wavefront_size: 64
  - .agpr_count:     0
    .args:           []
    .group_segment_fixed_size: 0
    .kernarg_segment_align: 4
    .kernarg_segment_size: 0
    .language:       OpenCL C
    .language_version:
      - 2
      - 0
    .max_flat_workgroup_size: 1024
    .name:           _ZN7rocprim17ROCPRIM_400000_NS6detail44device_merge_sort_compile_time_verifier_archINS1_11comp_targetILNS1_3genE0ELNS1_11target_archE4294967295ELNS1_3gpuE0ELNS1_3repE0EEES8_NS1_28merge_sort_block_sort_configILj256ELj4ELNS0_20block_sort_algorithmE0EEENS0_14default_configENS1_37merge_sort_block_sort_config_selectorIjyEENS1_38merge_sort_block_merge_config_selectorIjyEEEEvv
    .private_segment_fixed_size: 0
    .sgpr_count:     4
    .sgpr_spill_count: 0
    .symbol:         _ZN7rocprim17ROCPRIM_400000_NS6detail44device_merge_sort_compile_time_verifier_archINS1_11comp_targetILNS1_3genE0ELNS1_11target_archE4294967295ELNS1_3gpuE0ELNS1_3repE0EEES8_NS1_28merge_sort_block_sort_configILj256ELj4ELNS0_20block_sort_algorithmE0EEENS0_14default_configENS1_37merge_sort_block_sort_config_selectorIjyEENS1_38merge_sort_block_merge_config_selectorIjyEEEEvv.kd
    .uniform_work_group_size: 1
    .uses_dynamic_stack: false
    .vgpr_count:     0
    .vgpr_spill_count: 0
    .wavefront_size: 64
  - .agpr_count:     0
    .args:           []
    .group_segment_fixed_size: 0
    .kernarg_segment_align: 4
    .kernarg_segment_size: 0
    .language:       OpenCL C
    .language_version:
      - 2
      - 0
    .max_flat_workgroup_size: 1024
    .name:           _ZN7rocprim17ROCPRIM_400000_NS6detail44device_merge_sort_compile_time_verifier_archINS1_11comp_targetILNS1_3genE5ELNS1_11target_archE942ELNS1_3gpuE9ELNS1_3repE0EEES8_NS1_28merge_sort_block_sort_configILj256ELj4ELNS0_20block_sort_algorithmE0EEENS0_14default_configENS1_37merge_sort_block_sort_config_selectorIjyEENS1_38merge_sort_block_merge_config_selectorIjyEEEEvv
    .private_segment_fixed_size: 0
    .sgpr_count:     4
    .sgpr_spill_count: 0
    .symbol:         _ZN7rocprim17ROCPRIM_400000_NS6detail44device_merge_sort_compile_time_verifier_archINS1_11comp_targetILNS1_3genE5ELNS1_11target_archE942ELNS1_3gpuE9ELNS1_3repE0EEES8_NS1_28merge_sort_block_sort_configILj256ELj4ELNS0_20block_sort_algorithmE0EEENS0_14default_configENS1_37merge_sort_block_sort_config_selectorIjyEENS1_38merge_sort_block_merge_config_selectorIjyEEEEvv.kd
    .uniform_work_group_size: 1
    .uses_dynamic_stack: false
    .vgpr_count:     0
    .vgpr_spill_count: 0
    .wavefront_size: 64
  - .agpr_count:     0
    .args:           []
    .group_segment_fixed_size: 0
    .kernarg_segment_align: 4
    .kernarg_segment_size: 0
    .language:       OpenCL C
    .language_version:
      - 2
      - 0
    .max_flat_workgroup_size: 1024
    .name:           _ZN7rocprim17ROCPRIM_400000_NS6detail44device_merge_sort_compile_time_verifier_archINS1_11comp_targetILNS1_3genE4ELNS1_11target_archE910ELNS1_3gpuE8ELNS1_3repE0EEES8_NS1_28merge_sort_block_sort_configILj256ELj4ELNS0_20block_sort_algorithmE0EEENS0_14default_configENS1_37merge_sort_block_sort_config_selectorIjyEENS1_38merge_sort_block_merge_config_selectorIjyEEEEvv
    .private_segment_fixed_size: 0
    .sgpr_count:     4
    .sgpr_spill_count: 0
    .symbol:         _ZN7rocprim17ROCPRIM_400000_NS6detail44device_merge_sort_compile_time_verifier_archINS1_11comp_targetILNS1_3genE4ELNS1_11target_archE910ELNS1_3gpuE8ELNS1_3repE0EEES8_NS1_28merge_sort_block_sort_configILj256ELj4ELNS0_20block_sort_algorithmE0EEENS0_14default_configENS1_37merge_sort_block_sort_config_selectorIjyEENS1_38merge_sort_block_merge_config_selectorIjyEEEEvv.kd
    .uniform_work_group_size: 1
    .uses_dynamic_stack: false
    .vgpr_count:     0
    .vgpr_spill_count: 0
    .wavefront_size: 64
  - .agpr_count:     0
    .args:           []
    .group_segment_fixed_size: 0
    .kernarg_segment_align: 4
    .kernarg_segment_size: 0
    .language:       OpenCL C
    .language_version:
      - 2
      - 0
    .max_flat_workgroup_size: 1024
    .name:           _ZN7rocprim17ROCPRIM_400000_NS6detail44device_merge_sort_compile_time_verifier_archINS1_11comp_targetILNS1_3genE3ELNS1_11target_archE908ELNS1_3gpuE7ELNS1_3repE0EEES8_NS1_28merge_sort_block_sort_configILj256ELj4ELNS0_20block_sort_algorithmE0EEENS0_14default_configENS1_37merge_sort_block_sort_config_selectorIjyEENS1_38merge_sort_block_merge_config_selectorIjyEEEEvv
    .private_segment_fixed_size: 0
    .sgpr_count:     4
    .sgpr_spill_count: 0
    .symbol:         _ZN7rocprim17ROCPRIM_400000_NS6detail44device_merge_sort_compile_time_verifier_archINS1_11comp_targetILNS1_3genE3ELNS1_11target_archE908ELNS1_3gpuE7ELNS1_3repE0EEES8_NS1_28merge_sort_block_sort_configILj256ELj4ELNS0_20block_sort_algorithmE0EEENS0_14default_configENS1_37merge_sort_block_sort_config_selectorIjyEENS1_38merge_sort_block_merge_config_selectorIjyEEEEvv.kd
    .uniform_work_group_size: 1
    .uses_dynamic_stack: false
    .vgpr_count:     0
    .vgpr_spill_count: 0
    .wavefront_size: 64
  - .agpr_count:     0
    .args:           []
    .group_segment_fixed_size: 0
    .kernarg_segment_align: 4
    .kernarg_segment_size: 0
    .language:       OpenCL C
    .language_version:
      - 2
      - 0
    .max_flat_workgroup_size: 1024
    .name:           _ZN7rocprim17ROCPRIM_400000_NS6detail44device_merge_sort_compile_time_verifier_archINS1_11comp_targetILNS1_3genE2ELNS1_11target_archE906ELNS1_3gpuE6ELNS1_3repE0EEES8_NS1_28merge_sort_block_sort_configILj256ELj4ELNS0_20block_sort_algorithmE0EEENS0_14default_configENS1_37merge_sort_block_sort_config_selectorIjyEENS1_38merge_sort_block_merge_config_selectorIjyEEEEvv
    .private_segment_fixed_size: 0
    .sgpr_count:     4
    .sgpr_spill_count: 0
    .symbol:         _ZN7rocprim17ROCPRIM_400000_NS6detail44device_merge_sort_compile_time_verifier_archINS1_11comp_targetILNS1_3genE2ELNS1_11target_archE906ELNS1_3gpuE6ELNS1_3repE0EEES8_NS1_28merge_sort_block_sort_configILj256ELj4ELNS0_20block_sort_algorithmE0EEENS0_14default_configENS1_37merge_sort_block_sort_config_selectorIjyEENS1_38merge_sort_block_merge_config_selectorIjyEEEEvv.kd
    .uniform_work_group_size: 1
    .uses_dynamic_stack: false
    .vgpr_count:     0
    .vgpr_spill_count: 0
    .wavefront_size: 64
  - .agpr_count:     0
    .args:           []
    .group_segment_fixed_size: 0
    .kernarg_segment_align: 4
    .kernarg_segment_size: 0
    .language:       OpenCL C
    .language_version:
      - 2
      - 0
    .max_flat_workgroup_size: 1024
    .name:           _ZN7rocprim17ROCPRIM_400000_NS6detail44device_merge_sort_compile_time_verifier_archINS1_11comp_targetILNS1_3genE10ELNS1_11target_archE1201ELNS1_3gpuE5ELNS1_3repE0EEES8_NS1_28merge_sort_block_sort_configILj256ELj4ELNS0_20block_sort_algorithmE0EEENS0_14default_configENS1_37merge_sort_block_sort_config_selectorIjyEENS1_38merge_sort_block_merge_config_selectorIjyEEEEvv
    .private_segment_fixed_size: 0
    .sgpr_count:     4
    .sgpr_spill_count: 0
    .symbol:         _ZN7rocprim17ROCPRIM_400000_NS6detail44device_merge_sort_compile_time_verifier_archINS1_11comp_targetILNS1_3genE10ELNS1_11target_archE1201ELNS1_3gpuE5ELNS1_3repE0EEES8_NS1_28merge_sort_block_sort_configILj256ELj4ELNS0_20block_sort_algorithmE0EEENS0_14default_configENS1_37merge_sort_block_sort_config_selectorIjyEENS1_38merge_sort_block_merge_config_selectorIjyEEEEvv.kd
    .uniform_work_group_size: 1
    .uses_dynamic_stack: false
    .vgpr_count:     0
    .vgpr_spill_count: 0
    .wavefront_size: 64
  - .agpr_count:     0
    .args:           []
    .group_segment_fixed_size: 0
    .kernarg_segment_align: 4
    .kernarg_segment_size: 0
    .language:       OpenCL C
    .language_version:
      - 2
      - 0
    .max_flat_workgroup_size: 1024
    .name:           _ZN7rocprim17ROCPRIM_400000_NS6detail44device_merge_sort_compile_time_verifier_archINS1_11comp_targetILNS1_3genE10ELNS1_11target_archE1200ELNS1_3gpuE4ELNS1_3repE0EEENS3_ILS4_10ELS5_1201ELS6_5ELS7_0EEENS1_28merge_sort_block_sort_configILj256ELj4ELNS0_20block_sort_algorithmE0EEENS0_14default_configENS1_37merge_sort_block_sort_config_selectorIjyEENS1_38merge_sort_block_merge_config_selectorIjyEEEEvv
    .private_segment_fixed_size: 0
    .sgpr_count:     4
    .sgpr_spill_count: 0
    .symbol:         _ZN7rocprim17ROCPRIM_400000_NS6detail44device_merge_sort_compile_time_verifier_archINS1_11comp_targetILNS1_3genE10ELNS1_11target_archE1200ELNS1_3gpuE4ELNS1_3repE0EEENS3_ILS4_10ELS5_1201ELS6_5ELS7_0EEENS1_28merge_sort_block_sort_configILj256ELj4ELNS0_20block_sort_algorithmE0EEENS0_14default_configENS1_37merge_sort_block_sort_config_selectorIjyEENS1_38merge_sort_block_merge_config_selectorIjyEEEEvv.kd
    .uniform_work_group_size: 1
    .uses_dynamic_stack: false
    .vgpr_count:     0
    .vgpr_spill_count: 0
    .wavefront_size: 64
  - .agpr_count:     0
    .args:           []
    .group_segment_fixed_size: 0
    .kernarg_segment_align: 4
    .kernarg_segment_size: 0
    .language:       OpenCL C
    .language_version:
      - 2
      - 0
    .max_flat_workgroup_size: 1024
    .name:           _ZN7rocprim17ROCPRIM_400000_NS6detail44device_merge_sort_compile_time_verifier_archINS1_11comp_targetILNS1_3genE9ELNS1_11target_archE1100ELNS1_3gpuE3ELNS1_3repE0EEES8_NS1_28merge_sort_block_sort_configILj256ELj4ELNS0_20block_sort_algorithmE0EEENS0_14default_configENS1_37merge_sort_block_sort_config_selectorIjyEENS1_38merge_sort_block_merge_config_selectorIjyEEEEvv
    .private_segment_fixed_size: 0
    .sgpr_count:     4
    .sgpr_spill_count: 0
    .symbol:         _ZN7rocprim17ROCPRIM_400000_NS6detail44device_merge_sort_compile_time_verifier_archINS1_11comp_targetILNS1_3genE9ELNS1_11target_archE1100ELNS1_3gpuE3ELNS1_3repE0EEES8_NS1_28merge_sort_block_sort_configILj256ELj4ELNS0_20block_sort_algorithmE0EEENS0_14default_configENS1_37merge_sort_block_sort_config_selectorIjyEENS1_38merge_sort_block_merge_config_selectorIjyEEEEvv.kd
    .uniform_work_group_size: 1
    .uses_dynamic_stack: false
    .vgpr_count:     0
    .vgpr_spill_count: 0
    .wavefront_size: 64
  - .agpr_count:     0
    .args:           []
    .group_segment_fixed_size: 0
    .kernarg_segment_align: 4
    .kernarg_segment_size: 0
    .language:       OpenCL C
    .language_version:
      - 2
      - 0
    .max_flat_workgroup_size: 1024
    .name:           _ZN7rocprim17ROCPRIM_400000_NS6detail44device_merge_sort_compile_time_verifier_archINS1_11comp_targetILNS1_3genE8ELNS1_11target_archE1030ELNS1_3gpuE2ELNS1_3repE0EEES8_NS1_28merge_sort_block_sort_configILj256ELj4ELNS0_20block_sort_algorithmE0EEENS0_14default_configENS1_37merge_sort_block_sort_config_selectorIjyEENS1_38merge_sort_block_merge_config_selectorIjyEEEEvv
    .private_segment_fixed_size: 0
    .sgpr_count:     4
    .sgpr_spill_count: 0
    .symbol:         _ZN7rocprim17ROCPRIM_400000_NS6detail44device_merge_sort_compile_time_verifier_archINS1_11comp_targetILNS1_3genE8ELNS1_11target_archE1030ELNS1_3gpuE2ELNS1_3repE0EEES8_NS1_28merge_sort_block_sort_configILj256ELj4ELNS0_20block_sort_algorithmE0EEENS0_14default_configENS1_37merge_sort_block_sort_config_selectorIjyEENS1_38merge_sort_block_merge_config_selectorIjyEEEEvv.kd
    .uniform_work_group_size: 1
    .uses_dynamic_stack: false
    .vgpr_count:     0
    .vgpr_spill_count: 0
    .wavefront_size: 64
  - .agpr_count:     0
    .args:
      - .offset:         0
        .size:           40
        .value_kind:     by_value
    .group_segment_fixed_size: 0
    .kernarg_segment_align: 8
    .kernarg_segment_size: 40
    .language:       OpenCL C
    .language_version:
      - 2
      - 0
    .max_flat_workgroup_size: 128
    .name:           _ZN7rocprim17ROCPRIM_400000_NS6detail17trampoline_kernelINS0_14default_configENS1_38merge_sort_block_merge_config_selectorIjyEEZZNS1_27merge_sort_block_merge_implIS3_PjPyjNS1_19radix_merge_compareILb0ELb0EjNS0_19identity_decomposerEEEEE10hipError_tT0_T1_T2_jT3_P12ihipStream_tbPNSt15iterator_traitsISD_E10value_typeEPNSJ_ISE_E10value_typeEPSF_NS1_7vsmem_tEENKUlT_SD_SE_SF_E_clIS7_S7_S8_S8_EESC_SS_SD_SE_SF_EUlSS_E_NS1_11comp_targetILNS1_3genE0ELNS1_11target_archE4294967295ELNS1_3gpuE0ELNS1_3repE0EEENS1_48merge_mergepath_partition_config_static_selectorELNS0_4arch9wavefront6targetE1EEEvSE_
    .private_segment_fixed_size: 0
    .sgpr_count:     4
    .sgpr_spill_count: 0
    .symbol:         _ZN7rocprim17ROCPRIM_400000_NS6detail17trampoline_kernelINS0_14default_configENS1_38merge_sort_block_merge_config_selectorIjyEEZZNS1_27merge_sort_block_merge_implIS3_PjPyjNS1_19radix_merge_compareILb0ELb0EjNS0_19identity_decomposerEEEEE10hipError_tT0_T1_T2_jT3_P12ihipStream_tbPNSt15iterator_traitsISD_E10value_typeEPNSJ_ISE_E10value_typeEPSF_NS1_7vsmem_tEENKUlT_SD_SE_SF_E_clIS7_S7_S8_S8_EESC_SS_SD_SE_SF_EUlSS_E_NS1_11comp_targetILNS1_3genE0ELNS1_11target_archE4294967295ELNS1_3gpuE0ELNS1_3repE0EEENS1_48merge_mergepath_partition_config_static_selectorELNS0_4arch9wavefront6targetE1EEEvSE_.kd
    .uniform_work_group_size: 1
    .uses_dynamic_stack: false
    .vgpr_count:     0
    .vgpr_spill_count: 0
    .wavefront_size: 64
  - .agpr_count:     0
    .args:
      - .offset:         0
        .size:           40
        .value_kind:     by_value
    .group_segment_fixed_size: 0
    .kernarg_segment_align: 8
    .kernarg_segment_size: 40
    .language:       OpenCL C
    .language_version:
      - 2
      - 0
    .max_flat_workgroup_size: 128
    .name:           _ZN7rocprim17ROCPRIM_400000_NS6detail17trampoline_kernelINS0_14default_configENS1_38merge_sort_block_merge_config_selectorIjyEEZZNS1_27merge_sort_block_merge_implIS3_PjPyjNS1_19radix_merge_compareILb0ELb0EjNS0_19identity_decomposerEEEEE10hipError_tT0_T1_T2_jT3_P12ihipStream_tbPNSt15iterator_traitsISD_E10value_typeEPNSJ_ISE_E10value_typeEPSF_NS1_7vsmem_tEENKUlT_SD_SE_SF_E_clIS7_S7_S8_S8_EESC_SS_SD_SE_SF_EUlSS_E_NS1_11comp_targetILNS1_3genE10ELNS1_11target_archE1201ELNS1_3gpuE5ELNS1_3repE0EEENS1_48merge_mergepath_partition_config_static_selectorELNS0_4arch9wavefront6targetE1EEEvSE_
    .private_segment_fixed_size: 0
    .sgpr_count:     4
    .sgpr_spill_count: 0
    .symbol:         _ZN7rocprim17ROCPRIM_400000_NS6detail17trampoline_kernelINS0_14default_configENS1_38merge_sort_block_merge_config_selectorIjyEEZZNS1_27merge_sort_block_merge_implIS3_PjPyjNS1_19radix_merge_compareILb0ELb0EjNS0_19identity_decomposerEEEEE10hipError_tT0_T1_T2_jT3_P12ihipStream_tbPNSt15iterator_traitsISD_E10value_typeEPNSJ_ISE_E10value_typeEPSF_NS1_7vsmem_tEENKUlT_SD_SE_SF_E_clIS7_S7_S8_S8_EESC_SS_SD_SE_SF_EUlSS_E_NS1_11comp_targetILNS1_3genE10ELNS1_11target_archE1201ELNS1_3gpuE5ELNS1_3repE0EEENS1_48merge_mergepath_partition_config_static_selectorELNS0_4arch9wavefront6targetE1EEEvSE_.kd
    .uniform_work_group_size: 1
    .uses_dynamic_stack: false
    .vgpr_count:     0
    .vgpr_spill_count: 0
    .wavefront_size: 64
  - .agpr_count:     0
    .args:
      - .offset:         0
        .size:           40
        .value_kind:     by_value
    .group_segment_fixed_size: 0
    .kernarg_segment_align: 8
    .kernarg_segment_size: 40
    .language:       OpenCL C
    .language_version:
      - 2
      - 0
    .max_flat_workgroup_size: 128
    .name:           _ZN7rocprim17ROCPRIM_400000_NS6detail17trampoline_kernelINS0_14default_configENS1_38merge_sort_block_merge_config_selectorIjyEEZZNS1_27merge_sort_block_merge_implIS3_PjPyjNS1_19radix_merge_compareILb0ELb0EjNS0_19identity_decomposerEEEEE10hipError_tT0_T1_T2_jT3_P12ihipStream_tbPNSt15iterator_traitsISD_E10value_typeEPNSJ_ISE_E10value_typeEPSF_NS1_7vsmem_tEENKUlT_SD_SE_SF_E_clIS7_S7_S8_S8_EESC_SS_SD_SE_SF_EUlSS_E_NS1_11comp_targetILNS1_3genE5ELNS1_11target_archE942ELNS1_3gpuE9ELNS1_3repE0EEENS1_48merge_mergepath_partition_config_static_selectorELNS0_4arch9wavefront6targetE1EEEvSE_
    .private_segment_fixed_size: 0
    .sgpr_count:     4
    .sgpr_spill_count: 0
    .symbol:         _ZN7rocprim17ROCPRIM_400000_NS6detail17trampoline_kernelINS0_14default_configENS1_38merge_sort_block_merge_config_selectorIjyEEZZNS1_27merge_sort_block_merge_implIS3_PjPyjNS1_19radix_merge_compareILb0ELb0EjNS0_19identity_decomposerEEEEE10hipError_tT0_T1_T2_jT3_P12ihipStream_tbPNSt15iterator_traitsISD_E10value_typeEPNSJ_ISE_E10value_typeEPSF_NS1_7vsmem_tEENKUlT_SD_SE_SF_E_clIS7_S7_S8_S8_EESC_SS_SD_SE_SF_EUlSS_E_NS1_11comp_targetILNS1_3genE5ELNS1_11target_archE942ELNS1_3gpuE9ELNS1_3repE0EEENS1_48merge_mergepath_partition_config_static_selectorELNS0_4arch9wavefront6targetE1EEEvSE_.kd
    .uniform_work_group_size: 1
    .uses_dynamic_stack: false
    .vgpr_count:     0
    .vgpr_spill_count: 0
    .wavefront_size: 64
  - .agpr_count:     0
    .args:
      - .offset:         0
        .size:           40
        .value_kind:     by_value
    .group_segment_fixed_size: 0
    .kernarg_segment_align: 8
    .kernarg_segment_size: 40
    .language:       OpenCL C
    .language_version:
      - 2
      - 0
    .max_flat_workgroup_size: 128
    .name:           _ZN7rocprim17ROCPRIM_400000_NS6detail17trampoline_kernelINS0_14default_configENS1_38merge_sort_block_merge_config_selectorIjyEEZZNS1_27merge_sort_block_merge_implIS3_PjPyjNS1_19radix_merge_compareILb0ELb0EjNS0_19identity_decomposerEEEEE10hipError_tT0_T1_T2_jT3_P12ihipStream_tbPNSt15iterator_traitsISD_E10value_typeEPNSJ_ISE_E10value_typeEPSF_NS1_7vsmem_tEENKUlT_SD_SE_SF_E_clIS7_S7_S8_S8_EESC_SS_SD_SE_SF_EUlSS_E_NS1_11comp_targetILNS1_3genE4ELNS1_11target_archE910ELNS1_3gpuE8ELNS1_3repE0EEENS1_48merge_mergepath_partition_config_static_selectorELNS0_4arch9wavefront6targetE1EEEvSE_
    .private_segment_fixed_size: 0
    .sgpr_count:     12
    .sgpr_spill_count: 0
    .symbol:         _ZN7rocprim17ROCPRIM_400000_NS6detail17trampoline_kernelINS0_14default_configENS1_38merge_sort_block_merge_config_selectorIjyEEZZNS1_27merge_sort_block_merge_implIS3_PjPyjNS1_19radix_merge_compareILb0ELb0EjNS0_19identity_decomposerEEEEE10hipError_tT0_T1_T2_jT3_P12ihipStream_tbPNSt15iterator_traitsISD_E10value_typeEPNSJ_ISE_E10value_typeEPSF_NS1_7vsmem_tEENKUlT_SD_SE_SF_E_clIS7_S7_S8_S8_EESC_SS_SD_SE_SF_EUlSS_E_NS1_11comp_targetILNS1_3genE4ELNS1_11target_archE910ELNS1_3gpuE8ELNS1_3repE0EEENS1_48merge_mergepath_partition_config_static_selectorELNS0_4arch9wavefront6targetE1EEEvSE_.kd
    .uniform_work_group_size: 1
    .uses_dynamic_stack: false
    .vgpr_count:     17
    .vgpr_spill_count: 0
    .wavefront_size: 64
  - .agpr_count:     0
    .args:
      - .offset:         0
        .size:           40
        .value_kind:     by_value
    .group_segment_fixed_size: 0
    .kernarg_segment_align: 8
    .kernarg_segment_size: 40
    .language:       OpenCL C
    .language_version:
      - 2
      - 0
    .max_flat_workgroup_size: 128
    .name:           _ZN7rocprim17ROCPRIM_400000_NS6detail17trampoline_kernelINS0_14default_configENS1_38merge_sort_block_merge_config_selectorIjyEEZZNS1_27merge_sort_block_merge_implIS3_PjPyjNS1_19radix_merge_compareILb0ELb0EjNS0_19identity_decomposerEEEEE10hipError_tT0_T1_T2_jT3_P12ihipStream_tbPNSt15iterator_traitsISD_E10value_typeEPNSJ_ISE_E10value_typeEPSF_NS1_7vsmem_tEENKUlT_SD_SE_SF_E_clIS7_S7_S8_S8_EESC_SS_SD_SE_SF_EUlSS_E_NS1_11comp_targetILNS1_3genE3ELNS1_11target_archE908ELNS1_3gpuE7ELNS1_3repE0EEENS1_48merge_mergepath_partition_config_static_selectorELNS0_4arch9wavefront6targetE1EEEvSE_
    .private_segment_fixed_size: 0
    .sgpr_count:     4
    .sgpr_spill_count: 0
    .symbol:         _ZN7rocprim17ROCPRIM_400000_NS6detail17trampoline_kernelINS0_14default_configENS1_38merge_sort_block_merge_config_selectorIjyEEZZNS1_27merge_sort_block_merge_implIS3_PjPyjNS1_19radix_merge_compareILb0ELb0EjNS0_19identity_decomposerEEEEE10hipError_tT0_T1_T2_jT3_P12ihipStream_tbPNSt15iterator_traitsISD_E10value_typeEPNSJ_ISE_E10value_typeEPSF_NS1_7vsmem_tEENKUlT_SD_SE_SF_E_clIS7_S7_S8_S8_EESC_SS_SD_SE_SF_EUlSS_E_NS1_11comp_targetILNS1_3genE3ELNS1_11target_archE908ELNS1_3gpuE7ELNS1_3repE0EEENS1_48merge_mergepath_partition_config_static_selectorELNS0_4arch9wavefront6targetE1EEEvSE_.kd
    .uniform_work_group_size: 1
    .uses_dynamic_stack: false
    .vgpr_count:     0
    .vgpr_spill_count: 0
    .wavefront_size: 64
  - .agpr_count:     0
    .args:
      - .offset:         0
        .size:           40
        .value_kind:     by_value
    .group_segment_fixed_size: 0
    .kernarg_segment_align: 8
    .kernarg_segment_size: 40
    .language:       OpenCL C
    .language_version:
      - 2
      - 0
    .max_flat_workgroup_size: 128
    .name:           _ZN7rocprim17ROCPRIM_400000_NS6detail17trampoline_kernelINS0_14default_configENS1_38merge_sort_block_merge_config_selectorIjyEEZZNS1_27merge_sort_block_merge_implIS3_PjPyjNS1_19radix_merge_compareILb0ELb0EjNS0_19identity_decomposerEEEEE10hipError_tT0_T1_T2_jT3_P12ihipStream_tbPNSt15iterator_traitsISD_E10value_typeEPNSJ_ISE_E10value_typeEPSF_NS1_7vsmem_tEENKUlT_SD_SE_SF_E_clIS7_S7_S8_S8_EESC_SS_SD_SE_SF_EUlSS_E_NS1_11comp_targetILNS1_3genE2ELNS1_11target_archE906ELNS1_3gpuE6ELNS1_3repE0EEENS1_48merge_mergepath_partition_config_static_selectorELNS0_4arch9wavefront6targetE1EEEvSE_
    .private_segment_fixed_size: 0
    .sgpr_count:     4
    .sgpr_spill_count: 0
    .symbol:         _ZN7rocprim17ROCPRIM_400000_NS6detail17trampoline_kernelINS0_14default_configENS1_38merge_sort_block_merge_config_selectorIjyEEZZNS1_27merge_sort_block_merge_implIS3_PjPyjNS1_19radix_merge_compareILb0ELb0EjNS0_19identity_decomposerEEEEE10hipError_tT0_T1_T2_jT3_P12ihipStream_tbPNSt15iterator_traitsISD_E10value_typeEPNSJ_ISE_E10value_typeEPSF_NS1_7vsmem_tEENKUlT_SD_SE_SF_E_clIS7_S7_S8_S8_EESC_SS_SD_SE_SF_EUlSS_E_NS1_11comp_targetILNS1_3genE2ELNS1_11target_archE906ELNS1_3gpuE6ELNS1_3repE0EEENS1_48merge_mergepath_partition_config_static_selectorELNS0_4arch9wavefront6targetE1EEEvSE_.kd
    .uniform_work_group_size: 1
    .uses_dynamic_stack: false
    .vgpr_count:     0
    .vgpr_spill_count: 0
    .wavefront_size: 64
  - .agpr_count:     0
    .args:
      - .offset:         0
        .size:           40
        .value_kind:     by_value
    .group_segment_fixed_size: 0
    .kernarg_segment_align: 8
    .kernarg_segment_size: 40
    .language:       OpenCL C
    .language_version:
      - 2
      - 0
    .max_flat_workgroup_size: 128
    .name:           _ZN7rocprim17ROCPRIM_400000_NS6detail17trampoline_kernelINS0_14default_configENS1_38merge_sort_block_merge_config_selectorIjyEEZZNS1_27merge_sort_block_merge_implIS3_PjPyjNS1_19radix_merge_compareILb0ELb0EjNS0_19identity_decomposerEEEEE10hipError_tT0_T1_T2_jT3_P12ihipStream_tbPNSt15iterator_traitsISD_E10value_typeEPNSJ_ISE_E10value_typeEPSF_NS1_7vsmem_tEENKUlT_SD_SE_SF_E_clIS7_S7_S8_S8_EESC_SS_SD_SE_SF_EUlSS_E_NS1_11comp_targetILNS1_3genE9ELNS1_11target_archE1100ELNS1_3gpuE3ELNS1_3repE0EEENS1_48merge_mergepath_partition_config_static_selectorELNS0_4arch9wavefront6targetE1EEEvSE_
    .private_segment_fixed_size: 0
    .sgpr_count:     4
    .sgpr_spill_count: 0
    .symbol:         _ZN7rocprim17ROCPRIM_400000_NS6detail17trampoline_kernelINS0_14default_configENS1_38merge_sort_block_merge_config_selectorIjyEEZZNS1_27merge_sort_block_merge_implIS3_PjPyjNS1_19radix_merge_compareILb0ELb0EjNS0_19identity_decomposerEEEEE10hipError_tT0_T1_T2_jT3_P12ihipStream_tbPNSt15iterator_traitsISD_E10value_typeEPNSJ_ISE_E10value_typeEPSF_NS1_7vsmem_tEENKUlT_SD_SE_SF_E_clIS7_S7_S8_S8_EESC_SS_SD_SE_SF_EUlSS_E_NS1_11comp_targetILNS1_3genE9ELNS1_11target_archE1100ELNS1_3gpuE3ELNS1_3repE0EEENS1_48merge_mergepath_partition_config_static_selectorELNS0_4arch9wavefront6targetE1EEEvSE_.kd
    .uniform_work_group_size: 1
    .uses_dynamic_stack: false
    .vgpr_count:     0
    .vgpr_spill_count: 0
    .wavefront_size: 64
  - .agpr_count:     0
    .args:
      - .offset:         0
        .size:           40
        .value_kind:     by_value
    .group_segment_fixed_size: 0
    .kernarg_segment_align: 8
    .kernarg_segment_size: 40
    .language:       OpenCL C
    .language_version:
      - 2
      - 0
    .max_flat_workgroup_size: 128
    .name:           _ZN7rocprim17ROCPRIM_400000_NS6detail17trampoline_kernelINS0_14default_configENS1_38merge_sort_block_merge_config_selectorIjyEEZZNS1_27merge_sort_block_merge_implIS3_PjPyjNS1_19radix_merge_compareILb0ELb0EjNS0_19identity_decomposerEEEEE10hipError_tT0_T1_T2_jT3_P12ihipStream_tbPNSt15iterator_traitsISD_E10value_typeEPNSJ_ISE_E10value_typeEPSF_NS1_7vsmem_tEENKUlT_SD_SE_SF_E_clIS7_S7_S8_S8_EESC_SS_SD_SE_SF_EUlSS_E_NS1_11comp_targetILNS1_3genE8ELNS1_11target_archE1030ELNS1_3gpuE2ELNS1_3repE0EEENS1_48merge_mergepath_partition_config_static_selectorELNS0_4arch9wavefront6targetE1EEEvSE_
    .private_segment_fixed_size: 0
    .sgpr_count:     4
    .sgpr_spill_count: 0
    .symbol:         _ZN7rocprim17ROCPRIM_400000_NS6detail17trampoline_kernelINS0_14default_configENS1_38merge_sort_block_merge_config_selectorIjyEEZZNS1_27merge_sort_block_merge_implIS3_PjPyjNS1_19radix_merge_compareILb0ELb0EjNS0_19identity_decomposerEEEEE10hipError_tT0_T1_T2_jT3_P12ihipStream_tbPNSt15iterator_traitsISD_E10value_typeEPNSJ_ISE_E10value_typeEPSF_NS1_7vsmem_tEENKUlT_SD_SE_SF_E_clIS7_S7_S8_S8_EESC_SS_SD_SE_SF_EUlSS_E_NS1_11comp_targetILNS1_3genE8ELNS1_11target_archE1030ELNS1_3gpuE2ELNS1_3repE0EEENS1_48merge_mergepath_partition_config_static_selectorELNS0_4arch9wavefront6targetE1EEEvSE_.kd
    .uniform_work_group_size: 1
    .uses_dynamic_stack: false
    .vgpr_count:     0
    .vgpr_spill_count: 0
    .wavefront_size: 64
  - .agpr_count:     0
    .args:
      - .offset:         0
        .size:           64
        .value_kind:     by_value
    .group_segment_fixed_size: 0
    .kernarg_segment_align: 8
    .kernarg_segment_size: 64
    .language:       OpenCL C
    .language_version:
      - 2
      - 0
    .max_flat_workgroup_size: 512
    .name:           _ZN7rocprim17ROCPRIM_400000_NS6detail17trampoline_kernelINS0_14default_configENS1_38merge_sort_block_merge_config_selectorIjyEEZZNS1_27merge_sort_block_merge_implIS3_PjPyjNS1_19radix_merge_compareILb0ELb0EjNS0_19identity_decomposerEEEEE10hipError_tT0_T1_T2_jT3_P12ihipStream_tbPNSt15iterator_traitsISD_E10value_typeEPNSJ_ISE_E10value_typeEPSF_NS1_7vsmem_tEENKUlT_SD_SE_SF_E_clIS7_S7_S8_S8_EESC_SS_SD_SE_SF_EUlSS_E0_NS1_11comp_targetILNS1_3genE0ELNS1_11target_archE4294967295ELNS1_3gpuE0ELNS1_3repE0EEENS1_38merge_mergepath_config_static_selectorELNS0_4arch9wavefront6targetE1EEEvSE_
    .private_segment_fixed_size: 0
    .sgpr_count:     4
    .sgpr_spill_count: 0
    .symbol:         _ZN7rocprim17ROCPRIM_400000_NS6detail17trampoline_kernelINS0_14default_configENS1_38merge_sort_block_merge_config_selectorIjyEEZZNS1_27merge_sort_block_merge_implIS3_PjPyjNS1_19radix_merge_compareILb0ELb0EjNS0_19identity_decomposerEEEEE10hipError_tT0_T1_T2_jT3_P12ihipStream_tbPNSt15iterator_traitsISD_E10value_typeEPNSJ_ISE_E10value_typeEPSF_NS1_7vsmem_tEENKUlT_SD_SE_SF_E_clIS7_S7_S8_S8_EESC_SS_SD_SE_SF_EUlSS_E0_NS1_11comp_targetILNS1_3genE0ELNS1_11target_archE4294967295ELNS1_3gpuE0ELNS1_3repE0EEENS1_38merge_mergepath_config_static_selectorELNS0_4arch9wavefront6targetE1EEEvSE_.kd
    .uniform_work_group_size: 1
    .uses_dynamic_stack: false
    .vgpr_count:     0
    .vgpr_spill_count: 0
    .wavefront_size: 64
  - .agpr_count:     0
    .args:
      - .offset:         0
        .size:           64
        .value_kind:     by_value
    .group_segment_fixed_size: 0
    .kernarg_segment_align: 8
    .kernarg_segment_size: 64
    .language:       OpenCL C
    .language_version:
      - 2
      - 0
    .max_flat_workgroup_size: 512
    .name:           _ZN7rocprim17ROCPRIM_400000_NS6detail17trampoline_kernelINS0_14default_configENS1_38merge_sort_block_merge_config_selectorIjyEEZZNS1_27merge_sort_block_merge_implIS3_PjPyjNS1_19radix_merge_compareILb0ELb0EjNS0_19identity_decomposerEEEEE10hipError_tT0_T1_T2_jT3_P12ihipStream_tbPNSt15iterator_traitsISD_E10value_typeEPNSJ_ISE_E10value_typeEPSF_NS1_7vsmem_tEENKUlT_SD_SE_SF_E_clIS7_S7_S8_S8_EESC_SS_SD_SE_SF_EUlSS_E0_NS1_11comp_targetILNS1_3genE10ELNS1_11target_archE1201ELNS1_3gpuE5ELNS1_3repE0EEENS1_38merge_mergepath_config_static_selectorELNS0_4arch9wavefront6targetE1EEEvSE_
    .private_segment_fixed_size: 0
    .sgpr_count:     4
    .sgpr_spill_count: 0
    .symbol:         _ZN7rocprim17ROCPRIM_400000_NS6detail17trampoline_kernelINS0_14default_configENS1_38merge_sort_block_merge_config_selectorIjyEEZZNS1_27merge_sort_block_merge_implIS3_PjPyjNS1_19radix_merge_compareILb0ELb0EjNS0_19identity_decomposerEEEEE10hipError_tT0_T1_T2_jT3_P12ihipStream_tbPNSt15iterator_traitsISD_E10value_typeEPNSJ_ISE_E10value_typeEPSF_NS1_7vsmem_tEENKUlT_SD_SE_SF_E_clIS7_S7_S8_S8_EESC_SS_SD_SE_SF_EUlSS_E0_NS1_11comp_targetILNS1_3genE10ELNS1_11target_archE1201ELNS1_3gpuE5ELNS1_3repE0EEENS1_38merge_mergepath_config_static_selectorELNS0_4arch9wavefront6targetE1EEEvSE_.kd
    .uniform_work_group_size: 1
    .uses_dynamic_stack: false
    .vgpr_count:     0
    .vgpr_spill_count: 0
    .wavefront_size: 64
  - .agpr_count:     0
    .args:
      - .offset:         0
        .size:           64
        .value_kind:     by_value
    .group_segment_fixed_size: 0
    .kernarg_segment_align: 8
    .kernarg_segment_size: 64
    .language:       OpenCL C
    .language_version:
      - 2
      - 0
    .max_flat_workgroup_size: 256
    .name:           _ZN7rocprim17ROCPRIM_400000_NS6detail17trampoline_kernelINS0_14default_configENS1_38merge_sort_block_merge_config_selectorIjyEEZZNS1_27merge_sort_block_merge_implIS3_PjPyjNS1_19radix_merge_compareILb0ELb0EjNS0_19identity_decomposerEEEEE10hipError_tT0_T1_T2_jT3_P12ihipStream_tbPNSt15iterator_traitsISD_E10value_typeEPNSJ_ISE_E10value_typeEPSF_NS1_7vsmem_tEENKUlT_SD_SE_SF_E_clIS7_S7_S8_S8_EESC_SS_SD_SE_SF_EUlSS_E0_NS1_11comp_targetILNS1_3genE5ELNS1_11target_archE942ELNS1_3gpuE9ELNS1_3repE0EEENS1_38merge_mergepath_config_static_selectorELNS0_4arch9wavefront6targetE1EEEvSE_
    .private_segment_fixed_size: 0
    .sgpr_count:     4
    .sgpr_spill_count: 0
    .symbol:         _ZN7rocprim17ROCPRIM_400000_NS6detail17trampoline_kernelINS0_14default_configENS1_38merge_sort_block_merge_config_selectorIjyEEZZNS1_27merge_sort_block_merge_implIS3_PjPyjNS1_19radix_merge_compareILb0ELb0EjNS0_19identity_decomposerEEEEE10hipError_tT0_T1_T2_jT3_P12ihipStream_tbPNSt15iterator_traitsISD_E10value_typeEPNSJ_ISE_E10value_typeEPSF_NS1_7vsmem_tEENKUlT_SD_SE_SF_E_clIS7_S7_S8_S8_EESC_SS_SD_SE_SF_EUlSS_E0_NS1_11comp_targetILNS1_3genE5ELNS1_11target_archE942ELNS1_3gpuE9ELNS1_3repE0EEENS1_38merge_mergepath_config_static_selectorELNS0_4arch9wavefront6targetE1EEEvSE_.kd
    .uniform_work_group_size: 1
    .uses_dynamic_stack: false
    .vgpr_count:     0
    .vgpr_spill_count: 0
    .wavefront_size: 64
  - .agpr_count:     0
    .args:
      - .offset:         0
        .size:           64
        .value_kind:     by_value
      - .offset:         64
        .size:           4
        .value_kind:     hidden_block_count_x
      - .offset:         68
        .size:           4
        .value_kind:     hidden_block_count_y
      - .offset:         72
        .size:           4
        .value_kind:     hidden_block_count_z
      - .offset:         76
        .size:           2
        .value_kind:     hidden_group_size_x
      - .offset:         78
        .size:           2
        .value_kind:     hidden_group_size_y
      - .offset:         80
        .size:           2
        .value_kind:     hidden_group_size_z
      - .offset:         82
        .size:           2
        .value_kind:     hidden_remainder_x
      - .offset:         84
        .size:           2
        .value_kind:     hidden_remainder_y
      - .offset:         86
        .size:           2
        .value_kind:     hidden_remainder_z
      - .offset:         104
        .size:           8
        .value_kind:     hidden_global_offset_x
      - .offset:         112
        .size:           8
        .value_kind:     hidden_global_offset_y
      - .offset:         120
        .size:           8
        .value_kind:     hidden_global_offset_z
      - .offset:         128
        .size:           2
        .value_kind:     hidden_grid_dims
    .group_segment_fixed_size: 8448
    .kernarg_segment_align: 8
    .kernarg_segment_size: 320
    .language:       OpenCL C
    .language_version:
      - 2
      - 0
    .max_flat_workgroup_size: 256
    .name:           _ZN7rocprim17ROCPRIM_400000_NS6detail17trampoline_kernelINS0_14default_configENS1_38merge_sort_block_merge_config_selectorIjyEEZZNS1_27merge_sort_block_merge_implIS3_PjPyjNS1_19radix_merge_compareILb0ELb0EjNS0_19identity_decomposerEEEEE10hipError_tT0_T1_T2_jT3_P12ihipStream_tbPNSt15iterator_traitsISD_E10value_typeEPNSJ_ISE_E10value_typeEPSF_NS1_7vsmem_tEENKUlT_SD_SE_SF_E_clIS7_S7_S8_S8_EESC_SS_SD_SE_SF_EUlSS_E0_NS1_11comp_targetILNS1_3genE4ELNS1_11target_archE910ELNS1_3gpuE8ELNS1_3repE0EEENS1_38merge_mergepath_config_static_selectorELNS0_4arch9wavefront6targetE1EEEvSE_
    .private_segment_fixed_size: 0
    .sgpr_count:     34
    .sgpr_spill_count: 0
    .symbol:         _ZN7rocprim17ROCPRIM_400000_NS6detail17trampoline_kernelINS0_14default_configENS1_38merge_sort_block_merge_config_selectorIjyEEZZNS1_27merge_sort_block_merge_implIS3_PjPyjNS1_19radix_merge_compareILb0ELb0EjNS0_19identity_decomposerEEEEE10hipError_tT0_T1_T2_jT3_P12ihipStream_tbPNSt15iterator_traitsISD_E10value_typeEPNSJ_ISE_E10value_typeEPSF_NS1_7vsmem_tEENKUlT_SD_SE_SF_E_clIS7_S7_S8_S8_EESC_SS_SD_SE_SF_EUlSS_E0_NS1_11comp_targetILNS1_3genE4ELNS1_11target_archE910ELNS1_3gpuE8ELNS1_3repE0EEENS1_38merge_mergepath_config_static_selectorELNS0_4arch9wavefront6targetE1EEEvSE_.kd
    .uniform_work_group_size: 1
    .uses_dynamic_stack: false
    .vgpr_count:     35
    .vgpr_spill_count: 0
    .wavefront_size: 64
  - .agpr_count:     0
    .args:
      - .offset:         0
        .size:           64
        .value_kind:     by_value
    .group_segment_fixed_size: 0
    .kernarg_segment_align: 8
    .kernarg_segment_size: 64
    .language:       OpenCL C
    .language_version:
      - 2
      - 0
    .max_flat_workgroup_size: 512
    .name:           _ZN7rocprim17ROCPRIM_400000_NS6detail17trampoline_kernelINS0_14default_configENS1_38merge_sort_block_merge_config_selectorIjyEEZZNS1_27merge_sort_block_merge_implIS3_PjPyjNS1_19radix_merge_compareILb0ELb0EjNS0_19identity_decomposerEEEEE10hipError_tT0_T1_T2_jT3_P12ihipStream_tbPNSt15iterator_traitsISD_E10value_typeEPNSJ_ISE_E10value_typeEPSF_NS1_7vsmem_tEENKUlT_SD_SE_SF_E_clIS7_S7_S8_S8_EESC_SS_SD_SE_SF_EUlSS_E0_NS1_11comp_targetILNS1_3genE3ELNS1_11target_archE908ELNS1_3gpuE7ELNS1_3repE0EEENS1_38merge_mergepath_config_static_selectorELNS0_4arch9wavefront6targetE1EEEvSE_
    .private_segment_fixed_size: 0
    .sgpr_count:     4
    .sgpr_spill_count: 0
    .symbol:         _ZN7rocprim17ROCPRIM_400000_NS6detail17trampoline_kernelINS0_14default_configENS1_38merge_sort_block_merge_config_selectorIjyEEZZNS1_27merge_sort_block_merge_implIS3_PjPyjNS1_19radix_merge_compareILb0ELb0EjNS0_19identity_decomposerEEEEE10hipError_tT0_T1_T2_jT3_P12ihipStream_tbPNSt15iterator_traitsISD_E10value_typeEPNSJ_ISE_E10value_typeEPSF_NS1_7vsmem_tEENKUlT_SD_SE_SF_E_clIS7_S7_S8_S8_EESC_SS_SD_SE_SF_EUlSS_E0_NS1_11comp_targetILNS1_3genE3ELNS1_11target_archE908ELNS1_3gpuE7ELNS1_3repE0EEENS1_38merge_mergepath_config_static_selectorELNS0_4arch9wavefront6targetE1EEEvSE_.kd
    .uniform_work_group_size: 1
    .uses_dynamic_stack: false
    .vgpr_count:     0
    .vgpr_spill_count: 0
    .wavefront_size: 64
  - .agpr_count:     0
    .args:
      - .offset:         0
        .size:           64
        .value_kind:     by_value
    .group_segment_fixed_size: 0
    .kernarg_segment_align: 8
    .kernarg_segment_size: 64
    .language:       OpenCL C
    .language_version:
      - 2
      - 0
    .max_flat_workgroup_size: 256
    .name:           _ZN7rocprim17ROCPRIM_400000_NS6detail17trampoline_kernelINS0_14default_configENS1_38merge_sort_block_merge_config_selectorIjyEEZZNS1_27merge_sort_block_merge_implIS3_PjPyjNS1_19radix_merge_compareILb0ELb0EjNS0_19identity_decomposerEEEEE10hipError_tT0_T1_T2_jT3_P12ihipStream_tbPNSt15iterator_traitsISD_E10value_typeEPNSJ_ISE_E10value_typeEPSF_NS1_7vsmem_tEENKUlT_SD_SE_SF_E_clIS7_S7_S8_S8_EESC_SS_SD_SE_SF_EUlSS_E0_NS1_11comp_targetILNS1_3genE2ELNS1_11target_archE906ELNS1_3gpuE6ELNS1_3repE0EEENS1_38merge_mergepath_config_static_selectorELNS0_4arch9wavefront6targetE1EEEvSE_
    .private_segment_fixed_size: 0
    .sgpr_count:     4
    .sgpr_spill_count: 0
    .symbol:         _ZN7rocprim17ROCPRIM_400000_NS6detail17trampoline_kernelINS0_14default_configENS1_38merge_sort_block_merge_config_selectorIjyEEZZNS1_27merge_sort_block_merge_implIS3_PjPyjNS1_19radix_merge_compareILb0ELb0EjNS0_19identity_decomposerEEEEE10hipError_tT0_T1_T2_jT3_P12ihipStream_tbPNSt15iterator_traitsISD_E10value_typeEPNSJ_ISE_E10value_typeEPSF_NS1_7vsmem_tEENKUlT_SD_SE_SF_E_clIS7_S7_S8_S8_EESC_SS_SD_SE_SF_EUlSS_E0_NS1_11comp_targetILNS1_3genE2ELNS1_11target_archE906ELNS1_3gpuE6ELNS1_3repE0EEENS1_38merge_mergepath_config_static_selectorELNS0_4arch9wavefront6targetE1EEEvSE_.kd
    .uniform_work_group_size: 1
    .uses_dynamic_stack: false
    .vgpr_count:     0
    .vgpr_spill_count: 0
    .wavefront_size: 64
  - .agpr_count:     0
    .args:
      - .offset:         0
        .size:           64
        .value_kind:     by_value
    .group_segment_fixed_size: 0
    .kernarg_segment_align: 8
    .kernarg_segment_size: 64
    .language:       OpenCL C
    .language_version:
      - 2
      - 0
    .max_flat_workgroup_size: 512
    .name:           _ZN7rocprim17ROCPRIM_400000_NS6detail17trampoline_kernelINS0_14default_configENS1_38merge_sort_block_merge_config_selectorIjyEEZZNS1_27merge_sort_block_merge_implIS3_PjPyjNS1_19radix_merge_compareILb0ELb0EjNS0_19identity_decomposerEEEEE10hipError_tT0_T1_T2_jT3_P12ihipStream_tbPNSt15iterator_traitsISD_E10value_typeEPNSJ_ISE_E10value_typeEPSF_NS1_7vsmem_tEENKUlT_SD_SE_SF_E_clIS7_S7_S8_S8_EESC_SS_SD_SE_SF_EUlSS_E0_NS1_11comp_targetILNS1_3genE9ELNS1_11target_archE1100ELNS1_3gpuE3ELNS1_3repE0EEENS1_38merge_mergepath_config_static_selectorELNS0_4arch9wavefront6targetE1EEEvSE_
    .private_segment_fixed_size: 0
    .sgpr_count:     4
    .sgpr_spill_count: 0
    .symbol:         _ZN7rocprim17ROCPRIM_400000_NS6detail17trampoline_kernelINS0_14default_configENS1_38merge_sort_block_merge_config_selectorIjyEEZZNS1_27merge_sort_block_merge_implIS3_PjPyjNS1_19radix_merge_compareILb0ELb0EjNS0_19identity_decomposerEEEEE10hipError_tT0_T1_T2_jT3_P12ihipStream_tbPNSt15iterator_traitsISD_E10value_typeEPNSJ_ISE_E10value_typeEPSF_NS1_7vsmem_tEENKUlT_SD_SE_SF_E_clIS7_S7_S8_S8_EESC_SS_SD_SE_SF_EUlSS_E0_NS1_11comp_targetILNS1_3genE9ELNS1_11target_archE1100ELNS1_3gpuE3ELNS1_3repE0EEENS1_38merge_mergepath_config_static_selectorELNS0_4arch9wavefront6targetE1EEEvSE_.kd
    .uniform_work_group_size: 1
    .uses_dynamic_stack: false
    .vgpr_count:     0
    .vgpr_spill_count: 0
    .wavefront_size: 64
  - .agpr_count:     0
    .args:
      - .offset:         0
        .size:           64
        .value_kind:     by_value
    .group_segment_fixed_size: 0
    .kernarg_segment_align: 8
    .kernarg_segment_size: 64
    .language:       OpenCL C
    .language_version:
      - 2
      - 0
    .max_flat_workgroup_size: 1024
    .name:           _ZN7rocprim17ROCPRIM_400000_NS6detail17trampoline_kernelINS0_14default_configENS1_38merge_sort_block_merge_config_selectorIjyEEZZNS1_27merge_sort_block_merge_implIS3_PjPyjNS1_19radix_merge_compareILb0ELb0EjNS0_19identity_decomposerEEEEE10hipError_tT0_T1_T2_jT3_P12ihipStream_tbPNSt15iterator_traitsISD_E10value_typeEPNSJ_ISE_E10value_typeEPSF_NS1_7vsmem_tEENKUlT_SD_SE_SF_E_clIS7_S7_S8_S8_EESC_SS_SD_SE_SF_EUlSS_E0_NS1_11comp_targetILNS1_3genE8ELNS1_11target_archE1030ELNS1_3gpuE2ELNS1_3repE0EEENS1_38merge_mergepath_config_static_selectorELNS0_4arch9wavefront6targetE1EEEvSE_
    .private_segment_fixed_size: 0
    .sgpr_count:     4
    .sgpr_spill_count: 0
    .symbol:         _ZN7rocprim17ROCPRIM_400000_NS6detail17trampoline_kernelINS0_14default_configENS1_38merge_sort_block_merge_config_selectorIjyEEZZNS1_27merge_sort_block_merge_implIS3_PjPyjNS1_19radix_merge_compareILb0ELb0EjNS0_19identity_decomposerEEEEE10hipError_tT0_T1_T2_jT3_P12ihipStream_tbPNSt15iterator_traitsISD_E10value_typeEPNSJ_ISE_E10value_typeEPSF_NS1_7vsmem_tEENKUlT_SD_SE_SF_E_clIS7_S7_S8_S8_EESC_SS_SD_SE_SF_EUlSS_E0_NS1_11comp_targetILNS1_3genE8ELNS1_11target_archE1030ELNS1_3gpuE2ELNS1_3repE0EEENS1_38merge_mergepath_config_static_selectorELNS0_4arch9wavefront6targetE1EEEvSE_.kd
    .uniform_work_group_size: 1
    .uses_dynamic_stack: false
    .vgpr_count:     0
    .vgpr_spill_count: 0
    .wavefront_size: 64
  - .agpr_count:     0
    .args:
      - .offset:         0
        .size:           48
        .value_kind:     by_value
    .group_segment_fixed_size: 0
    .kernarg_segment_align: 8
    .kernarg_segment_size: 48
    .language:       OpenCL C
    .language_version:
      - 2
      - 0
    .max_flat_workgroup_size: 256
    .name:           _ZN7rocprim17ROCPRIM_400000_NS6detail17trampoline_kernelINS0_14default_configENS1_38merge_sort_block_merge_config_selectorIjyEEZZNS1_27merge_sort_block_merge_implIS3_PjPyjNS1_19radix_merge_compareILb0ELb0EjNS0_19identity_decomposerEEEEE10hipError_tT0_T1_T2_jT3_P12ihipStream_tbPNSt15iterator_traitsISD_E10value_typeEPNSJ_ISE_E10value_typeEPSF_NS1_7vsmem_tEENKUlT_SD_SE_SF_E_clIS7_S7_S8_S8_EESC_SS_SD_SE_SF_EUlSS_E1_NS1_11comp_targetILNS1_3genE0ELNS1_11target_archE4294967295ELNS1_3gpuE0ELNS1_3repE0EEENS1_36merge_oddeven_config_static_selectorELNS0_4arch9wavefront6targetE1EEEvSE_
    .private_segment_fixed_size: 0
    .sgpr_count:     4
    .sgpr_spill_count: 0
    .symbol:         _ZN7rocprim17ROCPRIM_400000_NS6detail17trampoline_kernelINS0_14default_configENS1_38merge_sort_block_merge_config_selectorIjyEEZZNS1_27merge_sort_block_merge_implIS3_PjPyjNS1_19radix_merge_compareILb0ELb0EjNS0_19identity_decomposerEEEEE10hipError_tT0_T1_T2_jT3_P12ihipStream_tbPNSt15iterator_traitsISD_E10value_typeEPNSJ_ISE_E10value_typeEPSF_NS1_7vsmem_tEENKUlT_SD_SE_SF_E_clIS7_S7_S8_S8_EESC_SS_SD_SE_SF_EUlSS_E1_NS1_11comp_targetILNS1_3genE0ELNS1_11target_archE4294967295ELNS1_3gpuE0ELNS1_3repE0EEENS1_36merge_oddeven_config_static_selectorELNS0_4arch9wavefront6targetE1EEEvSE_.kd
    .uniform_work_group_size: 1
    .uses_dynamic_stack: false
    .vgpr_count:     0
    .vgpr_spill_count: 0
    .wavefront_size: 64
  - .agpr_count:     0
    .args:
      - .offset:         0
        .size:           48
        .value_kind:     by_value
    .group_segment_fixed_size: 0
    .kernarg_segment_align: 8
    .kernarg_segment_size: 48
    .language:       OpenCL C
    .language_version:
      - 2
      - 0
    .max_flat_workgroup_size: 256
    .name:           _ZN7rocprim17ROCPRIM_400000_NS6detail17trampoline_kernelINS0_14default_configENS1_38merge_sort_block_merge_config_selectorIjyEEZZNS1_27merge_sort_block_merge_implIS3_PjPyjNS1_19radix_merge_compareILb0ELb0EjNS0_19identity_decomposerEEEEE10hipError_tT0_T1_T2_jT3_P12ihipStream_tbPNSt15iterator_traitsISD_E10value_typeEPNSJ_ISE_E10value_typeEPSF_NS1_7vsmem_tEENKUlT_SD_SE_SF_E_clIS7_S7_S8_S8_EESC_SS_SD_SE_SF_EUlSS_E1_NS1_11comp_targetILNS1_3genE10ELNS1_11target_archE1201ELNS1_3gpuE5ELNS1_3repE0EEENS1_36merge_oddeven_config_static_selectorELNS0_4arch9wavefront6targetE1EEEvSE_
    .private_segment_fixed_size: 0
    .sgpr_count:     4
    .sgpr_spill_count: 0
    .symbol:         _ZN7rocprim17ROCPRIM_400000_NS6detail17trampoline_kernelINS0_14default_configENS1_38merge_sort_block_merge_config_selectorIjyEEZZNS1_27merge_sort_block_merge_implIS3_PjPyjNS1_19radix_merge_compareILb0ELb0EjNS0_19identity_decomposerEEEEE10hipError_tT0_T1_T2_jT3_P12ihipStream_tbPNSt15iterator_traitsISD_E10value_typeEPNSJ_ISE_E10value_typeEPSF_NS1_7vsmem_tEENKUlT_SD_SE_SF_E_clIS7_S7_S8_S8_EESC_SS_SD_SE_SF_EUlSS_E1_NS1_11comp_targetILNS1_3genE10ELNS1_11target_archE1201ELNS1_3gpuE5ELNS1_3repE0EEENS1_36merge_oddeven_config_static_selectorELNS0_4arch9wavefront6targetE1EEEvSE_.kd
    .uniform_work_group_size: 1
    .uses_dynamic_stack: false
    .vgpr_count:     0
    .vgpr_spill_count: 0
    .wavefront_size: 64
  - .agpr_count:     0
    .args:
      - .offset:         0
        .size:           48
        .value_kind:     by_value
    .group_segment_fixed_size: 0
    .kernarg_segment_align: 8
    .kernarg_segment_size: 48
    .language:       OpenCL C
    .language_version:
      - 2
      - 0
    .max_flat_workgroup_size: 256
    .name:           _ZN7rocprim17ROCPRIM_400000_NS6detail17trampoline_kernelINS0_14default_configENS1_38merge_sort_block_merge_config_selectorIjyEEZZNS1_27merge_sort_block_merge_implIS3_PjPyjNS1_19radix_merge_compareILb0ELb0EjNS0_19identity_decomposerEEEEE10hipError_tT0_T1_T2_jT3_P12ihipStream_tbPNSt15iterator_traitsISD_E10value_typeEPNSJ_ISE_E10value_typeEPSF_NS1_7vsmem_tEENKUlT_SD_SE_SF_E_clIS7_S7_S8_S8_EESC_SS_SD_SE_SF_EUlSS_E1_NS1_11comp_targetILNS1_3genE5ELNS1_11target_archE942ELNS1_3gpuE9ELNS1_3repE0EEENS1_36merge_oddeven_config_static_selectorELNS0_4arch9wavefront6targetE1EEEvSE_
    .private_segment_fixed_size: 0
    .sgpr_count:     4
    .sgpr_spill_count: 0
    .symbol:         _ZN7rocprim17ROCPRIM_400000_NS6detail17trampoline_kernelINS0_14default_configENS1_38merge_sort_block_merge_config_selectorIjyEEZZNS1_27merge_sort_block_merge_implIS3_PjPyjNS1_19radix_merge_compareILb0ELb0EjNS0_19identity_decomposerEEEEE10hipError_tT0_T1_T2_jT3_P12ihipStream_tbPNSt15iterator_traitsISD_E10value_typeEPNSJ_ISE_E10value_typeEPSF_NS1_7vsmem_tEENKUlT_SD_SE_SF_E_clIS7_S7_S8_S8_EESC_SS_SD_SE_SF_EUlSS_E1_NS1_11comp_targetILNS1_3genE5ELNS1_11target_archE942ELNS1_3gpuE9ELNS1_3repE0EEENS1_36merge_oddeven_config_static_selectorELNS0_4arch9wavefront6targetE1EEEvSE_.kd
    .uniform_work_group_size: 1
    .uses_dynamic_stack: false
    .vgpr_count:     0
    .vgpr_spill_count: 0
    .wavefront_size: 64
  - .agpr_count:     0
    .args:
      - .offset:         0
        .size:           48
        .value_kind:     by_value
    .group_segment_fixed_size: 0
    .kernarg_segment_align: 8
    .kernarg_segment_size: 48
    .language:       OpenCL C
    .language_version:
      - 2
      - 0
    .max_flat_workgroup_size: 256
    .name:           _ZN7rocprim17ROCPRIM_400000_NS6detail17trampoline_kernelINS0_14default_configENS1_38merge_sort_block_merge_config_selectorIjyEEZZNS1_27merge_sort_block_merge_implIS3_PjPyjNS1_19radix_merge_compareILb0ELb0EjNS0_19identity_decomposerEEEEE10hipError_tT0_T1_T2_jT3_P12ihipStream_tbPNSt15iterator_traitsISD_E10value_typeEPNSJ_ISE_E10value_typeEPSF_NS1_7vsmem_tEENKUlT_SD_SE_SF_E_clIS7_S7_S8_S8_EESC_SS_SD_SE_SF_EUlSS_E1_NS1_11comp_targetILNS1_3genE4ELNS1_11target_archE910ELNS1_3gpuE8ELNS1_3repE0EEENS1_36merge_oddeven_config_static_selectorELNS0_4arch9wavefront6targetE1EEEvSE_
    .private_segment_fixed_size: 0
    .sgpr_count:     28
    .sgpr_spill_count: 0
    .symbol:         _ZN7rocprim17ROCPRIM_400000_NS6detail17trampoline_kernelINS0_14default_configENS1_38merge_sort_block_merge_config_selectorIjyEEZZNS1_27merge_sort_block_merge_implIS3_PjPyjNS1_19radix_merge_compareILb0ELb0EjNS0_19identity_decomposerEEEEE10hipError_tT0_T1_T2_jT3_P12ihipStream_tbPNSt15iterator_traitsISD_E10value_typeEPNSJ_ISE_E10value_typeEPSF_NS1_7vsmem_tEENKUlT_SD_SE_SF_E_clIS7_S7_S8_S8_EESC_SS_SD_SE_SF_EUlSS_E1_NS1_11comp_targetILNS1_3genE4ELNS1_11target_archE910ELNS1_3gpuE8ELNS1_3repE0EEENS1_36merge_oddeven_config_static_selectorELNS0_4arch9wavefront6targetE1EEEvSE_.kd
    .uniform_work_group_size: 1
    .uses_dynamic_stack: false
    .vgpr_count:     12
    .vgpr_spill_count: 0
    .wavefront_size: 64
  - .agpr_count:     0
    .args:
      - .offset:         0
        .size:           48
        .value_kind:     by_value
    .group_segment_fixed_size: 0
    .kernarg_segment_align: 8
    .kernarg_segment_size: 48
    .language:       OpenCL C
    .language_version:
      - 2
      - 0
    .max_flat_workgroup_size: 256
    .name:           _ZN7rocprim17ROCPRIM_400000_NS6detail17trampoline_kernelINS0_14default_configENS1_38merge_sort_block_merge_config_selectorIjyEEZZNS1_27merge_sort_block_merge_implIS3_PjPyjNS1_19radix_merge_compareILb0ELb0EjNS0_19identity_decomposerEEEEE10hipError_tT0_T1_T2_jT3_P12ihipStream_tbPNSt15iterator_traitsISD_E10value_typeEPNSJ_ISE_E10value_typeEPSF_NS1_7vsmem_tEENKUlT_SD_SE_SF_E_clIS7_S7_S8_S8_EESC_SS_SD_SE_SF_EUlSS_E1_NS1_11comp_targetILNS1_3genE3ELNS1_11target_archE908ELNS1_3gpuE7ELNS1_3repE0EEENS1_36merge_oddeven_config_static_selectorELNS0_4arch9wavefront6targetE1EEEvSE_
    .private_segment_fixed_size: 0
    .sgpr_count:     4
    .sgpr_spill_count: 0
    .symbol:         _ZN7rocprim17ROCPRIM_400000_NS6detail17trampoline_kernelINS0_14default_configENS1_38merge_sort_block_merge_config_selectorIjyEEZZNS1_27merge_sort_block_merge_implIS3_PjPyjNS1_19radix_merge_compareILb0ELb0EjNS0_19identity_decomposerEEEEE10hipError_tT0_T1_T2_jT3_P12ihipStream_tbPNSt15iterator_traitsISD_E10value_typeEPNSJ_ISE_E10value_typeEPSF_NS1_7vsmem_tEENKUlT_SD_SE_SF_E_clIS7_S7_S8_S8_EESC_SS_SD_SE_SF_EUlSS_E1_NS1_11comp_targetILNS1_3genE3ELNS1_11target_archE908ELNS1_3gpuE7ELNS1_3repE0EEENS1_36merge_oddeven_config_static_selectorELNS0_4arch9wavefront6targetE1EEEvSE_.kd
    .uniform_work_group_size: 1
    .uses_dynamic_stack: false
    .vgpr_count:     0
    .vgpr_spill_count: 0
    .wavefront_size: 64
  - .agpr_count:     0
    .args:
      - .offset:         0
        .size:           48
        .value_kind:     by_value
    .group_segment_fixed_size: 0
    .kernarg_segment_align: 8
    .kernarg_segment_size: 48
    .language:       OpenCL C
    .language_version:
      - 2
      - 0
    .max_flat_workgroup_size: 256
    .name:           _ZN7rocprim17ROCPRIM_400000_NS6detail17trampoline_kernelINS0_14default_configENS1_38merge_sort_block_merge_config_selectorIjyEEZZNS1_27merge_sort_block_merge_implIS3_PjPyjNS1_19radix_merge_compareILb0ELb0EjNS0_19identity_decomposerEEEEE10hipError_tT0_T1_T2_jT3_P12ihipStream_tbPNSt15iterator_traitsISD_E10value_typeEPNSJ_ISE_E10value_typeEPSF_NS1_7vsmem_tEENKUlT_SD_SE_SF_E_clIS7_S7_S8_S8_EESC_SS_SD_SE_SF_EUlSS_E1_NS1_11comp_targetILNS1_3genE2ELNS1_11target_archE906ELNS1_3gpuE6ELNS1_3repE0EEENS1_36merge_oddeven_config_static_selectorELNS0_4arch9wavefront6targetE1EEEvSE_
    .private_segment_fixed_size: 0
    .sgpr_count:     4
    .sgpr_spill_count: 0
    .symbol:         _ZN7rocprim17ROCPRIM_400000_NS6detail17trampoline_kernelINS0_14default_configENS1_38merge_sort_block_merge_config_selectorIjyEEZZNS1_27merge_sort_block_merge_implIS3_PjPyjNS1_19radix_merge_compareILb0ELb0EjNS0_19identity_decomposerEEEEE10hipError_tT0_T1_T2_jT3_P12ihipStream_tbPNSt15iterator_traitsISD_E10value_typeEPNSJ_ISE_E10value_typeEPSF_NS1_7vsmem_tEENKUlT_SD_SE_SF_E_clIS7_S7_S8_S8_EESC_SS_SD_SE_SF_EUlSS_E1_NS1_11comp_targetILNS1_3genE2ELNS1_11target_archE906ELNS1_3gpuE6ELNS1_3repE0EEENS1_36merge_oddeven_config_static_selectorELNS0_4arch9wavefront6targetE1EEEvSE_.kd
    .uniform_work_group_size: 1
    .uses_dynamic_stack: false
    .vgpr_count:     0
    .vgpr_spill_count: 0
    .wavefront_size: 64
  - .agpr_count:     0
    .args:
      - .offset:         0
        .size:           48
        .value_kind:     by_value
    .group_segment_fixed_size: 0
    .kernarg_segment_align: 8
    .kernarg_segment_size: 48
    .language:       OpenCL C
    .language_version:
      - 2
      - 0
    .max_flat_workgroup_size: 256
    .name:           _ZN7rocprim17ROCPRIM_400000_NS6detail17trampoline_kernelINS0_14default_configENS1_38merge_sort_block_merge_config_selectorIjyEEZZNS1_27merge_sort_block_merge_implIS3_PjPyjNS1_19radix_merge_compareILb0ELb0EjNS0_19identity_decomposerEEEEE10hipError_tT0_T1_T2_jT3_P12ihipStream_tbPNSt15iterator_traitsISD_E10value_typeEPNSJ_ISE_E10value_typeEPSF_NS1_7vsmem_tEENKUlT_SD_SE_SF_E_clIS7_S7_S8_S8_EESC_SS_SD_SE_SF_EUlSS_E1_NS1_11comp_targetILNS1_3genE9ELNS1_11target_archE1100ELNS1_3gpuE3ELNS1_3repE0EEENS1_36merge_oddeven_config_static_selectorELNS0_4arch9wavefront6targetE1EEEvSE_
    .private_segment_fixed_size: 0
    .sgpr_count:     4
    .sgpr_spill_count: 0
    .symbol:         _ZN7rocprim17ROCPRIM_400000_NS6detail17trampoline_kernelINS0_14default_configENS1_38merge_sort_block_merge_config_selectorIjyEEZZNS1_27merge_sort_block_merge_implIS3_PjPyjNS1_19radix_merge_compareILb0ELb0EjNS0_19identity_decomposerEEEEE10hipError_tT0_T1_T2_jT3_P12ihipStream_tbPNSt15iterator_traitsISD_E10value_typeEPNSJ_ISE_E10value_typeEPSF_NS1_7vsmem_tEENKUlT_SD_SE_SF_E_clIS7_S7_S8_S8_EESC_SS_SD_SE_SF_EUlSS_E1_NS1_11comp_targetILNS1_3genE9ELNS1_11target_archE1100ELNS1_3gpuE3ELNS1_3repE0EEENS1_36merge_oddeven_config_static_selectorELNS0_4arch9wavefront6targetE1EEEvSE_.kd
    .uniform_work_group_size: 1
    .uses_dynamic_stack: false
    .vgpr_count:     0
    .vgpr_spill_count: 0
    .wavefront_size: 64
  - .agpr_count:     0
    .args:
      - .offset:         0
        .size:           48
        .value_kind:     by_value
    .group_segment_fixed_size: 0
    .kernarg_segment_align: 8
    .kernarg_segment_size: 48
    .language:       OpenCL C
    .language_version:
      - 2
      - 0
    .max_flat_workgroup_size: 256
    .name:           _ZN7rocprim17ROCPRIM_400000_NS6detail17trampoline_kernelINS0_14default_configENS1_38merge_sort_block_merge_config_selectorIjyEEZZNS1_27merge_sort_block_merge_implIS3_PjPyjNS1_19radix_merge_compareILb0ELb0EjNS0_19identity_decomposerEEEEE10hipError_tT0_T1_T2_jT3_P12ihipStream_tbPNSt15iterator_traitsISD_E10value_typeEPNSJ_ISE_E10value_typeEPSF_NS1_7vsmem_tEENKUlT_SD_SE_SF_E_clIS7_S7_S8_S8_EESC_SS_SD_SE_SF_EUlSS_E1_NS1_11comp_targetILNS1_3genE8ELNS1_11target_archE1030ELNS1_3gpuE2ELNS1_3repE0EEENS1_36merge_oddeven_config_static_selectorELNS0_4arch9wavefront6targetE1EEEvSE_
    .private_segment_fixed_size: 0
    .sgpr_count:     4
    .sgpr_spill_count: 0
    .symbol:         _ZN7rocprim17ROCPRIM_400000_NS6detail17trampoline_kernelINS0_14default_configENS1_38merge_sort_block_merge_config_selectorIjyEEZZNS1_27merge_sort_block_merge_implIS3_PjPyjNS1_19radix_merge_compareILb0ELb0EjNS0_19identity_decomposerEEEEE10hipError_tT0_T1_T2_jT3_P12ihipStream_tbPNSt15iterator_traitsISD_E10value_typeEPNSJ_ISE_E10value_typeEPSF_NS1_7vsmem_tEENKUlT_SD_SE_SF_E_clIS7_S7_S8_S8_EESC_SS_SD_SE_SF_EUlSS_E1_NS1_11comp_targetILNS1_3genE8ELNS1_11target_archE1030ELNS1_3gpuE2ELNS1_3repE0EEENS1_36merge_oddeven_config_static_selectorELNS0_4arch9wavefront6targetE1EEEvSE_.kd
    .uniform_work_group_size: 1
    .uses_dynamic_stack: false
    .vgpr_count:     0
    .vgpr_spill_count: 0
    .wavefront_size: 64
  - .agpr_count:     0
    .args:
      - .offset:         0
        .size:           40
        .value_kind:     by_value
    .group_segment_fixed_size: 0
    .kernarg_segment_align: 8
    .kernarg_segment_size: 40
    .language:       OpenCL C
    .language_version:
      - 2
      - 0
    .max_flat_workgroup_size: 128
    .name:           _ZN7rocprim17ROCPRIM_400000_NS6detail17trampoline_kernelINS0_14default_configENS1_25transform_config_selectorIjLb1EEEZNS1_14transform_implILb1ES3_S5_PjS7_NS0_8identityIjEEEE10hipError_tT2_T3_mT4_P12ihipStream_tbEUlT_E_NS1_11comp_targetILNS1_3genE0ELNS1_11target_archE4294967295ELNS1_3gpuE0ELNS1_3repE0EEENS1_30default_config_static_selectorELNS0_4arch9wavefront6targetE1EEEvT1_
    .private_segment_fixed_size: 0
    .sgpr_count:     4
    .sgpr_spill_count: 0
    .symbol:         _ZN7rocprim17ROCPRIM_400000_NS6detail17trampoline_kernelINS0_14default_configENS1_25transform_config_selectorIjLb1EEEZNS1_14transform_implILb1ES3_S5_PjS7_NS0_8identityIjEEEE10hipError_tT2_T3_mT4_P12ihipStream_tbEUlT_E_NS1_11comp_targetILNS1_3genE0ELNS1_11target_archE4294967295ELNS1_3gpuE0ELNS1_3repE0EEENS1_30default_config_static_selectorELNS0_4arch9wavefront6targetE1EEEvT1_.kd
    .uniform_work_group_size: 1
    .uses_dynamic_stack: false
    .vgpr_count:     0
    .vgpr_spill_count: 0
    .wavefront_size: 64
  - .agpr_count:     0
    .args:
      - .offset:         0
        .size:           40
        .value_kind:     by_value
    .group_segment_fixed_size: 0
    .kernarg_segment_align: 8
    .kernarg_segment_size: 40
    .language:       OpenCL C
    .language_version:
      - 2
      - 0
    .max_flat_workgroup_size: 1024
    .name:           _ZN7rocprim17ROCPRIM_400000_NS6detail17trampoline_kernelINS0_14default_configENS1_25transform_config_selectorIjLb1EEEZNS1_14transform_implILb1ES3_S5_PjS7_NS0_8identityIjEEEE10hipError_tT2_T3_mT4_P12ihipStream_tbEUlT_E_NS1_11comp_targetILNS1_3genE10ELNS1_11target_archE1201ELNS1_3gpuE5ELNS1_3repE0EEENS1_30default_config_static_selectorELNS0_4arch9wavefront6targetE1EEEvT1_
    .private_segment_fixed_size: 0
    .sgpr_count:     4
    .sgpr_spill_count: 0
    .symbol:         _ZN7rocprim17ROCPRIM_400000_NS6detail17trampoline_kernelINS0_14default_configENS1_25transform_config_selectorIjLb1EEEZNS1_14transform_implILb1ES3_S5_PjS7_NS0_8identityIjEEEE10hipError_tT2_T3_mT4_P12ihipStream_tbEUlT_E_NS1_11comp_targetILNS1_3genE10ELNS1_11target_archE1201ELNS1_3gpuE5ELNS1_3repE0EEENS1_30default_config_static_selectorELNS0_4arch9wavefront6targetE1EEEvT1_.kd
    .uniform_work_group_size: 1
    .uses_dynamic_stack: false
    .vgpr_count:     0
    .vgpr_spill_count: 0
    .wavefront_size: 64
  - .agpr_count:     0
    .args:
      - .offset:         0
        .size:           40
        .value_kind:     by_value
    .group_segment_fixed_size: 0
    .kernarg_segment_align: 8
    .kernarg_segment_size: 40
    .language:       OpenCL C
    .language_version:
      - 2
      - 0
    .max_flat_workgroup_size: 256
    .name:           _ZN7rocprim17ROCPRIM_400000_NS6detail17trampoline_kernelINS0_14default_configENS1_25transform_config_selectorIjLb1EEEZNS1_14transform_implILb1ES3_S5_PjS7_NS0_8identityIjEEEE10hipError_tT2_T3_mT4_P12ihipStream_tbEUlT_E_NS1_11comp_targetILNS1_3genE5ELNS1_11target_archE942ELNS1_3gpuE9ELNS1_3repE0EEENS1_30default_config_static_selectorELNS0_4arch9wavefront6targetE1EEEvT1_
    .private_segment_fixed_size: 0
    .sgpr_count:     4
    .sgpr_spill_count: 0
    .symbol:         _ZN7rocprim17ROCPRIM_400000_NS6detail17trampoline_kernelINS0_14default_configENS1_25transform_config_selectorIjLb1EEEZNS1_14transform_implILb1ES3_S5_PjS7_NS0_8identityIjEEEE10hipError_tT2_T3_mT4_P12ihipStream_tbEUlT_E_NS1_11comp_targetILNS1_3genE5ELNS1_11target_archE942ELNS1_3gpuE9ELNS1_3repE0EEENS1_30default_config_static_selectorELNS0_4arch9wavefront6targetE1EEEvT1_.kd
    .uniform_work_group_size: 1
    .uses_dynamic_stack: false
    .vgpr_count:     0
    .vgpr_spill_count: 0
    .wavefront_size: 64
  - .agpr_count:     0
    .args:
      - .offset:         0
        .size:           40
        .value_kind:     by_value
      - .offset:         40
        .size:           4
        .value_kind:     hidden_block_count_x
      - .offset:         44
        .size:           4
        .value_kind:     hidden_block_count_y
      - .offset:         48
        .size:           4
        .value_kind:     hidden_block_count_z
      - .offset:         52
        .size:           2
        .value_kind:     hidden_group_size_x
      - .offset:         54
        .size:           2
        .value_kind:     hidden_group_size_y
      - .offset:         56
        .size:           2
        .value_kind:     hidden_group_size_z
      - .offset:         58
        .size:           2
        .value_kind:     hidden_remainder_x
      - .offset:         60
        .size:           2
        .value_kind:     hidden_remainder_y
      - .offset:         62
        .size:           2
        .value_kind:     hidden_remainder_z
      - .offset:         80
        .size:           8
        .value_kind:     hidden_global_offset_x
      - .offset:         88
        .size:           8
        .value_kind:     hidden_global_offset_y
      - .offset:         96
        .size:           8
        .value_kind:     hidden_global_offset_z
      - .offset:         104
        .size:           2
        .value_kind:     hidden_grid_dims
    .group_segment_fixed_size: 0
    .kernarg_segment_align: 8
    .kernarg_segment_size: 296
    .language:       OpenCL C
    .language_version:
      - 2
      - 0
    .max_flat_workgroup_size: 1024
    .name:           _ZN7rocprim17ROCPRIM_400000_NS6detail17trampoline_kernelINS0_14default_configENS1_25transform_config_selectorIjLb1EEEZNS1_14transform_implILb1ES3_S5_PjS7_NS0_8identityIjEEEE10hipError_tT2_T3_mT4_P12ihipStream_tbEUlT_E_NS1_11comp_targetILNS1_3genE4ELNS1_11target_archE910ELNS1_3gpuE8ELNS1_3repE0EEENS1_30default_config_static_selectorELNS0_4arch9wavefront6targetE1EEEvT1_
    .private_segment_fixed_size: 0
    .sgpr_count:     20
    .sgpr_spill_count: 0
    .symbol:         _ZN7rocprim17ROCPRIM_400000_NS6detail17trampoline_kernelINS0_14default_configENS1_25transform_config_selectorIjLb1EEEZNS1_14transform_implILb1ES3_S5_PjS7_NS0_8identityIjEEEE10hipError_tT2_T3_mT4_P12ihipStream_tbEUlT_E_NS1_11comp_targetILNS1_3genE4ELNS1_11target_archE910ELNS1_3gpuE8ELNS1_3repE0EEENS1_30default_config_static_selectorELNS0_4arch9wavefront6targetE1EEEvT1_.kd
    .uniform_work_group_size: 1
    .uses_dynamic_stack: false
    .vgpr_count:     8
    .vgpr_spill_count: 0
    .wavefront_size: 64
  - .agpr_count:     0
    .args:
      - .offset:         0
        .size:           40
        .value_kind:     by_value
    .group_segment_fixed_size: 0
    .kernarg_segment_align: 8
    .kernarg_segment_size: 40
    .language:       OpenCL C
    .language_version:
      - 2
      - 0
    .max_flat_workgroup_size: 128
    .name:           _ZN7rocprim17ROCPRIM_400000_NS6detail17trampoline_kernelINS0_14default_configENS1_25transform_config_selectorIjLb1EEEZNS1_14transform_implILb1ES3_S5_PjS7_NS0_8identityIjEEEE10hipError_tT2_T3_mT4_P12ihipStream_tbEUlT_E_NS1_11comp_targetILNS1_3genE3ELNS1_11target_archE908ELNS1_3gpuE7ELNS1_3repE0EEENS1_30default_config_static_selectorELNS0_4arch9wavefront6targetE1EEEvT1_
    .private_segment_fixed_size: 0
    .sgpr_count:     4
    .sgpr_spill_count: 0
    .symbol:         _ZN7rocprim17ROCPRIM_400000_NS6detail17trampoline_kernelINS0_14default_configENS1_25transform_config_selectorIjLb1EEEZNS1_14transform_implILb1ES3_S5_PjS7_NS0_8identityIjEEEE10hipError_tT2_T3_mT4_P12ihipStream_tbEUlT_E_NS1_11comp_targetILNS1_3genE3ELNS1_11target_archE908ELNS1_3gpuE7ELNS1_3repE0EEENS1_30default_config_static_selectorELNS0_4arch9wavefront6targetE1EEEvT1_.kd
    .uniform_work_group_size: 1
    .uses_dynamic_stack: false
    .vgpr_count:     0
    .vgpr_spill_count: 0
    .wavefront_size: 64
  - .agpr_count:     0
    .args:
      - .offset:         0
        .size:           40
        .value_kind:     by_value
    .group_segment_fixed_size: 0
    .kernarg_segment_align: 8
    .kernarg_segment_size: 40
    .language:       OpenCL C
    .language_version:
      - 2
      - 0
    .max_flat_workgroup_size: 1024
    .name:           _ZN7rocprim17ROCPRIM_400000_NS6detail17trampoline_kernelINS0_14default_configENS1_25transform_config_selectorIjLb1EEEZNS1_14transform_implILb1ES3_S5_PjS7_NS0_8identityIjEEEE10hipError_tT2_T3_mT4_P12ihipStream_tbEUlT_E_NS1_11comp_targetILNS1_3genE2ELNS1_11target_archE906ELNS1_3gpuE6ELNS1_3repE0EEENS1_30default_config_static_selectorELNS0_4arch9wavefront6targetE1EEEvT1_
    .private_segment_fixed_size: 0
    .sgpr_count:     4
    .sgpr_spill_count: 0
    .symbol:         _ZN7rocprim17ROCPRIM_400000_NS6detail17trampoline_kernelINS0_14default_configENS1_25transform_config_selectorIjLb1EEEZNS1_14transform_implILb1ES3_S5_PjS7_NS0_8identityIjEEEE10hipError_tT2_T3_mT4_P12ihipStream_tbEUlT_E_NS1_11comp_targetILNS1_3genE2ELNS1_11target_archE906ELNS1_3gpuE6ELNS1_3repE0EEENS1_30default_config_static_selectorELNS0_4arch9wavefront6targetE1EEEvT1_.kd
    .uniform_work_group_size: 1
    .uses_dynamic_stack: false
    .vgpr_count:     0
    .vgpr_spill_count: 0
    .wavefront_size: 64
  - .agpr_count:     0
    .args:
      - .offset:         0
        .size:           40
        .value_kind:     by_value
    .group_segment_fixed_size: 0
    .kernarg_segment_align: 8
    .kernarg_segment_size: 40
    .language:       OpenCL C
    .language_version:
      - 2
      - 0
    .max_flat_workgroup_size: 1024
    .name:           _ZN7rocprim17ROCPRIM_400000_NS6detail17trampoline_kernelINS0_14default_configENS1_25transform_config_selectorIjLb1EEEZNS1_14transform_implILb1ES3_S5_PjS7_NS0_8identityIjEEEE10hipError_tT2_T3_mT4_P12ihipStream_tbEUlT_E_NS1_11comp_targetILNS1_3genE9ELNS1_11target_archE1100ELNS1_3gpuE3ELNS1_3repE0EEENS1_30default_config_static_selectorELNS0_4arch9wavefront6targetE1EEEvT1_
    .private_segment_fixed_size: 0
    .sgpr_count:     4
    .sgpr_spill_count: 0
    .symbol:         _ZN7rocprim17ROCPRIM_400000_NS6detail17trampoline_kernelINS0_14default_configENS1_25transform_config_selectorIjLb1EEEZNS1_14transform_implILb1ES3_S5_PjS7_NS0_8identityIjEEEE10hipError_tT2_T3_mT4_P12ihipStream_tbEUlT_E_NS1_11comp_targetILNS1_3genE9ELNS1_11target_archE1100ELNS1_3gpuE3ELNS1_3repE0EEENS1_30default_config_static_selectorELNS0_4arch9wavefront6targetE1EEEvT1_.kd
    .uniform_work_group_size: 1
    .uses_dynamic_stack: false
    .vgpr_count:     0
    .vgpr_spill_count: 0
    .wavefront_size: 64
  - .agpr_count:     0
    .args:
      - .offset:         0
        .size:           40
        .value_kind:     by_value
    .group_segment_fixed_size: 0
    .kernarg_segment_align: 8
    .kernarg_segment_size: 40
    .language:       OpenCL C
    .language_version:
      - 2
      - 0
    .max_flat_workgroup_size: 1024
    .name:           _ZN7rocprim17ROCPRIM_400000_NS6detail17trampoline_kernelINS0_14default_configENS1_25transform_config_selectorIjLb1EEEZNS1_14transform_implILb1ES3_S5_PjS7_NS0_8identityIjEEEE10hipError_tT2_T3_mT4_P12ihipStream_tbEUlT_E_NS1_11comp_targetILNS1_3genE8ELNS1_11target_archE1030ELNS1_3gpuE2ELNS1_3repE0EEENS1_30default_config_static_selectorELNS0_4arch9wavefront6targetE1EEEvT1_
    .private_segment_fixed_size: 0
    .sgpr_count:     4
    .sgpr_spill_count: 0
    .symbol:         _ZN7rocprim17ROCPRIM_400000_NS6detail17trampoline_kernelINS0_14default_configENS1_25transform_config_selectorIjLb1EEEZNS1_14transform_implILb1ES3_S5_PjS7_NS0_8identityIjEEEE10hipError_tT2_T3_mT4_P12ihipStream_tbEUlT_E_NS1_11comp_targetILNS1_3genE8ELNS1_11target_archE1030ELNS1_3gpuE2ELNS1_3repE0EEENS1_30default_config_static_selectorELNS0_4arch9wavefront6targetE1EEEvT1_.kd
    .uniform_work_group_size: 1
    .uses_dynamic_stack: false
    .vgpr_count:     0
    .vgpr_spill_count: 0
    .wavefront_size: 64
  - .agpr_count:     0
    .args:
      - .offset:         0
        .size:           40
        .value_kind:     by_value
    .group_segment_fixed_size: 0
    .kernarg_segment_align: 8
    .kernarg_segment_size: 40
    .language:       OpenCL C
    .language_version:
      - 2
      - 0
    .max_flat_workgroup_size: 128
    .name:           _ZN7rocprim17ROCPRIM_400000_NS6detail17trampoline_kernelINS0_14default_configENS1_25transform_config_selectorIyLb1EEEZNS1_14transform_implILb1ES3_S5_PyS7_NS0_8identityIyEEEE10hipError_tT2_T3_mT4_P12ihipStream_tbEUlT_E_NS1_11comp_targetILNS1_3genE0ELNS1_11target_archE4294967295ELNS1_3gpuE0ELNS1_3repE0EEENS1_30default_config_static_selectorELNS0_4arch9wavefront6targetE1EEEvT1_
    .private_segment_fixed_size: 0
    .sgpr_count:     4
    .sgpr_spill_count: 0
    .symbol:         _ZN7rocprim17ROCPRIM_400000_NS6detail17trampoline_kernelINS0_14default_configENS1_25transform_config_selectorIyLb1EEEZNS1_14transform_implILb1ES3_S5_PyS7_NS0_8identityIyEEEE10hipError_tT2_T3_mT4_P12ihipStream_tbEUlT_E_NS1_11comp_targetILNS1_3genE0ELNS1_11target_archE4294967295ELNS1_3gpuE0ELNS1_3repE0EEENS1_30default_config_static_selectorELNS0_4arch9wavefront6targetE1EEEvT1_.kd
    .uniform_work_group_size: 1
    .uses_dynamic_stack: false
    .vgpr_count:     0
    .vgpr_spill_count: 0
    .wavefront_size: 64
  - .agpr_count:     0
    .args:
      - .offset:         0
        .size:           40
        .value_kind:     by_value
    .group_segment_fixed_size: 0
    .kernarg_segment_align: 8
    .kernarg_segment_size: 40
    .language:       OpenCL C
    .language_version:
      - 2
      - 0
    .max_flat_workgroup_size: 1024
    .name:           _ZN7rocprim17ROCPRIM_400000_NS6detail17trampoline_kernelINS0_14default_configENS1_25transform_config_selectorIyLb1EEEZNS1_14transform_implILb1ES3_S5_PyS7_NS0_8identityIyEEEE10hipError_tT2_T3_mT4_P12ihipStream_tbEUlT_E_NS1_11comp_targetILNS1_3genE10ELNS1_11target_archE1201ELNS1_3gpuE5ELNS1_3repE0EEENS1_30default_config_static_selectorELNS0_4arch9wavefront6targetE1EEEvT1_
    .private_segment_fixed_size: 0
    .sgpr_count:     4
    .sgpr_spill_count: 0
    .symbol:         _ZN7rocprim17ROCPRIM_400000_NS6detail17trampoline_kernelINS0_14default_configENS1_25transform_config_selectorIyLb1EEEZNS1_14transform_implILb1ES3_S5_PyS7_NS0_8identityIyEEEE10hipError_tT2_T3_mT4_P12ihipStream_tbEUlT_E_NS1_11comp_targetILNS1_3genE10ELNS1_11target_archE1201ELNS1_3gpuE5ELNS1_3repE0EEENS1_30default_config_static_selectorELNS0_4arch9wavefront6targetE1EEEvT1_.kd
    .uniform_work_group_size: 1
    .uses_dynamic_stack: false
    .vgpr_count:     0
    .vgpr_spill_count: 0
    .wavefront_size: 64
  - .agpr_count:     0
    .args:
      - .offset:         0
        .size:           40
        .value_kind:     by_value
    .group_segment_fixed_size: 0
    .kernarg_segment_align: 8
    .kernarg_segment_size: 40
    .language:       OpenCL C
    .language_version:
      - 2
      - 0
    .max_flat_workgroup_size: 512
    .name:           _ZN7rocprim17ROCPRIM_400000_NS6detail17trampoline_kernelINS0_14default_configENS1_25transform_config_selectorIyLb1EEEZNS1_14transform_implILb1ES3_S5_PyS7_NS0_8identityIyEEEE10hipError_tT2_T3_mT4_P12ihipStream_tbEUlT_E_NS1_11comp_targetILNS1_3genE5ELNS1_11target_archE942ELNS1_3gpuE9ELNS1_3repE0EEENS1_30default_config_static_selectorELNS0_4arch9wavefront6targetE1EEEvT1_
    .private_segment_fixed_size: 0
    .sgpr_count:     4
    .sgpr_spill_count: 0
    .symbol:         _ZN7rocprim17ROCPRIM_400000_NS6detail17trampoline_kernelINS0_14default_configENS1_25transform_config_selectorIyLb1EEEZNS1_14transform_implILb1ES3_S5_PyS7_NS0_8identityIyEEEE10hipError_tT2_T3_mT4_P12ihipStream_tbEUlT_E_NS1_11comp_targetILNS1_3genE5ELNS1_11target_archE942ELNS1_3gpuE9ELNS1_3repE0EEENS1_30default_config_static_selectorELNS0_4arch9wavefront6targetE1EEEvT1_.kd
    .uniform_work_group_size: 1
    .uses_dynamic_stack: false
    .vgpr_count:     0
    .vgpr_spill_count: 0
    .wavefront_size: 64
  - .agpr_count:     0
    .args:
      - .offset:         0
        .size:           40
        .value_kind:     by_value
      - .offset:         40
        .size:           4
        .value_kind:     hidden_block_count_x
      - .offset:         44
        .size:           4
        .value_kind:     hidden_block_count_y
      - .offset:         48
        .size:           4
        .value_kind:     hidden_block_count_z
      - .offset:         52
        .size:           2
        .value_kind:     hidden_group_size_x
      - .offset:         54
        .size:           2
        .value_kind:     hidden_group_size_y
      - .offset:         56
        .size:           2
        .value_kind:     hidden_group_size_z
      - .offset:         58
        .size:           2
        .value_kind:     hidden_remainder_x
      - .offset:         60
        .size:           2
        .value_kind:     hidden_remainder_y
      - .offset:         62
        .size:           2
        .value_kind:     hidden_remainder_z
      - .offset:         80
        .size:           8
        .value_kind:     hidden_global_offset_x
      - .offset:         88
        .size:           8
        .value_kind:     hidden_global_offset_y
      - .offset:         96
        .size:           8
        .value_kind:     hidden_global_offset_z
      - .offset:         104
        .size:           2
        .value_kind:     hidden_grid_dims
    .group_segment_fixed_size: 0
    .kernarg_segment_align: 8
    .kernarg_segment_size: 296
    .language:       OpenCL C
    .language_version:
      - 2
      - 0
    .max_flat_workgroup_size: 1024
    .name:           _ZN7rocprim17ROCPRIM_400000_NS6detail17trampoline_kernelINS0_14default_configENS1_25transform_config_selectorIyLb1EEEZNS1_14transform_implILb1ES3_S5_PyS7_NS0_8identityIyEEEE10hipError_tT2_T3_mT4_P12ihipStream_tbEUlT_E_NS1_11comp_targetILNS1_3genE4ELNS1_11target_archE910ELNS1_3gpuE8ELNS1_3repE0EEENS1_30default_config_static_selectorELNS0_4arch9wavefront6targetE1EEEvT1_
    .private_segment_fixed_size: 0
    .sgpr_count:     20
    .sgpr_spill_count: 0
    .symbol:         _ZN7rocprim17ROCPRIM_400000_NS6detail17trampoline_kernelINS0_14default_configENS1_25transform_config_selectorIyLb1EEEZNS1_14transform_implILb1ES3_S5_PyS7_NS0_8identityIyEEEE10hipError_tT2_T3_mT4_P12ihipStream_tbEUlT_E_NS1_11comp_targetILNS1_3genE4ELNS1_11target_archE910ELNS1_3gpuE8ELNS1_3repE0EEENS1_30default_config_static_selectorELNS0_4arch9wavefront6targetE1EEEvT1_.kd
    .uniform_work_group_size: 1
    .uses_dynamic_stack: false
    .vgpr_count:     7
    .vgpr_spill_count: 0
    .wavefront_size: 64
  - .agpr_count:     0
    .args:
      - .offset:         0
        .size:           40
        .value_kind:     by_value
    .group_segment_fixed_size: 0
    .kernarg_segment_align: 8
    .kernarg_segment_size: 40
    .language:       OpenCL C
    .language_version:
      - 2
      - 0
    .max_flat_workgroup_size: 128
    .name:           _ZN7rocprim17ROCPRIM_400000_NS6detail17trampoline_kernelINS0_14default_configENS1_25transform_config_selectorIyLb1EEEZNS1_14transform_implILb1ES3_S5_PyS7_NS0_8identityIyEEEE10hipError_tT2_T3_mT4_P12ihipStream_tbEUlT_E_NS1_11comp_targetILNS1_3genE3ELNS1_11target_archE908ELNS1_3gpuE7ELNS1_3repE0EEENS1_30default_config_static_selectorELNS0_4arch9wavefront6targetE1EEEvT1_
    .private_segment_fixed_size: 0
    .sgpr_count:     4
    .sgpr_spill_count: 0
    .symbol:         _ZN7rocprim17ROCPRIM_400000_NS6detail17trampoline_kernelINS0_14default_configENS1_25transform_config_selectorIyLb1EEEZNS1_14transform_implILb1ES3_S5_PyS7_NS0_8identityIyEEEE10hipError_tT2_T3_mT4_P12ihipStream_tbEUlT_E_NS1_11comp_targetILNS1_3genE3ELNS1_11target_archE908ELNS1_3gpuE7ELNS1_3repE0EEENS1_30default_config_static_selectorELNS0_4arch9wavefront6targetE1EEEvT1_.kd
    .uniform_work_group_size: 1
    .uses_dynamic_stack: false
    .vgpr_count:     0
    .vgpr_spill_count: 0
    .wavefront_size: 64
  - .agpr_count:     0
    .args:
      - .offset:         0
        .size:           40
        .value_kind:     by_value
    .group_segment_fixed_size: 0
    .kernarg_segment_align: 8
    .kernarg_segment_size: 40
    .language:       OpenCL C
    .language_version:
      - 2
      - 0
    .max_flat_workgroup_size: 512
    .name:           _ZN7rocprim17ROCPRIM_400000_NS6detail17trampoline_kernelINS0_14default_configENS1_25transform_config_selectorIyLb1EEEZNS1_14transform_implILb1ES3_S5_PyS7_NS0_8identityIyEEEE10hipError_tT2_T3_mT4_P12ihipStream_tbEUlT_E_NS1_11comp_targetILNS1_3genE2ELNS1_11target_archE906ELNS1_3gpuE6ELNS1_3repE0EEENS1_30default_config_static_selectorELNS0_4arch9wavefront6targetE1EEEvT1_
    .private_segment_fixed_size: 0
    .sgpr_count:     4
    .sgpr_spill_count: 0
    .symbol:         _ZN7rocprim17ROCPRIM_400000_NS6detail17trampoline_kernelINS0_14default_configENS1_25transform_config_selectorIyLb1EEEZNS1_14transform_implILb1ES3_S5_PyS7_NS0_8identityIyEEEE10hipError_tT2_T3_mT4_P12ihipStream_tbEUlT_E_NS1_11comp_targetILNS1_3genE2ELNS1_11target_archE906ELNS1_3gpuE6ELNS1_3repE0EEENS1_30default_config_static_selectorELNS0_4arch9wavefront6targetE1EEEvT1_.kd
    .uniform_work_group_size: 1
    .uses_dynamic_stack: false
    .vgpr_count:     0
    .vgpr_spill_count: 0
    .wavefront_size: 64
  - .agpr_count:     0
    .args:
      - .offset:         0
        .size:           40
        .value_kind:     by_value
    .group_segment_fixed_size: 0
    .kernarg_segment_align: 8
    .kernarg_segment_size: 40
    .language:       OpenCL C
    .language_version:
      - 2
      - 0
    .max_flat_workgroup_size: 1024
    .name:           _ZN7rocprim17ROCPRIM_400000_NS6detail17trampoline_kernelINS0_14default_configENS1_25transform_config_selectorIyLb1EEEZNS1_14transform_implILb1ES3_S5_PyS7_NS0_8identityIyEEEE10hipError_tT2_T3_mT4_P12ihipStream_tbEUlT_E_NS1_11comp_targetILNS1_3genE9ELNS1_11target_archE1100ELNS1_3gpuE3ELNS1_3repE0EEENS1_30default_config_static_selectorELNS0_4arch9wavefront6targetE1EEEvT1_
    .private_segment_fixed_size: 0
    .sgpr_count:     4
    .sgpr_spill_count: 0
    .symbol:         _ZN7rocprim17ROCPRIM_400000_NS6detail17trampoline_kernelINS0_14default_configENS1_25transform_config_selectorIyLb1EEEZNS1_14transform_implILb1ES3_S5_PyS7_NS0_8identityIyEEEE10hipError_tT2_T3_mT4_P12ihipStream_tbEUlT_E_NS1_11comp_targetILNS1_3genE9ELNS1_11target_archE1100ELNS1_3gpuE3ELNS1_3repE0EEENS1_30default_config_static_selectorELNS0_4arch9wavefront6targetE1EEEvT1_.kd
    .uniform_work_group_size: 1
    .uses_dynamic_stack: false
    .vgpr_count:     0
    .vgpr_spill_count: 0
    .wavefront_size: 64
  - .agpr_count:     0
    .args:
      - .offset:         0
        .size:           40
        .value_kind:     by_value
    .group_segment_fixed_size: 0
    .kernarg_segment_align: 8
    .kernarg_segment_size: 40
    .language:       OpenCL C
    .language_version:
      - 2
      - 0
    .max_flat_workgroup_size: 1024
    .name:           _ZN7rocprim17ROCPRIM_400000_NS6detail17trampoline_kernelINS0_14default_configENS1_25transform_config_selectorIyLb1EEEZNS1_14transform_implILb1ES3_S5_PyS7_NS0_8identityIyEEEE10hipError_tT2_T3_mT4_P12ihipStream_tbEUlT_E_NS1_11comp_targetILNS1_3genE8ELNS1_11target_archE1030ELNS1_3gpuE2ELNS1_3repE0EEENS1_30default_config_static_selectorELNS0_4arch9wavefront6targetE1EEEvT1_
    .private_segment_fixed_size: 0
    .sgpr_count:     4
    .sgpr_spill_count: 0
    .symbol:         _ZN7rocprim17ROCPRIM_400000_NS6detail17trampoline_kernelINS0_14default_configENS1_25transform_config_selectorIyLb1EEEZNS1_14transform_implILb1ES3_S5_PyS7_NS0_8identityIyEEEE10hipError_tT2_T3_mT4_P12ihipStream_tbEUlT_E_NS1_11comp_targetILNS1_3genE8ELNS1_11target_archE1030ELNS1_3gpuE2ELNS1_3repE0EEENS1_30default_config_static_selectorELNS0_4arch9wavefront6targetE1EEEvT1_.kd
    .uniform_work_group_size: 1
    .uses_dynamic_stack: false
    .vgpr_count:     0
    .vgpr_spill_count: 0
    .wavefront_size: 64
  - .agpr_count:     0
    .args:
      - .offset:         0
        .size:           40
        .value_kind:     by_value
    .group_segment_fixed_size: 0
    .kernarg_segment_align: 8
    .kernarg_segment_size: 40
    .language:       OpenCL C
    .language_version:
      - 2
      - 0
    .max_flat_workgroup_size: 128
    .name:           _ZN7rocprim17ROCPRIM_400000_NS6detail17trampoline_kernelINS0_14default_configENS1_38merge_sort_block_merge_config_selectorIjyEEZZNS1_27merge_sort_block_merge_implIS3_PjPyjNS1_19radix_merge_compareILb0ELb1EjNS0_19identity_decomposerEEEEE10hipError_tT0_T1_T2_jT3_P12ihipStream_tbPNSt15iterator_traitsISD_E10value_typeEPNSJ_ISE_E10value_typeEPSF_NS1_7vsmem_tEENKUlT_SD_SE_SF_E_clIS7_S7_S8_S8_EESC_SS_SD_SE_SF_EUlSS_E_NS1_11comp_targetILNS1_3genE0ELNS1_11target_archE4294967295ELNS1_3gpuE0ELNS1_3repE0EEENS1_48merge_mergepath_partition_config_static_selectorELNS0_4arch9wavefront6targetE1EEEvSE_
    .private_segment_fixed_size: 0
    .sgpr_count:     4
    .sgpr_spill_count: 0
    .symbol:         _ZN7rocprim17ROCPRIM_400000_NS6detail17trampoline_kernelINS0_14default_configENS1_38merge_sort_block_merge_config_selectorIjyEEZZNS1_27merge_sort_block_merge_implIS3_PjPyjNS1_19radix_merge_compareILb0ELb1EjNS0_19identity_decomposerEEEEE10hipError_tT0_T1_T2_jT3_P12ihipStream_tbPNSt15iterator_traitsISD_E10value_typeEPNSJ_ISE_E10value_typeEPSF_NS1_7vsmem_tEENKUlT_SD_SE_SF_E_clIS7_S7_S8_S8_EESC_SS_SD_SE_SF_EUlSS_E_NS1_11comp_targetILNS1_3genE0ELNS1_11target_archE4294967295ELNS1_3gpuE0ELNS1_3repE0EEENS1_48merge_mergepath_partition_config_static_selectorELNS0_4arch9wavefront6targetE1EEEvSE_.kd
    .uniform_work_group_size: 1
    .uses_dynamic_stack: false
    .vgpr_count:     0
    .vgpr_spill_count: 0
    .wavefront_size: 64
  - .agpr_count:     0
    .args:
      - .offset:         0
        .size:           40
        .value_kind:     by_value
    .group_segment_fixed_size: 0
    .kernarg_segment_align: 8
    .kernarg_segment_size: 40
    .language:       OpenCL C
    .language_version:
      - 2
      - 0
    .max_flat_workgroup_size: 128
    .name:           _ZN7rocprim17ROCPRIM_400000_NS6detail17trampoline_kernelINS0_14default_configENS1_38merge_sort_block_merge_config_selectorIjyEEZZNS1_27merge_sort_block_merge_implIS3_PjPyjNS1_19radix_merge_compareILb0ELb1EjNS0_19identity_decomposerEEEEE10hipError_tT0_T1_T2_jT3_P12ihipStream_tbPNSt15iterator_traitsISD_E10value_typeEPNSJ_ISE_E10value_typeEPSF_NS1_7vsmem_tEENKUlT_SD_SE_SF_E_clIS7_S7_S8_S8_EESC_SS_SD_SE_SF_EUlSS_E_NS1_11comp_targetILNS1_3genE10ELNS1_11target_archE1201ELNS1_3gpuE5ELNS1_3repE0EEENS1_48merge_mergepath_partition_config_static_selectorELNS0_4arch9wavefront6targetE1EEEvSE_
    .private_segment_fixed_size: 0
    .sgpr_count:     4
    .sgpr_spill_count: 0
    .symbol:         _ZN7rocprim17ROCPRIM_400000_NS6detail17trampoline_kernelINS0_14default_configENS1_38merge_sort_block_merge_config_selectorIjyEEZZNS1_27merge_sort_block_merge_implIS3_PjPyjNS1_19radix_merge_compareILb0ELb1EjNS0_19identity_decomposerEEEEE10hipError_tT0_T1_T2_jT3_P12ihipStream_tbPNSt15iterator_traitsISD_E10value_typeEPNSJ_ISE_E10value_typeEPSF_NS1_7vsmem_tEENKUlT_SD_SE_SF_E_clIS7_S7_S8_S8_EESC_SS_SD_SE_SF_EUlSS_E_NS1_11comp_targetILNS1_3genE10ELNS1_11target_archE1201ELNS1_3gpuE5ELNS1_3repE0EEENS1_48merge_mergepath_partition_config_static_selectorELNS0_4arch9wavefront6targetE1EEEvSE_.kd
    .uniform_work_group_size: 1
    .uses_dynamic_stack: false
    .vgpr_count:     0
    .vgpr_spill_count: 0
    .wavefront_size: 64
  - .agpr_count:     0
    .args:
      - .offset:         0
        .size:           40
        .value_kind:     by_value
    .group_segment_fixed_size: 0
    .kernarg_segment_align: 8
    .kernarg_segment_size: 40
    .language:       OpenCL C
    .language_version:
      - 2
      - 0
    .max_flat_workgroup_size: 128
    .name:           _ZN7rocprim17ROCPRIM_400000_NS6detail17trampoline_kernelINS0_14default_configENS1_38merge_sort_block_merge_config_selectorIjyEEZZNS1_27merge_sort_block_merge_implIS3_PjPyjNS1_19radix_merge_compareILb0ELb1EjNS0_19identity_decomposerEEEEE10hipError_tT0_T1_T2_jT3_P12ihipStream_tbPNSt15iterator_traitsISD_E10value_typeEPNSJ_ISE_E10value_typeEPSF_NS1_7vsmem_tEENKUlT_SD_SE_SF_E_clIS7_S7_S8_S8_EESC_SS_SD_SE_SF_EUlSS_E_NS1_11comp_targetILNS1_3genE5ELNS1_11target_archE942ELNS1_3gpuE9ELNS1_3repE0EEENS1_48merge_mergepath_partition_config_static_selectorELNS0_4arch9wavefront6targetE1EEEvSE_
    .private_segment_fixed_size: 0
    .sgpr_count:     4
    .sgpr_spill_count: 0
    .symbol:         _ZN7rocprim17ROCPRIM_400000_NS6detail17trampoline_kernelINS0_14default_configENS1_38merge_sort_block_merge_config_selectorIjyEEZZNS1_27merge_sort_block_merge_implIS3_PjPyjNS1_19radix_merge_compareILb0ELb1EjNS0_19identity_decomposerEEEEE10hipError_tT0_T1_T2_jT3_P12ihipStream_tbPNSt15iterator_traitsISD_E10value_typeEPNSJ_ISE_E10value_typeEPSF_NS1_7vsmem_tEENKUlT_SD_SE_SF_E_clIS7_S7_S8_S8_EESC_SS_SD_SE_SF_EUlSS_E_NS1_11comp_targetILNS1_3genE5ELNS1_11target_archE942ELNS1_3gpuE9ELNS1_3repE0EEENS1_48merge_mergepath_partition_config_static_selectorELNS0_4arch9wavefront6targetE1EEEvSE_.kd
    .uniform_work_group_size: 1
    .uses_dynamic_stack: false
    .vgpr_count:     0
    .vgpr_spill_count: 0
    .wavefront_size: 64
  - .agpr_count:     0
    .args:
      - .offset:         0
        .size:           40
        .value_kind:     by_value
    .group_segment_fixed_size: 0
    .kernarg_segment_align: 8
    .kernarg_segment_size: 40
    .language:       OpenCL C
    .language_version:
      - 2
      - 0
    .max_flat_workgroup_size: 128
    .name:           _ZN7rocprim17ROCPRIM_400000_NS6detail17trampoline_kernelINS0_14default_configENS1_38merge_sort_block_merge_config_selectorIjyEEZZNS1_27merge_sort_block_merge_implIS3_PjPyjNS1_19radix_merge_compareILb0ELb1EjNS0_19identity_decomposerEEEEE10hipError_tT0_T1_T2_jT3_P12ihipStream_tbPNSt15iterator_traitsISD_E10value_typeEPNSJ_ISE_E10value_typeEPSF_NS1_7vsmem_tEENKUlT_SD_SE_SF_E_clIS7_S7_S8_S8_EESC_SS_SD_SE_SF_EUlSS_E_NS1_11comp_targetILNS1_3genE4ELNS1_11target_archE910ELNS1_3gpuE8ELNS1_3repE0EEENS1_48merge_mergepath_partition_config_static_selectorELNS0_4arch9wavefront6targetE1EEEvSE_
    .private_segment_fixed_size: 0
    .sgpr_count:     14
    .sgpr_spill_count: 0
    .symbol:         _ZN7rocprim17ROCPRIM_400000_NS6detail17trampoline_kernelINS0_14default_configENS1_38merge_sort_block_merge_config_selectorIjyEEZZNS1_27merge_sort_block_merge_implIS3_PjPyjNS1_19radix_merge_compareILb0ELb1EjNS0_19identity_decomposerEEEEE10hipError_tT0_T1_T2_jT3_P12ihipStream_tbPNSt15iterator_traitsISD_E10value_typeEPNSJ_ISE_E10value_typeEPSF_NS1_7vsmem_tEENKUlT_SD_SE_SF_E_clIS7_S7_S8_S8_EESC_SS_SD_SE_SF_EUlSS_E_NS1_11comp_targetILNS1_3genE4ELNS1_11target_archE910ELNS1_3gpuE8ELNS1_3repE0EEENS1_48merge_mergepath_partition_config_static_selectorELNS0_4arch9wavefront6targetE1EEEvSE_.kd
    .uniform_work_group_size: 1
    .uses_dynamic_stack: false
    .vgpr_count:     17
    .vgpr_spill_count: 0
    .wavefront_size: 64
  - .agpr_count:     0
    .args:
      - .offset:         0
        .size:           40
        .value_kind:     by_value
    .group_segment_fixed_size: 0
    .kernarg_segment_align: 8
    .kernarg_segment_size: 40
    .language:       OpenCL C
    .language_version:
      - 2
      - 0
    .max_flat_workgroup_size: 128
    .name:           _ZN7rocprim17ROCPRIM_400000_NS6detail17trampoline_kernelINS0_14default_configENS1_38merge_sort_block_merge_config_selectorIjyEEZZNS1_27merge_sort_block_merge_implIS3_PjPyjNS1_19radix_merge_compareILb0ELb1EjNS0_19identity_decomposerEEEEE10hipError_tT0_T1_T2_jT3_P12ihipStream_tbPNSt15iterator_traitsISD_E10value_typeEPNSJ_ISE_E10value_typeEPSF_NS1_7vsmem_tEENKUlT_SD_SE_SF_E_clIS7_S7_S8_S8_EESC_SS_SD_SE_SF_EUlSS_E_NS1_11comp_targetILNS1_3genE3ELNS1_11target_archE908ELNS1_3gpuE7ELNS1_3repE0EEENS1_48merge_mergepath_partition_config_static_selectorELNS0_4arch9wavefront6targetE1EEEvSE_
    .private_segment_fixed_size: 0
    .sgpr_count:     4
    .sgpr_spill_count: 0
    .symbol:         _ZN7rocprim17ROCPRIM_400000_NS6detail17trampoline_kernelINS0_14default_configENS1_38merge_sort_block_merge_config_selectorIjyEEZZNS1_27merge_sort_block_merge_implIS3_PjPyjNS1_19radix_merge_compareILb0ELb1EjNS0_19identity_decomposerEEEEE10hipError_tT0_T1_T2_jT3_P12ihipStream_tbPNSt15iterator_traitsISD_E10value_typeEPNSJ_ISE_E10value_typeEPSF_NS1_7vsmem_tEENKUlT_SD_SE_SF_E_clIS7_S7_S8_S8_EESC_SS_SD_SE_SF_EUlSS_E_NS1_11comp_targetILNS1_3genE3ELNS1_11target_archE908ELNS1_3gpuE7ELNS1_3repE0EEENS1_48merge_mergepath_partition_config_static_selectorELNS0_4arch9wavefront6targetE1EEEvSE_.kd
    .uniform_work_group_size: 1
    .uses_dynamic_stack: false
    .vgpr_count:     0
    .vgpr_spill_count: 0
    .wavefront_size: 64
  - .agpr_count:     0
    .args:
      - .offset:         0
        .size:           40
        .value_kind:     by_value
    .group_segment_fixed_size: 0
    .kernarg_segment_align: 8
    .kernarg_segment_size: 40
    .language:       OpenCL C
    .language_version:
      - 2
      - 0
    .max_flat_workgroup_size: 128
    .name:           _ZN7rocprim17ROCPRIM_400000_NS6detail17trampoline_kernelINS0_14default_configENS1_38merge_sort_block_merge_config_selectorIjyEEZZNS1_27merge_sort_block_merge_implIS3_PjPyjNS1_19radix_merge_compareILb0ELb1EjNS0_19identity_decomposerEEEEE10hipError_tT0_T1_T2_jT3_P12ihipStream_tbPNSt15iterator_traitsISD_E10value_typeEPNSJ_ISE_E10value_typeEPSF_NS1_7vsmem_tEENKUlT_SD_SE_SF_E_clIS7_S7_S8_S8_EESC_SS_SD_SE_SF_EUlSS_E_NS1_11comp_targetILNS1_3genE2ELNS1_11target_archE906ELNS1_3gpuE6ELNS1_3repE0EEENS1_48merge_mergepath_partition_config_static_selectorELNS0_4arch9wavefront6targetE1EEEvSE_
    .private_segment_fixed_size: 0
    .sgpr_count:     4
    .sgpr_spill_count: 0
    .symbol:         _ZN7rocprim17ROCPRIM_400000_NS6detail17trampoline_kernelINS0_14default_configENS1_38merge_sort_block_merge_config_selectorIjyEEZZNS1_27merge_sort_block_merge_implIS3_PjPyjNS1_19radix_merge_compareILb0ELb1EjNS0_19identity_decomposerEEEEE10hipError_tT0_T1_T2_jT3_P12ihipStream_tbPNSt15iterator_traitsISD_E10value_typeEPNSJ_ISE_E10value_typeEPSF_NS1_7vsmem_tEENKUlT_SD_SE_SF_E_clIS7_S7_S8_S8_EESC_SS_SD_SE_SF_EUlSS_E_NS1_11comp_targetILNS1_3genE2ELNS1_11target_archE906ELNS1_3gpuE6ELNS1_3repE0EEENS1_48merge_mergepath_partition_config_static_selectorELNS0_4arch9wavefront6targetE1EEEvSE_.kd
    .uniform_work_group_size: 1
    .uses_dynamic_stack: false
    .vgpr_count:     0
    .vgpr_spill_count: 0
    .wavefront_size: 64
  - .agpr_count:     0
    .args:
      - .offset:         0
        .size:           40
        .value_kind:     by_value
    .group_segment_fixed_size: 0
    .kernarg_segment_align: 8
    .kernarg_segment_size: 40
    .language:       OpenCL C
    .language_version:
      - 2
      - 0
    .max_flat_workgroup_size: 128
    .name:           _ZN7rocprim17ROCPRIM_400000_NS6detail17trampoline_kernelINS0_14default_configENS1_38merge_sort_block_merge_config_selectorIjyEEZZNS1_27merge_sort_block_merge_implIS3_PjPyjNS1_19radix_merge_compareILb0ELb1EjNS0_19identity_decomposerEEEEE10hipError_tT0_T1_T2_jT3_P12ihipStream_tbPNSt15iterator_traitsISD_E10value_typeEPNSJ_ISE_E10value_typeEPSF_NS1_7vsmem_tEENKUlT_SD_SE_SF_E_clIS7_S7_S8_S8_EESC_SS_SD_SE_SF_EUlSS_E_NS1_11comp_targetILNS1_3genE9ELNS1_11target_archE1100ELNS1_3gpuE3ELNS1_3repE0EEENS1_48merge_mergepath_partition_config_static_selectorELNS0_4arch9wavefront6targetE1EEEvSE_
    .private_segment_fixed_size: 0
    .sgpr_count:     4
    .sgpr_spill_count: 0
    .symbol:         _ZN7rocprim17ROCPRIM_400000_NS6detail17trampoline_kernelINS0_14default_configENS1_38merge_sort_block_merge_config_selectorIjyEEZZNS1_27merge_sort_block_merge_implIS3_PjPyjNS1_19radix_merge_compareILb0ELb1EjNS0_19identity_decomposerEEEEE10hipError_tT0_T1_T2_jT3_P12ihipStream_tbPNSt15iterator_traitsISD_E10value_typeEPNSJ_ISE_E10value_typeEPSF_NS1_7vsmem_tEENKUlT_SD_SE_SF_E_clIS7_S7_S8_S8_EESC_SS_SD_SE_SF_EUlSS_E_NS1_11comp_targetILNS1_3genE9ELNS1_11target_archE1100ELNS1_3gpuE3ELNS1_3repE0EEENS1_48merge_mergepath_partition_config_static_selectorELNS0_4arch9wavefront6targetE1EEEvSE_.kd
    .uniform_work_group_size: 1
    .uses_dynamic_stack: false
    .vgpr_count:     0
    .vgpr_spill_count: 0
    .wavefront_size: 64
  - .agpr_count:     0
    .args:
      - .offset:         0
        .size:           40
        .value_kind:     by_value
    .group_segment_fixed_size: 0
    .kernarg_segment_align: 8
    .kernarg_segment_size: 40
    .language:       OpenCL C
    .language_version:
      - 2
      - 0
    .max_flat_workgroup_size: 128
    .name:           _ZN7rocprim17ROCPRIM_400000_NS6detail17trampoline_kernelINS0_14default_configENS1_38merge_sort_block_merge_config_selectorIjyEEZZNS1_27merge_sort_block_merge_implIS3_PjPyjNS1_19radix_merge_compareILb0ELb1EjNS0_19identity_decomposerEEEEE10hipError_tT0_T1_T2_jT3_P12ihipStream_tbPNSt15iterator_traitsISD_E10value_typeEPNSJ_ISE_E10value_typeEPSF_NS1_7vsmem_tEENKUlT_SD_SE_SF_E_clIS7_S7_S8_S8_EESC_SS_SD_SE_SF_EUlSS_E_NS1_11comp_targetILNS1_3genE8ELNS1_11target_archE1030ELNS1_3gpuE2ELNS1_3repE0EEENS1_48merge_mergepath_partition_config_static_selectorELNS0_4arch9wavefront6targetE1EEEvSE_
    .private_segment_fixed_size: 0
    .sgpr_count:     4
    .sgpr_spill_count: 0
    .symbol:         _ZN7rocprim17ROCPRIM_400000_NS6detail17trampoline_kernelINS0_14default_configENS1_38merge_sort_block_merge_config_selectorIjyEEZZNS1_27merge_sort_block_merge_implIS3_PjPyjNS1_19radix_merge_compareILb0ELb1EjNS0_19identity_decomposerEEEEE10hipError_tT0_T1_T2_jT3_P12ihipStream_tbPNSt15iterator_traitsISD_E10value_typeEPNSJ_ISE_E10value_typeEPSF_NS1_7vsmem_tEENKUlT_SD_SE_SF_E_clIS7_S7_S8_S8_EESC_SS_SD_SE_SF_EUlSS_E_NS1_11comp_targetILNS1_3genE8ELNS1_11target_archE1030ELNS1_3gpuE2ELNS1_3repE0EEENS1_48merge_mergepath_partition_config_static_selectorELNS0_4arch9wavefront6targetE1EEEvSE_.kd
    .uniform_work_group_size: 1
    .uses_dynamic_stack: false
    .vgpr_count:     0
    .vgpr_spill_count: 0
    .wavefront_size: 64
  - .agpr_count:     0
    .args:
      - .offset:         0
        .size:           64
        .value_kind:     by_value
    .group_segment_fixed_size: 0
    .kernarg_segment_align: 8
    .kernarg_segment_size: 64
    .language:       OpenCL C
    .language_version:
      - 2
      - 0
    .max_flat_workgroup_size: 512
    .name:           _ZN7rocprim17ROCPRIM_400000_NS6detail17trampoline_kernelINS0_14default_configENS1_38merge_sort_block_merge_config_selectorIjyEEZZNS1_27merge_sort_block_merge_implIS3_PjPyjNS1_19radix_merge_compareILb0ELb1EjNS0_19identity_decomposerEEEEE10hipError_tT0_T1_T2_jT3_P12ihipStream_tbPNSt15iterator_traitsISD_E10value_typeEPNSJ_ISE_E10value_typeEPSF_NS1_7vsmem_tEENKUlT_SD_SE_SF_E_clIS7_S7_S8_S8_EESC_SS_SD_SE_SF_EUlSS_E0_NS1_11comp_targetILNS1_3genE0ELNS1_11target_archE4294967295ELNS1_3gpuE0ELNS1_3repE0EEENS1_38merge_mergepath_config_static_selectorELNS0_4arch9wavefront6targetE1EEEvSE_
    .private_segment_fixed_size: 0
    .sgpr_count:     4
    .sgpr_spill_count: 0
    .symbol:         _ZN7rocprim17ROCPRIM_400000_NS6detail17trampoline_kernelINS0_14default_configENS1_38merge_sort_block_merge_config_selectorIjyEEZZNS1_27merge_sort_block_merge_implIS3_PjPyjNS1_19radix_merge_compareILb0ELb1EjNS0_19identity_decomposerEEEEE10hipError_tT0_T1_T2_jT3_P12ihipStream_tbPNSt15iterator_traitsISD_E10value_typeEPNSJ_ISE_E10value_typeEPSF_NS1_7vsmem_tEENKUlT_SD_SE_SF_E_clIS7_S7_S8_S8_EESC_SS_SD_SE_SF_EUlSS_E0_NS1_11comp_targetILNS1_3genE0ELNS1_11target_archE4294967295ELNS1_3gpuE0ELNS1_3repE0EEENS1_38merge_mergepath_config_static_selectorELNS0_4arch9wavefront6targetE1EEEvSE_.kd
    .uniform_work_group_size: 1
    .uses_dynamic_stack: false
    .vgpr_count:     0
    .vgpr_spill_count: 0
    .wavefront_size: 64
  - .agpr_count:     0
    .args:
      - .offset:         0
        .size:           64
        .value_kind:     by_value
    .group_segment_fixed_size: 0
    .kernarg_segment_align: 8
    .kernarg_segment_size: 64
    .language:       OpenCL C
    .language_version:
      - 2
      - 0
    .max_flat_workgroup_size: 512
    .name:           _ZN7rocprim17ROCPRIM_400000_NS6detail17trampoline_kernelINS0_14default_configENS1_38merge_sort_block_merge_config_selectorIjyEEZZNS1_27merge_sort_block_merge_implIS3_PjPyjNS1_19radix_merge_compareILb0ELb1EjNS0_19identity_decomposerEEEEE10hipError_tT0_T1_T2_jT3_P12ihipStream_tbPNSt15iterator_traitsISD_E10value_typeEPNSJ_ISE_E10value_typeEPSF_NS1_7vsmem_tEENKUlT_SD_SE_SF_E_clIS7_S7_S8_S8_EESC_SS_SD_SE_SF_EUlSS_E0_NS1_11comp_targetILNS1_3genE10ELNS1_11target_archE1201ELNS1_3gpuE5ELNS1_3repE0EEENS1_38merge_mergepath_config_static_selectorELNS0_4arch9wavefront6targetE1EEEvSE_
    .private_segment_fixed_size: 0
    .sgpr_count:     4
    .sgpr_spill_count: 0
    .symbol:         _ZN7rocprim17ROCPRIM_400000_NS6detail17trampoline_kernelINS0_14default_configENS1_38merge_sort_block_merge_config_selectorIjyEEZZNS1_27merge_sort_block_merge_implIS3_PjPyjNS1_19radix_merge_compareILb0ELb1EjNS0_19identity_decomposerEEEEE10hipError_tT0_T1_T2_jT3_P12ihipStream_tbPNSt15iterator_traitsISD_E10value_typeEPNSJ_ISE_E10value_typeEPSF_NS1_7vsmem_tEENKUlT_SD_SE_SF_E_clIS7_S7_S8_S8_EESC_SS_SD_SE_SF_EUlSS_E0_NS1_11comp_targetILNS1_3genE10ELNS1_11target_archE1201ELNS1_3gpuE5ELNS1_3repE0EEENS1_38merge_mergepath_config_static_selectorELNS0_4arch9wavefront6targetE1EEEvSE_.kd
    .uniform_work_group_size: 1
    .uses_dynamic_stack: false
    .vgpr_count:     0
    .vgpr_spill_count: 0
    .wavefront_size: 64
  - .agpr_count:     0
    .args:
      - .offset:         0
        .size:           64
        .value_kind:     by_value
    .group_segment_fixed_size: 0
    .kernarg_segment_align: 8
    .kernarg_segment_size: 64
    .language:       OpenCL C
    .language_version:
      - 2
      - 0
    .max_flat_workgroup_size: 256
    .name:           _ZN7rocprim17ROCPRIM_400000_NS6detail17trampoline_kernelINS0_14default_configENS1_38merge_sort_block_merge_config_selectorIjyEEZZNS1_27merge_sort_block_merge_implIS3_PjPyjNS1_19radix_merge_compareILb0ELb1EjNS0_19identity_decomposerEEEEE10hipError_tT0_T1_T2_jT3_P12ihipStream_tbPNSt15iterator_traitsISD_E10value_typeEPNSJ_ISE_E10value_typeEPSF_NS1_7vsmem_tEENKUlT_SD_SE_SF_E_clIS7_S7_S8_S8_EESC_SS_SD_SE_SF_EUlSS_E0_NS1_11comp_targetILNS1_3genE5ELNS1_11target_archE942ELNS1_3gpuE9ELNS1_3repE0EEENS1_38merge_mergepath_config_static_selectorELNS0_4arch9wavefront6targetE1EEEvSE_
    .private_segment_fixed_size: 0
    .sgpr_count:     4
    .sgpr_spill_count: 0
    .symbol:         _ZN7rocprim17ROCPRIM_400000_NS6detail17trampoline_kernelINS0_14default_configENS1_38merge_sort_block_merge_config_selectorIjyEEZZNS1_27merge_sort_block_merge_implIS3_PjPyjNS1_19radix_merge_compareILb0ELb1EjNS0_19identity_decomposerEEEEE10hipError_tT0_T1_T2_jT3_P12ihipStream_tbPNSt15iterator_traitsISD_E10value_typeEPNSJ_ISE_E10value_typeEPSF_NS1_7vsmem_tEENKUlT_SD_SE_SF_E_clIS7_S7_S8_S8_EESC_SS_SD_SE_SF_EUlSS_E0_NS1_11comp_targetILNS1_3genE5ELNS1_11target_archE942ELNS1_3gpuE9ELNS1_3repE0EEENS1_38merge_mergepath_config_static_selectorELNS0_4arch9wavefront6targetE1EEEvSE_.kd
    .uniform_work_group_size: 1
    .uses_dynamic_stack: false
    .vgpr_count:     0
    .vgpr_spill_count: 0
    .wavefront_size: 64
  - .agpr_count:     0
    .args:
      - .offset:         0
        .size:           64
        .value_kind:     by_value
      - .offset:         64
        .size:           4
        .value_kind:     hidden_block_count_x
      - .offset:         68
        .size:           4
        .value_kind:     hidden_block_count_y
      - .offset:         72
        .size:           4
        .value_kind:     hidden_block_count_z
      - .offset:         76
        .size:           2
        .value_kind:     hidden_group_size_x
      - .offset:         78
        .size:           2
        .value_kind:     hidden_group_size_y
      - .offset:         80
        .size:           2
        .value_kind:     hidden_group_size_z
      - .offset:         82
        .size:           2
        .value_kind:     hidden_remainder_x
      - .offset:         84
        .size:           2
        .value_kind:     hidden_remainder_y
      - .offset:         86
        .size:           2
        .value_kind:     hidden_remainder_z
      - .offset:         104
        .size:           8
        .value_kind:     hidden_global_offset_x
      - .offset:         112
        .size:           8
        .value_kind:     hidden_global_offset_y
      - .offset:         120
        .size:           8
        .value_kind:     hidden_global_offset_z
      - .offset:         128
        .size:           2
        .value_kind:     hidden_grid_dims
    .group_segment_fixed_size: 8448
    .kernarg_segment_align: 8
    .kernarg_segment_size: 320
    .language:       OpenCL C
    .language_version:
      - 2
      - 0
    .max_flat_workgroup_size: 256
    .name:           _ZN7rocprim17ROCPRIM_400000_NS6detail17trampoline_kernelINS0_14default_configENS1_38merge_sort_block_merge_config_selectorIjyEEZZNS1_27merge_sort_block_merge_implIS3_PjPyjNS1_19radix_merge_compareILb0ELb1EjNS0_19identity_decomposerEEEEE10hipError_tT0_T1_T2_jT3_P12ihipStream_tbPNSt15iterator_traitsISD_E10value_typeEPNSJ_ISE_E10value_typeEPSF_NS1_7vsmem_tEENKUlT_SD_SE_SF_E_clIS7_S7_S8_S8_EESC_SS_SD_SE_SF_EUlSS_E0_NS1_11comp_targetILNS1_3genE4ELNS1_11target_archE910ELNS1_3gpuE8ELNS1_3repE0EEENS1_38merge_mergepath_config_static_selectorELNS0_4arch9wavefront6targetE1EEEvSE_
    .private_segment_fixed_size: 0
    .sgpr_count:     36
    .sgpr_spill_count: 0
    .symbol:         _ZN7rocprim17ROCPRIM_400000_NS6detail17trampoline_kernelINS0_14default_configENS1_38merge_sort_block_merge_config_selectorIjyEEZZNS1_27merge_sort_block_merge_implIS3_PjPyjNS1_19radix_merge_compareILb0ELb1EjNS0_19identity_decomposerEEEEE10hipError_tT0_T1_T2_jT3_P12ihipStream_tbPNSt15iterator_traitsISD_E10value_typeEPNSJ_ISE_E10value_typeEPSF_NS1_7vsmem_tEENKUlT_SD_SE_SF_E_clIS7_S7_S8_S8_EESC_SS_SD_SE_SF_EUlSS_E0_NS1_11comp_targetILNS1_3genE4ELNS1_11target_archE910ELNS1_3gpuE8ELNS1_3repE0EEENS1_38merge_mergepath_config_static_selectorELNS0_4arch9wavefront6targetE1EEEvSE_.kd
    .uniform_work_group_size: 1
    .uses_dynamic_stack: false
    .vgpr_count:     35
    .vgpr_spill_count: 0
    .wavefront_size: 64
  - .agpr_count:     0
    .args:
      - .offset:         0
        .size:           64
        .value_kind:     by_value
    .group_segment_fixed_size: 0
    .kernarg_segment_align: 8
    .kernarg_segment_size: 64
    .language:       OpenCL C
    .language_version:
      - 2
      - 0
    .max_flat_workgroup_size: 512
    .name:           _ZN7rocprim17ROCPRIM_400000_NS6detail17trampoline_kernelINS0_14default_configENS1_38merge_sort_block_merge_config_selectorIjyEEZZNS1_27merge_sort_block_merge_implIS3_PjPyjNS1_19radix_merge_compareILb0ELb1EjNS0_19identity_decomposerEEEEE10hipError_tT0_T1_T2_jT3_P12ihipStream_tbPNSt15iterator_traitsISD_E10value_typeEPNSJ_ISE_E10value_typeEPSF_NS1_7vsmem_tEENKUlT_SD_SE_SF_E_clIS7_S7_S8_S8_EESC_SS_SD_SE_SF_EUlSS_E0_NS1_11comp_targetILNS1_3genE3ELNS1_11target_archE908ELNS1_3gpuE7ELNS1_3repE0EEENS1_38merge_mergepath_config_static_selectorELNS0_4arch9wavefront6targetE1EEEvSE_
    .private_segment_fixed_size: 0
    .sgpr_count:     4
    .sgpr_spill_count: 0
    .symbol:         _ZN7rocprim17ROCPRIM_400000_NS6detail17trampoline_kernelINS0_14default_configENS1_38merge_sort_block_merge_config_selectorIjyEEZZNS1_27merge_sort_block_merge_implIS3_PjPyjNS1_19radix_merge_compareILb0ELb1EjNS0_19identity_decomposerEEEEE10hipError_tT0_T1_T2_jT3_P12ihipStream_tbPNSt15iterator_traitsISD_E10value_typeEPNSJ_ISE_E10value_typeEPSF_NS1_7vsmem_tEENKUlT_SD_SE_SF_E_clIS7_S7_S8_S8_EESC_SS_SD_SE_SF_EUlSS_E0_NS1_11comp_targetILNS1_3genE3ELNS1_11target_archE908ELNS1_3gpuE7ELNS1_3repE0EEENS1_38merge_mergepath_config_static_selectorELNS0_4arch9wavefront6targetE1EEEvSE_.kd
    .uniform_work_group_size: 1
    .uses_dynamic_stack: false
    .vgpr_count:     0
    .vgpr_spill_count: 0
    .wavefront_size: 64
  - .agpr_count:     0
    .args:
      - .offset:         0
        .size:           64
        .value_kind:     by_value
    .group_segment_fixed_size: 0
    .kernarg_segment_align: 8
    .kernarg_segment_size: 64
    .language:       OpenCL C
    .language_version:
      - 2
      - 0
    .max_flat_workgroup_size: 256
    .name:           _ZN7rocprim17ROCPRIM_400000_NS6detail17trampoline_kernelINS0_14default_configENS1_38merge_sort_block_merge_config_selectorIjyEEZZNS1_27merge_sort_block_merge_implIS3_PjPyjNS1_19radix_merge_compareILb0ELb1EjNS0_19identity_decomposerEEEEE10hipError_tT0_T1_T2_jT3_P12ihipStream_tbPNSt15iterator_traitsISD_E10value_typeEPNSJ_ISE_E10value_typeEPSF_NS1_7vsmem_tEENKUlT_SD_SE_SF_E_clIS7_S7_S8_S8_EESC_SS_SD_SE_SF_EUlSS_E0_NS1_11comp_targetILNS1_3genE2ELNS1_11target_archE906ELNS1_3gpuE6ELNS1_3repE0EEENS1_38merge_mergepath_config_static_selectorELNS0_4arch9wavefront6targetE1EEEvSE_
    .private_segment_fixed_size: 0
    .sgpr_count:     4
    .sgpr_spill_count: 0
    .symbol:         _ZN7rocprim17ROCPRIM_400000_NS6detail17trampoline_kernelINS0_14default_configENS1_38merge_sort_block_merge_config_selectorIjyEEZZNS1_27merge_sort_block_merge_implIS3_PjPyjNS1_19radix_merge_compareILb0ELb1EjNS0_19identity_decomposerEEEEE10hipError_tT0_T1_T2_jT3_P12ihipStream_tbPNSt15iterator_traitsISD_E10value_typeEPNSJ_ISE_E10value_typeEPSF_NS1_7vsmem_tEENKUlT_SD_SE_SF_E_clIS7_S7_S8_S8_EESC_SS_SD_SE_SF_EUlSS_E0_NS1_11comp_targetILNS1_3genE2ELNS1_11target_archE906ELNS1_3gpuE6ELNS1_3repE0EEENS1_38merge_mergepath_config_static_selectorELNS0_4arch9wavefront6targetE1EEEvSE_.kd
    .uniform_work_group_size: 1
    .uses_dynamic_stack: false
    .vgpr_count:     0
    .vgpr_spill_count: 0
    .wavefront_size: 64
  - .agpr_count:     0
    .args:
      - .offset:         0
        .size:           64
        .value_kind:     by_value
    .group_segment_fixed_size: 0
    .kernarg_segment_align: 8
    .kernarg_segment_size: 64
    .language:       OpenCL C
    .language_version:
      - 2
      - 0
    .max_flat_workgroup_size: 512
    .name:           _ZN7rocprim17ROCPRIM_400000_NS6detail17trampoline_kernelINS0_14default_configENS1_38merge_sort_block_merge_config_selectorIjyEEZZNS1_27merge_sort_block_merge_implIS3_PjPyjNS1_19radix_merge_compareILb0ELb1EjNS0_19identity_decomposerEEEEE10hipError_tT0_T1_T2_jT3_P12ihipStream_tbPNSt15iterator_traitsISD_E10value_typeEPNSJ_ISE_E10value_typeEPSF_NS1_7vsmem_tEENKUlT_SD_SE_SF_E_clIS7_S7_S8_S8_EESC_SS_SD_SE_SF_EUlSS_E0_NS1_11comp_targetILNS1_3genE9ELNS1_11target_archE1100ELNS1_3gpuE3ELNS1_3repE0EEENS1_38merge_mergepath_config_static_selectorELNS0_4arch9wavefront6targetE1EEEvSE_
    .private_segment_fixed_size: 0
    .sgpr_count:     4
    .sgpr_spill_count: 0
    .symbol:         _ZN7rocprim17ROCPRIM_400000_NS6detail17trampoline_kernelINS0_14default_configENS1_38merge_sort_block_merge_config_selectorIjyEEZZNS1_27merge_sort_block_merge_implIS3_PjPyjNS1_19radix_merge_compareILb0ELb1EjNS0_19identity_decomposerEEEEE10hipError_tT0_T1_T2_jT3_P12ihipStream_tbPNSt15iterator_traitsISD_E10value_typeEPNSJ_ISE_E10value_typeEPSF_NS1_7vsmem_tEENKUlT_SD_SE_SF_E_clIS7_S7_S8_S8_EESC_SS_SD_SE_SF_EUlSS_E0_NS1_11comp_targetILNS1_3genE9ELNS1_11target_archE1100ELNS1_3gpuE3ELNS1_3repE0EEENS1_38merge_mergepath_config_static_selectorELNS0_4arch9wavefront6targetE1EEEvSE_.kd
    .uniform_work_group_size: 1
    .uses_dynamic_stack: false
    .vgpr_count:     0
    .vgpr_spill_count: 0
    .wavefront_size: 64
  - .agpr_count:     0
    .args:
      - .offset:         0
        .size:           64
        .value_kind:     by_value
    .group_segment_fixed_size: 0
    .kernarg_segment_align: 8
    .kernarg_segment_size: 64
    .language:       OpenCL C
    .language_version:
      - 2
      - 0
    .max_flat_workgroup_size: 1024
    .name:           _ZN7rocprim17ROCPRIM_400000_NS6detail17trampoline_kernelINS0_14default_configENS1_38merge_sort_block_merge_config_selectorIjyEEZZNS1_27merge_sort_block_merge_implIS3_PjPyjNS1_19radix_merge_compareILb0ELb1EjNS0_19identity_decomposerEEEEE10hipError_tT0_T1_T2_jT3_P12ihipStream_tbPNSt15iterator_traitsISD_E10value_typeEPNSJ_ISE_E10value_typeEPSF_NS1_7vsmem_tEENKUlT_SD_SE_SF_E_clIS7_S7_S8_S8_EESC_SS_SD_SE_SF_EUlSS_E0_NS1_11comp_targetILNS1_3genE8ELNS1_11target_archE1030ELNS1_3gpuE2ELNS1_3repE0EEENS1_38merge_mergepath_config_static_selectorELNS0_4arch9wavefront6targetE1EEEvSE_
    .private_segment_fixed_size: 0
    .sgpr_count:     4
    .sgpr_spill_count: 0
    .symbol:         _ZN7rocprim17ROCPRIM_400000_NS6detail17trampoline_kernelINS0_14default_configENS1_38merge_sort_block_merge_config_selectorIjyEEZZNS1_27merge_sort_block_merge_implIS3_PjPyjNS1_19radix_merge_compareILb0ELb1EjNS0_19identity_decomposerEEEEE10hipError_tT0_T1_T2_jT3_P12ihipStream_tbPNSt15iterator_traitsISD_E10value_typeEPNSJ_ISE_E10value_typeEPSF_NS1_7vsmem_tEENKUlT_SD_SE_SF_E_clIS7_S7_S8_S8_EESC_SS_SD_SE_SF_EUlSS_E0_NS1_11comp_targetILNS1_3genE8ELNS1_11target_archE1030ELNS1_3gpuE2ELNS1_3repE0EEENS1_38merge_mergepath_config_static_selectorELNS0_4arch9wavefront6targetE1EEEvSE_.kd
    .uniform_work_group_size: 1
    .uses_dynamic_stack: false
    .vgpr_count:     0
    .vgpr_spill_count: 0
    .wavefront_size: 64
  - .agpr_count:     0
    .args:
      - .offset:         0
        .size:           48
        .value_kind:     by_value
    .group_segment_fixed_size: 0
    .kernarg_segment_align: 8
    .kernarg_segment_size: 48
    .language:       OpenCL C
    .language_version:
      - 2
      - 0
    .max_flat_workgroup_size: 256
    .name:           _ZN7rocprim17ROCPRIM_400000_NS6detail17trampoline_kernelINS0_14default_configENS1_38merge_sort_block_merge_config_selectorIjyEEZZNS1_27merge_sort_block_merge_implIS3_PjPyjNS1_19radix_merge_compareILb0ELb1EjNS0_19identity_decomposerEEEEE10hipError_tT0_T1_T2_jT3_P12ihipStream_tbPNSt15iterator_traitsISD_E10value_typeEPNSJ_ISE_E10value_typeEPSF_NS1_7vsmem_tEENKUlT_SD_SE_SF_E_clIS7_S7_S8_S8_EESC_SS_SD_SE_SF_EUlSS_E1_NS1_11comp_targetILNS1_3genE0ELNS1_11target_archE4294967295ELNS1_3gpuE0ELNS1_3repE0EEENS1_36merge_oddeven_config_static_selectorELNS0_4arch9wavefront6targetE1EEEvSE_
    .private_segment_fixed_size: 0
    .sgpr_count:     4
    .sgpr_spill_count: 0
    .symbol:         _ZN7rocprim17ROCPRIM_400000_NS6detail17trampoline_kernelINS0_14default_configENS1_38merge_sort_block_merge_config_selectorIjyEEZZNS1_27merge_sort_block_merge_implIS3_PjPyjNS1_19radix_merge_compareILb0ELb1EjNS0_19identity_decomposerEEEEE10hipError_tT0_T1_T2_jT3_P12ihipStream_tbPNSt15iterator_traitsISD_E10value_typeEPNSJ_ISE_E10value_typeEPSF_NS1_7vsmem_tEENKUlT_SD_SE_SF_E_clIS7_S7_S8_S8_EESC_SS_SD_SE_SF_EUlSS_E1_NS1_11comp_targetILNS1_3genE0ELNS1_11target_archE4294967295ELNS1_3gpuE0ELNS1_3repE0EEENS1_36merge_oddeven_config_static_selectorELNS0_4arch9wavefront6targetE1EEEvSE_.kd
    .uniform_work_group_size: 1
    .uses_dynamic_stack: false
    .vgpr_count:     0
    .vgpr_spill_count: 0
    .wavefront_size: 64
  - .agpr_count:     0
    .args:
      - .offset:         0
        .size:           48
        .value_kind:     by_value
    .group_segment_fixed_size: 0
    .kernarg_segment_align: 8
    .kernarg_segment_size: 48
    .language:       OpenCL C
    .language_version:
      - 2
      - 0
    .max_flat_workgroup_size: 256
    .name:           _ZN7rocprim17ROCPRIM_400000_NS6detail17trampoline_kernelINS0_14default_configENS1_38merge_sort_block_merge_config_selectorIjyEEZZNS1_27merge_sort_block_merge_implIS3_PjPyjNS1_19radix_merge_compareILb0ELb1EjNS0_19identity_decomposerEEEEE10hipError_tT0_T1_T2_jT3_P12ihipStream_tbPNSt15iterator_traitsISD_E10value_typeEPNSJ_ISE_E10value_typeEPSF_NS1_7vsmem_tEENKUlT_SD_SE_SF_E_clIS7_S7_S8_S8_EESC_SS_SD_SE_SF_EUlSS_E1_NS1_11comp_targetILNS1_3genE10ELNS1_11target_archE1201ELNS1_3gpuE5ELNS1_3repE0EEENS1_36merge_oddeven_config_static_selectorELNS0_4arch9wavefront6targetE1EEEvSE_
    .private_segment_fixed_size: 0
    .sgpr_count:     4
    .sgpr_spill_count: 0
    .symbol:         _ZN7rocprim17ROCPRIM_400000_NS6detail17trampoline_kernelINS0_14default_configENS1_38merge_sort_block_merge_config_selectorIjyEEZZNS1_27merge_sort_block_merge_implIS3_PjPyjNS1_19radix_merge_compareILb0ELb1EjNS0_19identity_decomposerEEEEE10hipError_tT0_T1_T2_jT3_P12ihipStream_tbPNSt15iterator_traitsISD_E10value_typeEPNSJ_ISE_E10value_typeEPSF_NS1_7vsmem_tEENKUlT_SD_SE_SF_E_clIS7_S7_S8_S8_EESC_SS_SD_SE_SF_EUlSS_E1_NS1_11comp_targetILNS1_3genE10ELNS1_11target_archE1201ELNS1_3gpuE5ELNS1_3repE0EEENS1_36merge_oddeven_config_static_selectorELNS0_4arch9wavefront6targetE1EEEvSE_.kd
    .uniform_work_group_size: 1
    .uses_dynamic_stack: false
    .vgpr_count:     0
    .vgpr_spill_count: 0
    .wavefront_size: 64
  - .agpr_count:     0
    .args:
      - .offset:         0
        .size:           48
        .value_kind:     by_value
    .group_segment_fixed_size: 0
    .kernarg_segment_align: 8
    .kernarg_segment_size: 48
    .language:       OpenCL C
    .language_version:
      - 2
      - 0
    .max_flat_workgroup_size: 256
    .name:           _ZN7rocprim17ROCPRIM_400000_NS6detail17trampoline_kernelINS0_14default_configENS1_38merge_sort_block_merge_config_selectorIjyEEZZNS1_27merge_sort_block_merge_implIS3_PjPyjNS1_19radix_merge_compareILb0ELb1EjNS0_19identity_decomposerEEEEE10hipError_tT0_T1_T2_jT3_P12ihipStream_tbPNSt15iterator_traitsISD_E10value_typeEPNSJ_ISE_E10value_typeEPSF_NS1_7vsmem_tEENKUlT_SD_SE_SF_E_clIS7_S7_S8_S8_EESC_SS_SD_SE_SF_EUlSS_E1_NS1_11comp_targetILNS1_3genE5ELNS1_11target_archE942ELNS1_3gpuE9ELNS1_3repE0EEENS1_36merge_oddeven_config_static_selectorELNS0_4arch9wavefront6targetE1EEEvSE_
    .private_segment_fixed_size: 0
    .sgpr_count:     4
    .sgpr_spill_count: 0
    .symbol:         _ZN7rocprim17ROCPRIM_400000_NS6detail17trampoline_kernelINS0_14default_configENS1_38merge_sort_block_merge_config_selectorIjyEEZZNS1_27merge_sort_block_merge_implIS3_PjPyjNS1_19radix_merge_compareILb0ELb1EjNS0_19identity_decomposerEEEEE10hipError_tT0_T1_T2_jT3_P12ihipStream_tbPNSt15iterator_traitsISD_E10value_typeEPNSJ_ISE_E10value_typeEPSF_NS1_7vsmem_tEENKUlT_SD_SE_SF_E_clIS7_S7_S8_S8_EESC_SS_SD_SE_SF_EUlSS_E1_NS1_11comp_targetILNS1_3genE5ELNS1_11target_archE942ELNS1_3gpuE9ELNS1_3repE0EEENS1_36merge_oddeven_config_static_selectorELNS0_4arch9wavefront6targetE1EEEvSE_.kd
    .uniform_work_group_size: 1
    .uses_dynamic_stack: false
    .vgpr_count:     0
    .vgpr_spill_count: 0
    .wavefront_size: 64
  - .agpr_count:     0
    .args:
      - .offset:         0
        .size:           48
        .value_kind:     by_value
    .group_segment_fixed_size: 0
    .kernarg_segment_align: 8
    .kernarg_segment_size: 48
    .language:       OpenCL C
    .language_version:
      - 2
      - 0
    .max_flat_workgroup_size: 256
    .name:           _ZN7rocprim17ROCPRIM_400000_NS6detail17trampoline_kernelINS0_14default_configENS1_38merge_sort_block_merge_config_selectorIjyEEZZNS1_27merge_sort_block_merge_implIS3_PjPyjNS1_19radix_merge_compareILb0ELb1EjNS0_19identity_decomposerEEEEE10hipError_tT0_T1_T2_jT3_P12ihipStream_tbPNSt15iterator_traitsISD_E10value_typeEPNSJ_ISE_E10value_typeEPSF_NS1_7vsmem_tEENKUlT_SD_SE_SF_E_clIS7_S7_S8_S8_EESC_SS_SD_SE_SF_EUlSS_E1_NS1_11comp_targetILNS1_3genE4ELNS1_11target_archE910ELNS1_3gpuE8ELNS1_3repE0EEENS1_36merge_oddeven_config_static_selectorELNS0_4arch9wavefront6targetE1EEEvSE_
    .private_segment_fixed_size: 0
    .sgpr_count:     28
    .sgpr_spill_count: 0
    .symbol:         _ZN7rocprim17ROCPRIM_400000_NS6detail17trampoline_kernelINS0_14default_configENS1_38merge_sort_block_merge_config_selectorIjyEEZZNS1_27merge_sort_block_merge_implIS3_PjPyjNS1_19radix_merge_compareILb0ELb1EjNS0_19identity_decomposerEEEEE10hipError_tT0_T1_T2_jT3_P12ihipStream_tbPNSt15iterator_traitsISD_E10value_typeEPNSJ_ISE_E10value_typeEPSF_NS1_7vsmem_tEENKUlT_SD_SE_SF_E_clIS7_S7_S8_S8_EESC_SS_SD_SE_SF_EUlSS_E1_NS1_11comp_targetILNS1_3genE4ELNS1_11target_archE910ELNS1_3gpuE8ELNS1_3repE0EEENS1_36merge_oddeven_config_static_selectorELNS0_4arch9wavefront6targetE1EEEvSE_.kd
    .uniform_work_group_size: 1
    .uses_dynamic_stack: false
    .vgpr_count:     13
    .vgpr_spill_count: 0
    .wavefront_size: 64
  - .agpr_count:     0
    .args:
      - .offset:         0
        .size:           48
        .value_kind:     by_value
    .group_segment_fixed_size: 0
    .kernarg_segment_align: 8
    .kernarg_segment_size: 48
    .language:       OpenCL C
    .language_version:
      - 2
      - 0
    .max_flat_workgroup_size: 256
    .name:           _ZN7rocprim17ROCPRIM_400000_NS6detail17trampoline_kernelINS0_14default_configENS1_38merge_sort_block_merge_config_selectorIjyEEZZNS1_27merge_sort_block_merge_implIS3_PjPyjNS1_19radix_merge_compareILb0ELb1EjNS0_19identity_decomposerEEEEE10hipError_tT0_T1_T2_jT3_P12ihipStream_tbPNSt15iterator_traitsISD_E10value_typeEPNSJ_ISE_E10value_typeEPSF_NS1_7vsmem_tEENKUlT_SD_SE_SF_E_clIS7_S7_S8_S8_EESC_SS_SD_SE_SF_EUlSS_E1_NS1_11comp_targetILNS1_3genE3ELNS1_11target_archE908ELNS1_3gpuE7ELNS1_3repE0EEENS1_36merge_oddeven_config_static_selectorELNS0_4arch9wavefront6targetE1EEEvSE_
    .private_segment_fixed_size: 0
    .sgpr_count:     4
    .sgpr_spill_count: 0
    .symbol:         _ZN7rocprim17ROCPRIM_400000_NS6detail17trampoline_kernelINS0_14default_configENS1_38merge_sort_block_merge_config_selectorIjyEEZZNS1_27merge_sort_block_merge_implIS3_PjPyjNS1_19radix_merge_compareILb0ELb1EjNS0_19identity_decomposerEEEEE10hipError_tT0_T1_T2_jT3_P12ihipStream_tbPNSt15iterator_traitsISD_E10value_typeEPNSJ_ISE_E10value_typeEPSF_NS1_7vsmem_tEENKUlT_SD_SE_SF_E_clIS7_S7_S8_S8_EESC_SS_SD_SE_SF_EUlSS_E1_NS1_11comp_targetILNS1_3genE3ELNS1_11target_archE908ELNS1_3gpuE7ELNS1_3repE0EEENS1_36merge_oddeven_config_static_selectorELNS0_4arch9wavefront6targetE1EEEvSE_.kd
    .uniform_work_group_size: 1
    .uses_dynamic_stack: false
    .vgpr_count:     0
    .vgpr_spill_count: 0
    .wavefront_size: 64
  - .agpr_count:     0
    .args:
      - .offset:         0
        .size:           48
        .value_kind:     by_value
    .group_segment_fixed_size: 0
    .kernarg_segment_align: 8
    .kernarg_segment_size: 48
    .language:       OpenCL C
    .language_version:
      - 2
      - 0
    .max_flat_workgroup_size: 256
    .name:           _ZN7rocprim17ROCPRIM_400000_NS6detail17trampoline_kernelINS0_14default_configENS1_38merge_sort_block_merge_config_selectorIjyEEZZNS1_27merge_sort_block_merge_implIS3_PjPyjNS1_19radix_merge_compareILb0ELb1EjNS0_19identity_decomposerEEEEE10hipError_tT0_T1_T2_jT3_P12ihipStream_tbPNSt15iterator_traitsISD_E10value_typeEPNSJ_ISE_E10value_typeEPSF_NS1_7vsmem_tEENKUlT_SD_SE_SF_E_clIS7_S7_S8_S8_EESC_SS_SD_SE_SF_EUlSS_E1_NS1_11comp_targetILNS1_3genE2ELNS1_11target_archE906ELNS1_3gpuE6ELNS1_3repE0EEENS1_36merge_oddeven_config_static_selectorELNS0_4arch9wavefront6targetE1EEEvSE_
    .private_segment_fixed_size: 0
    .sgpr_count:     4
    .sgpr_spill_count: 0
    .symbol:         _ZN7rocprim17ROCPRIM_400000_NS6detail17trampoline_kernelINS0_14default_configENS1_38merge_sort_block_merge_config_selectorIjyEEZZNS1_27merge_sort_block_merge_implIS3_PjPyjNS1_19radix_merge_compareILb0ELb1EjNS0_19identity_decomposerEEEEE10hipError_tT0_T1_T2_jT3_P12ihipStream_tbPNSt15iterator_traitsISD_E10value_typeEPNSJ_ISE_E10value_typeEPSF_NS1_7vsmem_tEENKUlT_SD_SE_SF_E_clIS7_S7_S8_S8_EESC_SS_SD_SE_SF_EUlSS_E1_NS1_11comp_targetILNS1_3genE2ELNS1_11target_archE906ELNS1_3gpuE6ELNS1_3repE0EEENS1_36merge_oddeven_config_static_selectorELNS0_4arch9wavefront6targetE1EEEvSE_.kd
    .uniform_work_group_size: 1
    .uses_dynamic_stack: false
    .vgpr_count:     0
    .vgpr_spill_count: 0
    .wavefront_size: 64
  - .agpr_count:     0
    .args:
      - .offset:         0
        .size:           48
        .value_kind:     by_value
    .group_segment_fixed_size: 0
    .kernarg_segment_align: 8
    .kernarg_segment_size: 48
    .language:       OpenCL C
    .language_version:
      - 2
      - 0
    .max_flat_workgroup_size: 256
    .name:           _ZN7rocprim17ROCPRIM_400000_NS6detail17trampoline_kernelINS0_14default_configENS1_38merge_sort_block_merge_config_selectorIjyEEZZNS1_27merge_sort_block_merge_implIS3_PjPyjNS1_19radix_merge_compareILb0ELb1EjNS0_19identity_decomposerEEEEE10hipError_tT0_T1_T2_jT3_P12ihipStream_tbPNSt15iterator_traitsISD_E10value_typeEPNSJ_ISE_E10value_typeEPSF_NS1_7vsmem_tEENKUlT_SD_SE_SF_E_clIS7_S7_S8_S8_EESC_SS_SD_SE_SF_EUlSS_E1_NS1_11comp_targetILNS1_3genE9ELNS1_11target_archE1100ELNS1_3gpuE3ELNS1_3repE0EEENS1_36merge_oddeven_config_static_selectorELNS0_4arch9wavefront6targetE1EEEvSE_
    .private_segment_fixed_size: 0
    .sgpr_count:     4
    .sgpr_spill_count: 0
    .symbol:         _ZN7rocprim17ROCPRIM_400000_NS6detail17trampoline_kernelINS0_14default_configENS1_38merge_sort_block_merge_config_selectorIjyEEZZNS1_27merge_sort_block_merge_implIS3_PjPyjNS1_19radix_merge_compareILb0ELb1EjNS0_19identity_decomposerEEEEE10hipError_tT0_T1_T2_jT3_P12ihipStream_tbPNSt15iterator_traitsISD_E10value_typeEPNSJ_ISE_E10value_typeEPSF_NS1_7vsmem_tEENKUlT_SD_SE_SF_E_clIS7_S7_S8_S8_EESC_SS_SD_SE_SF_EUlSS_E1_NS1_11comp_targetILNS1_3genE9ELNS1_11target_archE1100ELNS1_3gpuE3ELNS1_3repE0EEENS1_36merge_oddeven_config_static_selectorELNS0_4arch9wavefront6targetE1EEEvSE_.kd
    .uniform_work_group_size: 1
    .uses_dynamic_stack: false
    .vgpr_count:     0
    .vgpr_spill_count: 0
    .wavefront_size: 64
  - .agpr_count:     0
    .args:
      - .offset:         0
        .size:           48
        .value_kind:     by_value
    .group_segment_fixed_size: 0
    .kernarg_segment_align: 8
    .kernarg_segment_size: 48
    .language:       OpenCL C
    .language_version:
      - 2
      - 0
    .max_flat_workgroup_size: 256
    .name:           _ZN7rocprim17ROCPRIM_400000_NS6detail17trampoline_kernelINS0_14default_configENS1_38merge_sort_block_merge_config_selectorIjyEEZZNS1_27merge_sort_block_merge_implIS3_PjPyjNS1_19radix_merge_compareILb0ELb1EjNS0_19identity_decomposerEEEEE10hipError_tT0_T1_T2_jT3_P12ihipStream_tbPNSt15iterator_traitsISD_E10value_typeEPNSJ_ISE_E10value_typeEPSF_NS1_7vsmem_tEENKUlT_SD_SE_SF_E_clIS7_S7_S8_S8_EESC_SS_SD_SE_SF_EUlSS_E1_NS1_11comp_targetILNS1_3genE8ELNS1_11target_archE1030ELNS1_3gpuE2ELNS1_3repE0EEENS1_36merge_oddeven_config_static_selectorELNS0_4arch9wavefront6targetE1EEEvSE_
    .private_segment_fixed_size: 0
    .sgpr_count:     4
    .sgpr_spill_count: 0
    .symbol:         _ZN7rocprim17ROCPRIM_400000_NS6detail17trampoline_kernelINS0_14default_configENS1_38merge_sort_block_merge_config_selectorIjyEEZZNS1_27merge_sort_block_merge_implIS3_PjPyjNS1_19radix_merge_compareILb0ELb1EjNS0_19identity_decomposerEEEEE10hipError_tT0_T1_T2_jT3_P12ihipStream_tbPNSt15iterator_traitsISD_E10value_typeEPNSJ_ISE_E10value_typeEPSF_NS1_7vsmem_tEENKUlT_SD_SE_SF_E_clIS7_S7_S8_S8_EESC_SS_SD_SE_SF_EUlSS_E1_NS1_11comp_targetILNS1_3genE8ELNS1_11target_archE1030ELNS1_3gpuE2ELNS1_3repE0EEENS1_36merge_oddeven_config_static_selectorELNS0_4arch9wavefront6targetE1EEEvSE_.kd
    .uniform_work_group_size: 1
    .uses_dynamic_stack: false
    .vgpr_count:     0
    .vgpr_spill_count: 0
    .wavefront_size: 64
  - .agpr_count:     0
    .args:
      - .offset:         0
        .size:           40
        .value_kind:     by_value
    .group_segment_fixed_size: 0
    .kernarg_segment_align: 8
    .kernarg_segment_size: 40
    .language:       OpenCL C
    .language_version:
      - 2
      - 0
    .max_flat_workgroup_size: 512
    .name:           _ZN7rocprim17ROCPRIM_400000_NS6detail17trampoline_kernelINS0_14default_configENS1_35radix_sort_onesweep_config_selectorIjyEEZNS1_34radix_sort_onesweep_global_offsetsIS3_Lb0EPjPyjNS0_19identity_decomposerEEE10hipError_tT1_T2_PT3_SD_jT4_jjP12ihipStream_tbEUlT_E_NS1_11comp_targetILNS1_3genE0ELNS1_11target_archE4294967295ELNS1_3gpuE0ELNS1_3repE0EEENS1_52radix_sort_onesweep_histogram_config_static_selectorELNS0_4arch9wavefront6targetE1EEEvSB_
    .private_segment_fixed_size: 0
    .sgpr_count:     4
    .sgpr_spill_count: 0
    .symbol:         _ZN7rocprim17ROCPRIM_400000_NS6detail17trampoline_kernelINS0_14default_configENS1_35radix_sort_onesweep_config_selectorIjyEEZNS1_34radix_sort_onesweep_global_offsetsIS3_Lb0EPjPyjNS0_19identity_decomposerEEE10hipError_tT1_T2_PT3_SD_jT4_jjP12ihipStream_tbEUlT_E_NS1_11comp_targetILNS1_3genE0ELNS1_11target_archE4294967295ELNS1_3gpuE0ELNS1_3repE0EEENS1_52radix_sort_onesweep_histogram_config_static_selectorELNS0_4arch9wavefront6targetE1EEEvSB_.kd
    .uniform_work_group_size: 1
    .uses_dynamic_stack: false
    .vgpr_count:     0
    .vgpr_spill_count: 0
    .wavefront_size: 64
  - .agpr_count:     0
    .args:
      - .offset:         0
        .size:           40
        .value_kind:     by_value
    .group_segment_fixed_size: 0
    .kernarg_segment_align: 8
    .kernarg_segment_size: 40
    .language:       OpenCL C
    .language_version:
      - 2
      - 0
    .max_flat_workgroup_size: 1024
    .name:           _ZN7rocprim17ROCPRIM_400000_NS6detail17trampoline_kernelINS0_14default_configENS1_35radix_sort_onesweep_config_selectorIjyEEZNS1_34radix_sort_onesweep_global_offsetsIS3_Lb0EPjPyjNS0_19identity_decomposerEEE10hipError_tT1_T2_PT3_SD_jT4_jjP12ihipStream_tbEUlT_E_NS1_11comp_targetILNS1_3genE6ELNS1_11target_archE950ELNS1_3gpuE13ELNS1_3repE0EEENS1_52radix_sort_onesweep_histogram_config_static_selectorELNS0_4arch9wavefront6targetE1EEEvSB_
    .private_segment_fixed_size: 0
    .sgpr_count:     4
    .sgpr_spill_count: 0
    .symbol:         _ZN7rocprim17ROCPRIM_400000_NS6detail17trampoline_kernelINS0_14default_configENS1_35radix_sort_onesweep_config_selectorIjyEEZNS1_34radix_sort_onesweep_global_offsetsIS3_Lb0EPjPyjNS0_19identity_decomposerEEE10hipError_tT1_T2_PT3_SD_jT4_jjP12ihipStream_tbEUlT_E_NS1_11comp_targetILNS1_3genE6ELNS1_11target_archE950ELNS1_3gpuE13ELNS1_3repE0EEENS1_52radix_sort_onesweep_histogram_config_static_selectorELNS0_4arch9wavefront6targetE1EEEvSB_.kd
    .uniform_work_group_size: 1
    .uses_dynamic_stack: false
    .vgpr_count:     0
    .vgpr_spill_count: 0
    .wavefront_size: 64
  - .agpr_count:     0
    .args:
      - .offset:         0
        .size:           40
        .value_kind:     by_value
    .group_segment_fixed_size: 0
    .kernarg_segment_align: 8
    .kernarg_segment_size: 40
    .language:       OpenCL C
    .language_version:
      - 2
      - 0
    .max_flat_workgroup_size: 1024
    .name:           _ZN7rocprim17ROCPRIM_400000_NS6detail17trampoline_kernelINS0_14default_configENS1_35radix_sort_onesweep_config_selectorIjyEEZNS1_34radix_sort_onesweep_global_offsetsIS3_Lb0EPjPyjNS0_19identity_decomposerEEE10hipError_tT1_T2_PT3_SD_jT4_jjP12ihipStream_tbEUlT_E_NS1_11comp_targetILNS1_3genE5ELNS1_11target_archE942ELNS1_3gpuE9ELNS1_3repE0EEENS1_52radix_sort_onesweep_histogram_config_static_selectorELNS0_4arch9wavefront6targetE1EEEvSB_
    .private_segment_fixed_size: 0
    .sgpr_count:     4
    .sgpr_spill_count: 0
    .symbol:         _ZN7rocprim17ROCPRIM_400000_NS6detail17trampoline_kernelINS0_14default_configENS1_35radix_sort_onesweep_config_selectorIjyEEZNS1_34radix_sort_onesweep_global_offsetsIS3_Lb0EPjPyjNS0_19identity_decomposerEEE10hipError_tT1_T2_PT3_SD_jT4_jjP12ihipStream_tbEUlT_E_NS1_11comp_targetILNS1_3genE5ELNS1_11target_archE942ELNS1_3gpuE9ELNS1_3repE0EEENS1_52radix_sort_onesweep_histogram_config_static_selectorELNS0_4arch9wavefront6targetE1EEEvSB_.kd
    .uniform_work_group_size: 1
    .uses_dynamic_stack: false
    .vgpr_count:     0
    .vgpr_spill_count: 0
    .wavefront_size: 64
  - .agpr_count:     0
    .args:
      - .offset:         0
        .size:           40
        .value_kind:     by_value
    .group_segment_fixed_size: 0
    .kernarg_segment_align: 8
    .kernarg_segment_size: 40
    .language:       OpenCL C
    .language_version:
      - 2
      - 0
    .max_flat_workgroup_size: 512
    .name:           _ZN7rocprim17ROCPRIM_400000_NS6detail17trampoline_kernelINS0_14default_configENS1_35radix_sort_onesweep_config_selectorIjyEEZNS1_34radix_sort_onesweep_global_offsetsIS3_Lb0EPjPyjNS0_19identity_decomposerEEE10hipError_tT1_T2_PT3_SD_jT4_jjP12ihipStream_tbEUlT_E_NS1_11comp_targetILNS1_3genE2ELNS1_11target_archE906ELNS1_3gpuE6ELNS1_3repE0EEENS1_52radix_sort_onesweep_histogram_config_static_selectorELNS0_4arch9wavefront6targetE1EEEvSB_
    .private_segment_fixed_size: 0
    .sgpr_count:     4
    .sgpr_spill_count: 0
    .symbol:         _ZN7rocprim17ROCPRIM_400000_NS6detail17trampoline_kernelINS0_14default_configENS1_35radix_sort_onesweep_config_selectorIjyEEZNS1_34radix_sort_onesweep_global_offsetsIS3_Lb0EPjPyjNS0_19identity_decomposerEEE10hipError_tT1_T2_PT3_SD_jT4_jjP12ihipStream_tbEUlT_E_NS1_11comp_targetILNS1_3genE2ELNS1_11target_archE906ELNS1_3gpuE6ELNS1_3repE0EEENS1_52radix_sort_onesweep_histogram_config_static_selectorELNS0_4arch9wavefront6targetE1EEEvSB_.kd
    .uniform_work_group_size: 1
    .uses_dynamic_stack: false
    .vgpr_count:     0
    .vgpr_spill_count: 0
    .wavefront_size: 64
  - .agpr_count:     0
    .args:
      - .offset:         0
        .size:           40
        .value_kind:     by_value
    .group_segment_fixed_size: 16384
    .kernarg_segment_align: 8
    .kernarg_segment_size: 40
    .language:       OpenCL C
    .language_version:
      - 2
      - 0
    .max_flat_workgroup_size: 512
    .name:           _ZN7rocprim17ROCPRIM_400000_NS6detail17trampoline_kernelINS0_14default_configENS1_35radix_sort_onesweep_config_selectorIjyEEZNS1_34radix_sort_onesweep_global_offsetsIS3_Lb0EPjPyjNS0_19identity_decomposerEEE10hipError_tT1_T2_PT3_SD_jT4_jjP12ihipStream_tbEUlT_E_NS1_11comp_targetILNS1_3genE4ELNS1_11target_archE910ELNS1_3gpuE8ELNS1_3repE0EEENS1_52radix_sort_onesweep_histogram_config_static_selectorELNS0_4arch9wavefront6targetE1EEEvSB_
    .private_segment_fixed_size: 0
    .sgpr_count:     23
    .sgpr_spill_count: 0
    .symbol:         _ZN7rocprim17ROCPRIM_400000_NS6detail17trampoline_kernelINS0_14default_configENS1_35radix_sort_onesweep_config_selectorIjyEEZNS1_34radix_sort_onesweep_global_offsetsIS3_Lb0EPjPyjNS0_19identity_decomposerEEE10hipError_tT1_T2_PT3_SD_jT4_jjP12ihipStream_tbEUlT_E_NS1_11comp_targetILNS1_3genE4ELNS1_11target_archE910ELNS1_3gpuE8ELNS1_3repE0EEENS1_52radix_sort_onesweep_histogram_config_static_selectorELNS0_4arch9wavefront6targetE1EEEvSB_.kd
    .uniform_work_group_size: 1
    .uses_dynamic_stack: false
    .vgpr_count:     35
    .vgpr_spill_count: 0
    .wavefront_size: 64
  - .agpr_count:     0
    .args:
      - .offset:         0
        .size:           40
        .value_kind:     by_value
    .group_segment_fixed_size: 0
    .kernarg_segment_align: 8
    .kernarg_segment_size: 40
    .language:       OpenCL C
    .language_version:
      - 2
      - 0
    .max_flat_workgroup_size: 512
    .name:           _ZN7rocprim17ROCPRIM_400000_NS6detail17trampoline_kernelINS0_14default_configENS1_35radix_sort_onesweep_config_selectorIjyEEZNS1_34radix_sort_onesweep_global_offsetsIS3_Lb0EPjPyjNS0_19identity_decomposerEEE10hipError_tT1_T2_PT3_SD_jT4_jjP12ihipStream_tbEUlT_E_NS1_11comp_targetILNS1_3genE3ELNS1_11target_archE908ELNS1_3gpuE7ELNS1_3repE0EEENS1_52radix_sort_onesweep_histogram_config_static_selectorELNS0_4arch9wavefront6targetE1EEEvSB_
    .private_segment_fixed_size: 0
    .sgpr_count:     4
    .sgpr_spill_count: 0
    .symbol:         _ZN7rocprim17ROCPRIM_400000_NS6detail17trampoline_kernelINS0_14default_configENS1_35radix_sort_onesweep_config_selectorIjyEEZNS1_34radix_sort_onesweep_global_offsetsIS3_Lb0EPjPyjNS0_19identity_decomposerEEE10hipError_tT1_T2_PT3_SD_jT4_jjP12ihipStream_tbEUlT_E_NS1_11comp_targetILNS1_3genE3ELNS1_11target_archE908ELNS1_3gpuE7ELNS1_3repE0EEENS1_52radix_sort_onesweep_histogram_config_static_selectorELNS0_4arch9wavefront6targetE1EEEvSB_.kd
    .uniform_work_group_size: 1
    .uses_dynamic_stack: false
    .vgpr_count:     0
    .vgpr_spill_count: 0
    .wavefront_size: 64
  - .agpr_count:     0
    .args:
      - .offset:         0
        .size:           40
        .value_kind:     by_value
    .group_segment_fixed_size: 0
    .kernarg_segment_align: 8
    .kernarg_segment_size: 40
    .language:       OpenCL C
    .language_version:
      - 2
      - 0
    .max_flat_workgroup_size: 1024
    .name:           _ZN7rocprim17ROCPRIM_400000_NS6detail17trampoline_kernelINS0_14default_configENS1_35radix_sort_onesweep_config_selectorIjyEEZNS1_34radix_sort_onesweep_global_offsetsIS3_Lb0EPjPyjNS0_19identity_decomposerEEE10hipError_tT1_T2_PT3_SD_jT4_jjP12ihipStream_tbEUlT_E_NS1_11comp_targetILNS1_3genE10ELNS1_11target_archE1201ELNS1_3gpuE5ELNS1_3repE0EEENS1_52radix_sort_onesweep_histogram_config_static_selectorELNS0_4arch9wavefront6targetE1EEEvSB_
    .private_segment_fixed_size: 0
    .sgpr_count:     4
    .sgpr_spill_count: 0
    .symbol:         _ZN7rocprim17ROCPRIM_400000_NS6detail17trampoline_kernelINS0_14default_configENS1_35radix_sort_onesweep_config_selectorIjyEEZNS1_34radix_sort_onesweep_global_offsetsIS3_Lb0EPjPyjNS0_19identity_decomposerEEE10hipError_tT1_T2_PT3_SD_jT4_jjP12ihipStream_tbEUlT_E_NS1_11comp_targetILNS1_3genE10ELNS1_11target_archE1201ELNS1_3gpuE5ELNS1_3repE0EEENS1_52radix_sort_onesweep_histogram_config_static_selectorELNS0_4arch9wavefront6targetE1EEEvSB_.kd
    .uniform_work_group_size: 1
    .uses_dynamic_stack: false
    .vgpr_count:     0
    .vgpr_spill_count: 0
    .wavefront_size: 64
  - .agpr_count:     0
    .args:
      - .offset:         0
        .size:           40
        .value_kind:     by_value
    .group_segment_fixed_size: 0
    .kernarg_segment_align: 8
    .kernarg_segment_size: 40
    .language:       OpenCL C
    .language_version:
      - 2
      - 0
    .max_flat_workgroup_size: 1024
    .name:           _ZN7rocprim17ROCPRIM_400000_NS6detail17trampoline_kernelINS0_14default_configENS1_35radix_sort_onesweep_config_selectorIjyEEZNS1_34radix_sort_onesweep_global_offsetsIS3_Lb0EPjPyjNS0_19identity_decomposerEEE10hipError_tT1_T2_PT3_SD_jT4_jjP12ihipStream_tbEUlT_E_NS1_11comp_targetILNS1_3genE9ELNS1_11target_archE1100ELNS1_3gpuE3ELNS1_3repE0EEENS1_52radix_sort_onesweep_histogram_config_static_selectorELNS0_4arch9wavefront6targetE1EEEvSB_
    .private_segment_fixed_size: 0
    .sgpr_count:     4
    .sgpr_spill_count: 0
    .symbol:         _ZN7rocprim17ROCPRIM_400000_NS6detail17trampoline_kernelINS0_14default_configENS1_35radix_sort_onesweep_config_selectorIjyEEZNS1_34radix_sort_onesweep_global_offsetsIS3_Lb0EPjPyjNS0_19identity_decomposerEEE10hipError_tT1_T2_PT3_SD_jT4_jjP12ihipStream_tbEUlT_E_NS1_11comp_targetILNS1_3genE9ELNS1_11target_archE1100ELNS1_3gpuE3ELNS1_3repE0EEENS1_52radix_sort_onesweep_histogram_config_static_selectorELNS0_4arch9wavefront6targetE1EEEvSB_.kd
    .uniform_work_group_size: 1
    .uses_dynamic_stack: false
    .vgpr_count:     0
    .vgpr_spill_count: 0
    .wavefront_size: 64
  - .agpr_count:     0
    .args:
      - .offset:         0
        .size:           40
        .value_kind:     by_value
    .group_segment_fixed_size: 0
    .kernarg_segment_align: 8
    .kernarg_segment_size: 40
    .language:       OpenCL C
    .language_version:
      - 2
      - 0
    .max_flat_workgroup_size: 1024
    .name:           _ZN7rocprim17ROCPRIM_400000_NS6detail17trampoline_kernelINS0_14default_configENS1_35radix_sort_onesweep_config_selectorIjyEEZNS1_34radix_sort_onesweep_global_offsetsIS3_Lb0EPjPyjNS0_19identity_decomposerEEE10hipError_tT1_T2_PT3_SD_jT4_jjP12ihipStream_tbEUlT_E_NS1_11comp_targetILNS1_3genE8ELNS1_11target_archE1030ELNS1_3gpuE2ELNS1_3repE0EEENS1_52radix_sort_onesweep_histogram_config_static_selectorELNS0_4arch9wavefront6targetE1EEEvSB_
    .private_segment_fixed_size: 0
    .sgpr_count:     4
    .sgpr_spill_count: 0
    .symbol:         _ZN7rocprim17ROCPRIM_400000_NS6detail17trampoline_kernelINS0_14default_configENS1_35radix_sort_onesweep_config_selectorIjyEEZNS1_34radix_sort_onesweep_global_offsetsIS3_Lb0EPjPyjNS0_19identity_decomposerEEE10hipError_tT1_T2_PT3_SD_jT4_jjP12ihipStream_tbEUlT_E_NS1_11comp_targetILNS1_3genE8ELNS1_11target_archE1030ELNS1_3gpuE2ELNS1_3repE0EEENS1_52radix_sort_onesweep_histogram_config_static_selectorELNS0_4arch9wavefront6targetE1EEEvSB_.kd
    .uniform_work_group_size: 1
    .uses_dynamic_stack: false
    .vgpr_count:     0
    .vgpr_spill_count: 0
    .wavefront_size: 64
  - .agpr_count:     0
    .args:
      - .address_space:  global
        .offset:         0
        .size:           8
        .value_kind:     global_buffer
    .group_segment_fixed_size: 0
    .kernarg_segment_align: 8
    .kernarg_segment_size: 8
    .language:       OpenCL C
    .language_version:
      - 2
      - 0
    .max_flat_workgroup_size: 512
    .name:           _ZN7rocprim17ROCPRIM_400000_NS6detail17trampoline_kernelINS0_14default_configENS1_35radix_sort_onesweep_config_selectorIjyEEZNS1_34radix_sort_onesweep_global_offsetsIS3_Lb0EPjPyjNS0_19identity_decomposerEEE10hipError_tT1_T2_PT3_SD_jT4_jjP12ihipStream_tbEUlT_E0_NS1_11comp_targetILNS1_3genE0ELNS1_11target_archE4294967295ELNS1_3gpuE0ELNS1_3repE0EEENS1_52radix_sort_onesweep_histogram_config_static_selectorELNS0_4arch9wavefront6targetE1EEEvSB_
    .private_segment_fixed_size: 0
    .sgpr_count:     4
    .sgpr_spill_count: 0
    .symbol:         _ZN7rocprim17ROCPRIM_400000_NS6detail17trampoline_kernelINS0_14default_configENS1_35radix_sort_onesweep_config_selectorIjyEEZNS1_34radix_sort_onesweep_global_offsetsIS3_Lb0EPjPyjNS0_19identity_decomposerEEE10hipError_tT1_T2_PT3_SD_jT4_jjP12ihipStream_tbEUlT_E0_NS1_11comp_targetILNS1_3genE0ELNS1_11target_archE4294967295ELNS1_3gpuE0ELNS1_3repE0EEENS1_52radix_sort_onesweep_histogram_config_static_selectorELNS0_4arch9wavefront6targetE1EEEvSB_.kd
    .uniform_work_group_size: 1
    .uses_dynamic_stack: false
    .vgpr_count:     0
    .vgpr_spill_count: 0
    .wavefront_size: 64
  - .agpr_count:     0
    .args:
      - .address_space:  global
        .offset:         0
        .size:           8
        .value_kind:     global_buffer
    .group_segment_fixed_size: 0
    .kernarg_segment_align: 8
    .kernarg_segment_size: 8
    .language:       OpenCL C
    .language_version:
      - 2
      - 0
    .max_flat_workgroup_size: 1024
    .name:           _ZN7rocprim17ROCPRIM_400000_NS6detail17trampoline_kernelINS0_14default_configENS1_35radix_sort_onesweep_config_selectorIjyEEZNS1_34radix_sort_onesweep_global_offsetsIS3_Lb0EPjPyjNS0_19identity_decomposerEEE10hipError_tT1_T2_PT3_SD_jT4_jjP12ihipStream_tbEUlT_E0_NS1_11comp_targetILNS1_3genE6ELNS1_11target_archE950ELNS1_3gpuE13ELNS1_3repE0EEENS1_52radix_sort_onesweep_histogram_config_static_selectorELNS0_4arch9wavefront6targetE1EEEvSB_
    .private_segment_fixed_size: 0
    .sgpr_count:     4
    .sgpr_spill_count: 0
    .symbol:         _ZN7rocprim17ROCPRIM_400000_NS6detail17trampoline_kernelINS0_14default_configENS1_35radix_sort_onesweep_config_selectorIjyEEZNS1_34radix_sort_onesweep_global_offsetsIS3_Lb0EPjPyjNS0_19identity_decomposerEEE10hipError_tT1_T2_PT3_SD_jT4_jjP12ihipStream_tbEUlT_E0_NS1_11comp_targetILNS1_3genE6ELNS1_11target_archE950ELNS1_3gpuE13ELNS1_3repE0EEENS1_52radix_sort_onesweep_histogram_config_static_selectorELNS0_4arch9wavefront6targetE1EEEvSB_.kd
    .uniform_work_group_size: 1
    .uses_dynamic_stack: false
    .vgpr_count:     0
    .vgpr_spill_count: 0
    .wavefront_size: 64
  - .agpr_count:     0
    .args:
      - .address_space:  global
        .offset:         0
        .size:           8
        .value_kind:     global_buffer
    .group_segment_fixed_size: 0
    .kernarg_segment_align: 8
    .kernarg_segment_size: 8
    .language:       OpenCL C
    .language_version:
      - 2
      - 0
    .max_flat_workgroup_size: 1024
    .name:           _ZN7rocprim17ROCPRIM_400000_NS6detail17trampoline_kernelINS0_14default_configENS1_35radix_sort_onesweep_config_selectorIjyEEZNS1_34radix_sort_onesweep_global_offsetsIS3_Lb0EPjPyjNS0_19identity_decomposerEEE10hipError_tT1_T2_PT3_SD_jT4_jjP12ihipStream_tbEUlT_E0_NS1_11comp_targetILNS1_3genE5ELNS1_11target_archE942ELNS1_3gpuE9ELNS1_3repE0EEENS1_52radix_sort_onesweep_histogram_config_static_selectorELNS0_4arch9wavefront6targetE1EEEvSB_
    .private_segment_fixed_size: 0
    .sgpr_count:     4
    .sgpr_spill_count: 0
    .symbol:         _ZN7rocprim17ROCPRIM_400000_NS6detail17trampoline_kernelINS0_14default_configENS1_35radix_sort_onesweep_config_selectorIjyEEZNS1_34radix_sort_onesweep_global_offsetsIS3_Lb0EPjPyjNS0_19identity_decomposerEEE10hipError_tT1_T2_PT3_SD_jT4_jjP12ihipStream_tbEUlT_E0_NS1_11comp_targetILNS1_3genE5ELNS1_11target_archE942ELNS1_3gpuE9ELNS1_3repE0EEENS1_52radix_sort_onesweep_histogram_config_static_selectorELNS0_4arch9wavefront6targetE1EEEvSB_.kd
    .uniform_work_group_size: 1
    .uses_dynamic_stack: false
    .vgpr_count:     0
    .vgpr_spill_count: 0
    .wavefront_size: 64
  - .agpr_count:     0
    .args:
      - .address_space:  global
        .offset:         0
        .size:           8
        .value_kind:     global_buffer
    .group_segment_fixed_size: 0
    .kernarg_segment_align: 8
    .kernarg_segment_size: 8
    .language:       OpenCL C
    .language_version:
      - 2
      - 0
    .max_flat_workgroup_size: 512
    .name:           _ZN7rocprim17ROCPRIM_400000_NS6detail17trampoline_kernelINS0_14default_configENS1_35radix_sort_onesweep_config_selectorIjyEEZNS1_34radix_sort_onesweep_global_offsetsIS3_Lb0EPjPyjNS0_19identity_decomposerEEE10hipError_tT1_T2_PT3_SD_jT4_jjP12ihipStream_tbEUlT_E0_NS1_11comp_targetILNS1_3genE2ELNS1_11target_archE906ELNS1_3gpuE6ELNS1_3repE0EEENS1_52radix_sort_onesweep_histogram_config_static_selectorELNS0_4arch9wavefront6targetE1EEEvSB_
    .private_segment_fixed_size: 0
    .sgpr_count:     4
    .sgpr_spill_count: 0
    .symbol:         _ZN7rocprim17ROCPRIM_400000_NS6detail17trampoline_kernelINS0_14default_configENS1_35radix_sort_onesweep_config_selectorIjyEEZNS1_34radix_sort_onesweep_global_offsetsIS3_Lb0EPjPyjNS0_19identity_decomposerEEE10hipError_tT1_T2_PT3_SD_jT4_jjP12ihipStream_tbEUlT_E0_NS1_11comp_targetILNS1_3genE2ELNS1_11target_archE906ELNS1_3gpuE6ELNS1_3repE0EEENS1_52radix_sort_onesweep_histogram_config_static_selectorELNS0_4arch9wavefront6targetE1EEEvSB_.kd
    .uniform_work_group_size: 1
    .uses_dynamic_stack: false
    .vgpr_count:     0
    .vgpr_spill_count: 0
    .wavefront_size: 64
  - .agpr_count:     0
    .args:
      - .address_space:  global
        .offset:         0
        .size:           8
        .value_kind:     global_buffer
    .group_segment_fixed_size: 32
    .kernarg_segment_align: 8
    .kernarg_segment_size: 8
    .language:       OpenCL C
    .language_version:
      - 2
      - 0
    .max_flat_workgroup_size: 512
    .name:           _ZN7rocprim17ROCPRIM_400000_NS6detail17trampoline_kernelINS0_14default_configENS1_35radix_sort_onesweep_config_selectorIjyEEZNS1_34radix_sort_onesweep_global_offsetsIS3_Lb0EPjPyjNS0_19identity_decomposerEEE10hipError_tT1_T2_PT3_SD_jT4_jjP12ihipStream_tbEUlT_E0_NS1_11comp_targetILNS1_3genE4ELNS1_11target_archE910ELNS1_3gpuE8ELNS1_3repE0EEENS1_52radix_sort_onesweep_histogram_config_static_selectorELNS0_4arch9wavefront6targetE1EEEvSB_
    .private_segment_fixed_size: 0
    .sgpr_count:     11
    .sgpr_spill_count: 0
    .symbol:         _ZN7rocprim17ROCPRIM_400000_NS6detail17trampoline_kernelINS0_14default_configENS1_35radix_sort_onesweep_config_selectorIjyEEZNS1_34radix_sort_onesweep_global_offsetsIS3_Lb0EPjPyjNS0_19identity_decomposerEEE10hipError_tT1_T2_PT3_SD_jT4_jjP12ihipStream_tbEUlT_E0_NS1_11comp_targetILNS1_3genE4ELNS1_11target_archE910ELNS1_3gpuE8ELNS1_3repE0EEENS1_52radix_sort_onesweep_histogram_config_static_selectorELNS0_4arch9wavefront6targetE1EEEvSB_.kd
    .uniform_work_group_size: 1
    .uses_dynamic_stack: false
    .vgpr_count:     8
    .vgpr_spill_count: 0
    .wavefront_size: 64
  - .agpr_count:     0
    .args:
      - .address_space:  global
        .offset:         0
        .size:           8
        .value_kind:     global_buffer
    .group_segment_fixed_size: 0
    .kernarg_segment_align: 8
    .kernarg_segment_size: 8
    .language:       OpenCL C
    .language_version:
      - 2
      - 0
    .max_flat_workgroup_size: 512
    .name:           _ZN7rocprim17ROCPRIM_400000_NS6detail17trampoline_kernelINS0_14default_configENS1_35radix_sort_onesweep_config_selectorIjyEEZNS1_34radix_sort_onesweep_global_offsetsIS3_Lb0EPjPyjNS0_19identity_decomposerEEE10hipError_tT1_T2_PT3_SD_jT4_jjP12ihipStream_tbEUlT_E0_NS1_11comp_targetILNS1_3genE3ELNS1_11target_archE908ELNS1_3gpuE7ELNS1_3repE0EEENS1_52radix_sort_onesweep_histogram_config_static_selectorELNS0_4arch9wavefront6targetE1EEEvSB_
    .private_segment_fixed_size: 0
    .sgpr_count:     4
    .sgpr_spill_count: 0
    .symbol:         _ZN7rocprim17ROCPRIM_400000_NS6detail17trampoline_kernelINS0_14default_configENS1_35radix_sort_onesweep_config_selectorIjyEEZNS1_34radix_sort_onesweep_global_offsetsIS3_Lb0EPjPyjNS0_19identity_decomposerEEE10hipError_tT1_T2_PT3_SD_jT4_jjP12ihipStream_tbEUlT_E0_NS1_11comp_targetILNS1_3genE3ELNS1_11target_archE908ELNS1_3gpuE7ELNS1_3repE0EEENS1_52radix_sort_onesweep_histogram_config_static_selectorELNS0_4arch9wavefront6targetE1EEEvSB_.kd
    .uniform_work_group_size: 1
    .uses_dynamic_stack: false
    .vgpr_count:     0
    .vgpr_spill_count: 0
    .wavefront_size: 64
  - .agpr_count:     0
    .args:
      - .address_space:  global
        .offset:         0
        .size:           8
        .value_kind:     global_buffer
    .group_segment_fixed_size: 0
    .kernarg_segment_align: 8
    .kernarg_segment_size: 8
    .language:       OpenCL C
    .language_version:
      - 2
      - 0
    .max_flat_workgroup_size: 1024
    .name:           _ZN7rocprim17ROCPRIM_400000_NS6detail17trampoline_kernelINS0_14default_configENS1_35radix_sort_onesweep_config_selectorIjyEEZNS1_34radix_sort_onesweep_global_offsetsIS3_Lb0EPjPyjNS0_19identity_decomposerEEE10hipError_tT1_T2_PT3_SD_jT4_jjP12ihipStream_tbEUlT_E0_NS1_11comp_targetILNS1_3genE10ELNS1_11target_archE1201ELNS1_3gpuE5ELNS1_3repE0EEENS1_52radix_sort_onesweep_histogram_config_static_selectorELNS0_4arch9wavefront6targetE1EEEvSB_
    .private_segment_fixed_size: 0
    .sgpr_count:     4
    .sgpr_spill_count: 0
    .symbol:         _ZN7rocprim17ROCPRIM_400000_NS6detail17trampoline_kernelINS0_14default_configENS1_35radix_sort_onesweep_config_selectorIjyEEZNS1_34radix_sort_onesweep_global_offsetsIS3_Lb0EPjPyjNS0_19identity_decomposerEEE10hipError_tT1_T2_PT3_SD_jT4_jjP12ihipStream_tbEUlT_E0_NS1_11comp_targetILNS1_3genE10ELNS1_11target_archE1201ELNS1_3gpuE5ELNS1_3repE0EEENS1_52radix_sort_onesweep_histogram_config_static_selectorELNS0_4arch9wavefront6targetE1EEEvSB_.kd
    .uniform_work_group_size: 1
    .uses_dynamic_stack: false
    .vgpr_count:     0
    .vgpr_spill_count: 0
    .wavefront_size: 64
  - .agpr_count:     0
    .args:
      - .address_space:  global
        .offset:         0
        .size:           8
        .value_kind:     global_buffer
    .group_segment_fixed_size: 0
    .kernarg_segment_align: 8
    .kernarg_segment_size: 8
    .language:       OpenCL C
    .language_version:
      - 2
      - 0
    .max_flat_workgroup_size: 1024
    .name:           _ZN7rocprim17ROCPRIM_400000_NS6detail17trampoline_kernelINS0_14default_configENS1_35radix_sort_onesweep_config_selectorIjyEEZNS1_34radix_sort_onesweep_global_offsetsIS3_Lb0EPjPyjNS0_19identity_decomposerEEE10hipError_tT1_T2_PT3_SD_jT4_jjP12ihipStream_tbEUlT_E0_NS1_11comp_targetILNS1_3genE9ELNS1_11target_archE1100ELNS1_3gpuE3ELNS1_3repE0EEENS1_52radix_sort_onesweep_histogram_config_static_selectorELNS0_4arch9wavefront6targetE1EEEvSB_
    .private_segment_fixed_size: 0
    .sgpr_count:     4
    .sgpr_spill_count: 0
    .symbol:         _ZN7rocprim17ROCPRIM_400000_NS6detail17trampoline_kernelINS0_14default_configENS1_35radix_sort_onesweep_config_selectorIjyEEZNS1_34radix_sort_onesweep_global_offsetsIS3_Lb0EPjPyjNS0_19identity_decomposerEEE10hipError_tT1_T2_PT3_SD_jT4_jjP12ihipStream_tbEUlT_E0_NS1_11comp_targetILNS1_3genE9ELNS1_11target_archE1100ELNS1_3gpuE3ELNS1_3repE0EEENS1_52radix_sort_onesweep_histogram_config_static_selectorELNS0_4arch9wavefront6targetE1EEEvSB_.kd
    .uniform_work_group_size: 1
    .uses_dynamic_stack: false
    .vgpr_count:     0
    .vgpr_spill_count: 0
    .wavefront_size: 64
  - .agpr_count:     0
    .args:
      - .address_space:  global
        .offset:         0
        .size:           8
        .value_kind:     global_buffer
    .group_segment_fixed_size: 0
    .kernarg_segment_align: 8
    .kernarg_segment_size: 8
    .language:       OpenCL C
    .language_version:
      - 2
      - 0
    .max_flat_workgroup_size: 1024
    .name:           _ZN7rocprim17ROCPRIM_400000_NS6detail17trampoline_kernelINS0_14default_configENS1_35radix_sort_onesweep_config_selectorIjyEEZNS1_34radix_sort_onesweep_global_offsetsIS3_Lb0EPjPyjNS0_19identity_decomposerEEE10hipError_tT1_T2_PT3_SD_jT4_jjP12ihipStream_tbEUlT_E0_NS1_11comp_targetILNS1_3genE8ELNS1_11target_archE1030ELNS1_3gpuE2ELNS1_3repE0EEENS1_52radix_sort_onesweep_histogram_config_static_selectorELNS0_4arch9wavefront6targetE1EEEvSB_
    .private_segment_fixed_size: 0
    .sgpr_count:     4
    .sgpr_spill_count: 0
    .symbol:         _ZN7rocprim17ROCPRIM_400000_NS6detail17trampoline_kernelINS0_14default_configENS1_35radix_sort_onesweep_config_selectorIjyEEZNS1_34radix_sort_onesweep_global_offsetsIS3_Lb0EPjPyjNS0_19identity_decomposerEEE10hipError_tT1_T2_PT3_SD_jT4_jjP12ihipStream_tbEUlT_E0_NS1_11comp_targetILNS1_3genE8ELNS1_11target_archE1030ELNS1_3gpuE2ELNS1_3repE0EEENS1_52radix_sort_onesweep_histogram_config_static_selectorELNS0_4arch9wavefront6targetE1EEEvSB_.kd
    .uniform_work_group_size: 1
    .uses_dynamic_stack: false
    .vgpr_count:     0
    .vgpr_spill_count: 0
    .wavefront_size: 64
  - .agpr_count:     0
    .args:
      - .offset:         0
        .size:           88
        .value_kind:     by_value
    .group_segment_fixed_size: 0
    .kernarg_segment_align: 8
    .kernarg_segment_size: 88
    .language:       OpenCL C
    .language_version:
      - 2
      - 0
    .max_flat_workgroup_size: 512
    .name:           _ZN7rocprim17ROCPRIM_400000_NS6detail17trampoline_kernelINS0_14default_configENS1_35radix_sort_onesweep_config_selectorIjyEEZZNS1_29radix_sort_onesweep_iterationIS3_Lb0EPjS7_PyS8_jNS0_19identity_decomposerENS1_16block_id_wrapperIjLb1EEEEE10hipError_tT1_PNSt15iterator_traitsISD_E10value_typeET2_T3_PNSE_ISJ_E10value_typeET4_T5_PSO_SP_PNS1_23onesweep_lookback_stateEbbT6_jjT7_P12ihipStream_tbENKUlT_T0_SD_SI_E_clIS7_S7_S8_S8_EEDaSW_SX_SD_SI_EUlSW_E_NS1_11comp_targetILNS1_3genE0ELNS1_11target_archE4294967295ELNS1_3gpuE0ELNS1_3repE0EEENS1_47radix_sort_onesweep_sort_config_static_selectorELNS0_4arch9wavefront6targetE1EEEvSD_
    .private_segment_fixed_size: 0
    .sgpr_count:     4
    .sgpr_spill_count: 0
    .symbol:         _ZN7rocprim17ROCPRIM_400000_NS6detail17trampoline_kernelINS0_14default_configENS1_35radix_sort_onesweep_config_selectorIjyEEZZNS1_29radix_sort_onesweep_iterationIS3_Lb0EPjS7_PyS8_jNS0_19identity_decomposerENS1_16block_id_wrapperIjLb1EEEEE10hipError_tT1_PNSt15iterator_traitsISD_E10value_typeET2_T3_PNSE_ISJ_E10value_typeET4_T5_PSO_SP_PNS1_23onesweep_lookback_stateEbbT6_jjT7_P12ihipStream_tbENKUlT_T0_SD_SI_E_clIS7_S7_S8_S8_EEDaSW_SX_SD_SI_EUlSW_E_NS1_11comp_targetILNS1_3genE0ELNS1_11target_archE4294967295ELNS1_3gpuE0ELNS1_3repE0EEENS1_47radix_sort_onesweep_sort_config_static_selectorELNS0_4arch9wavefront6targetE1EEEvSD_.kd
    .uniform_work_group_size: 1
    .uses_dynamic_stack: false
    .vgpr_count:     0
    .vgpr_spill_count: 0
    .wavefront_size: 64
  - .agpr_count:     0
    .args:
      - .offset:         0
        .size:           88
        .value_kind:     by_value
    .group_segment_fixed_size: 0
    .kernarg_segment_align: 8
    .kernarg_segment_size: 88
    .language:       OpenCL C
    .language_version:
      - 2
      - 0
    .max_flat_workgroup_size: 1024
    .name:           _ZN7rocprim17ROCPRIM_400000_NS6detail17trampoline_kernelINS0_14default_configENS1_35radix_sort_onesweep_config_selectorIjyEEZZNS1_29radix_sort_onesweep_iterationIS3_Lb0EPjS7_PyS8_jNS0_19identity_decomposerENS1_16block_id_wrapperIjLb1EEEEE10hipError_tT1_PNSt15iterator_traitsISD_E10value_typeET2_T3_PNSE_ISJ_E10value_typeET4_T5_PSO_SP_PNS1_23onesweep_lookback_stateEbbT6_jjT7_P12ihipStream_tbENKUlT_T0_SD_SI_E_clIS7_S7_S8_S8_EEDaSW_SX_SD_SI_EUlSW_E_NS1_11comp_targetILNS1_3genE6ELNS1_11target_archE950ELNS1_3gpuE13ELNS1_3repE0EEENS1_47radix_sort_onesweep_sort_config_static_selectorELNS0_4arch9wavefront6targetE1EEEvSD_
    .private_segment_fixed_size: 0
    .sgpr_count:     4
    .sgpr_spill_count: 0
    .symbol:         _ZN7rocprim17ROCPRIM_400000_NS6detail17trampoline_kernelINS0_14default_configENS1_35radix_sort_onesweep_config_selectorIjyEEZZNS1_29radix_sort_onesweep_iterationIS3_Lb0EPjS7_PyS8_jNS0_19identity_decomposerENS1_16block_id_wrapperIjLb1EEEEE10hipError_tT1_PNSt15iterator_traitsISD_E10value_typeET2_T3_PNSE_ISJ_E10value_typeET4_T5_PSO_SP_PNS1_23onesweep_lookback_stateEbbT6_jjT7_P12ihipStream_tbENKUlT_T0_SD_SI_E_clIS7_S7_S8_S8_EEDaSW_SX_SD_SI_EUlSW_E_NS1_11comp_targetILNS1_3genE6ELNS1_11target_archE950ELNS1_3gpuE13ELNS1_3repE0EEENS1_47radix_sort_onesweep_sort_config_static_selectorELNS0_4arch9wavefront6targetE1EEEvSD_.kd
    .uniform_work_group_size: 1
    .uses_dynamic_stack: false
    .vgpr_count:     0
    .vgpr_spill_count: 0
    .wavefront_size: 64
  - .agpr_count:     0
    .args:
      - .offset:         0
        .size:           88
        .value_kind:     by_value
    .group_segment_fixed_size: 0
    .kernarg_segment_align: 8
    .kernarg_segment_size: 88
    .language:       OpenCL C
    .language_version:
      - 2
      - 0
    .max_flat_workgroup_size: 1024
    .name:           _ZN7rocprim17ROCPRIM_400000_NS6detail17trampoline_kernelINS0_14default_configENS1_35radix_sort_onesweep_config_selectorIjyEEZZNS1_29radix_sort_onesweep_iterationIS3_Lb0EPjS7_PyS8_jNS0_19identity_decomposerENS1_16block_id_wrapperIjLb1EEEEE10hipError_tT1_PNSt15iterator_traitsISD_E10value_typeET2_T3_PNSE_ISJ_E10value_typeET4_T5_PSO_SP_PNS1_23onesweep_lookback_stateEbbT6_jjT7_P12ihipStream_tbENKUlT_T0_SD_SI_E_clIS7_S7_S8_S8_EEDaSW_SX_SD_SI_EUlSW_E_NS1_11comp_targetILNS1_3genE5ELNS1_11target_archE942ELNS1_3gpuE9ELNS1_3repE0EEENS1_47radix_sort_onesweep_sort_config_static_selectorELNS0_4arch9wavefront6targetE1EEEvSD_
    .private_segment_fixed_size: 0
    .sgpr_count:     4
    .sgpr_spill_count: 0
    .symbol:         _ZN7rocprim17ROCPRIM_400000_NS6detail17trampoline_kernelINS0_14default_configENS1_35radix_sort_onesweep_config_selectorIjyEEZZNS1_29radix_sort_onesweep_iterationIS3_Lb0EPjS7_PyS8_jNS0_19identity_decomposerENS1_16block_id_wrapperIjLb1EEEEE10hipError_tT1_PNSt15iterator_traitsISD_E10value_typeET2_T3_PNSE_ISJ_E10value_typeET4_T5_PSO_SP_PNS1_23onesweep_lookback_stateEbbT6_jjT7_P12ihipStream_tbENKUlT_T0_SD_SI_E_clIS7_S7_S8_S8_EEDaSW_SX_SD_SI_EUlSW_E_NS1_11comp_targetILNS1_3genE5ELNS1_11target_archE942ELNS1_3gpuE9ELNS1_3repE0EEENS1_47radix_sort_onesweep_sort_config_static_selectorELNS0_4arch9wavefront6targetE1EEEvSD_.kd
    .uniform_work_group_size: 1
    .uses_dynamic_stack: false
    .vgpr_count:     0
    .vgpr_spill_count: 0
    .wavefront_size: 64
  - .agpr_count:     0
    .args:
      - .offset:         0
        .size:           88
        .value_kind:     by_value
    .group_segment_fixed_size: 0
    .kernarg_segment_align: 8
    .kernarg_segment_size: 88
    .language:       OpenCL C
    .language_version:
      - 2
      - 0
    .max_flat_workgroup_size: 512
    .name:           _ZN7rocprim17ROCPRIM_400000_NS6detail17trampoline_kernelINS0_14default_configENS1_35radix_sort_onesweep_config_selectorIjyEEZZNS1_29radix_sort_onesweep_iterationIS3_Lb0EPjS7_PyS8_jNS0_19identity_decomposerENS1_16block_id_wrapperIjLb1EEEEE10hipError_tT1_PNSt15iterator_traitsISD_E10value_typeET2_T3_PNSE_ISJ_E10value_typeET4_T5_PSO_SP_PNS1_23onesweep_lookback_stateEbbT6_jjT7_P12ihipStream_tbENKUlT_T0_SD_SI_E_clIS7_S7_S8_S8_EEDaSW_SX_SD_SI_EUlSW_E_NS1_11comp_targetILNS1_3genE2ELNS1_11target_archE906ELNS1_3gpuE6ELNS1_3repE0EEENS1_47radix_sort_onesweep_sort_config_static_selectorELNS0_4arch9wavefront6targetE1EEEvSD_
    .private_segment_fixed_size: 0
    .sgpr_count:     4
    .sgpr_spill_count: 0
    .symbol:         _ZN7rocprim17ROCPRIM_400000_NS6detail17trampoline_kernelINS0_14default_configENS1_35radix_sort_onesweep_config_selectorIjyEEZZNS1_29radix_sort_onesweep_iterationIS3_Lb0EPjS7_PyS8_jNS0_19identity_decomposerENS1_16block_id_wrapperIjLb1EEEEE10hipError_tT1_PNSt15iterator_traitsISD_E10value_typeET2_T3_PNSE_ISJ_E10value_typeET4_T5_PSO_SP_PNS1_23onesweep_lookback_stateEbbT6_jjT7_P12ihipStream_tbENKUlT_T0_SD_SI_E_clIS7_S7_S8_S8_EEDaSW_SX_SD_SI_EUlSW_E_NS1_11comp_targetILNS1_3genE2ELNS1_11target_archE906ELNS1_3gpuE6ELNS1_3repE0EEENS1_47radix_sort_onesweep_sort_config_static_selectorELNS0_4arch9wavefront6targetE1EEEvSD_.kd
    .uniform_work_group_size: 1
    .uses_dynamic_stack: false
    .vgpr_count:     0
    .vgpr_spill_count: 0
    .wavefront_size: 64
  - .agpr_count:     0
    .args:
      - .offset:         0
        .size:           88
        .value_kind:     by_value
      - .offset:         88
        .size:           4
        .value_kind:     hidden_block_count_x
      - .offset:         92
        .size:           4
        .value_kind:     hidden_block_count_y
      - .offset:         96
        .size:           4
        .value_kind:     hidden_block_count_z
      - .offset:         100
        .size:           2
        .value_kind:     hidden_group_size_x
      - .offset:         102
        .size:           2
        .value_kind:     hidden_group_size_y
      - .offset:         104
        .size:           2
        .value_kind:     hidden_group_size_z
      - .offset:         106
        .size:           2
        .value_kind:     hidden_remainder_x
      - .offset:         108
        .size:           2
        .value_kind:     hidden_remainder_y
      - .offset:         110
        .size:           2
        .value_kind:     hidden_remainder_z
      - .offset:         128
        .size:           8
        .value_kind:     hidden_global_offset_x
      - .offset:         136
        .size:           8
        .value_kind:     hidden_global_offset_y
      - .offset:         144
        .size:           8
        .value_kind:     hidden_global_offset_z
      - .offset:         152
        .size:           2
        .value_kind:     hidden_grid_dims
    .group_segment_fixed_size: 10280
    .kernarg_segment_align: 8
    .kernarg_segment_size: 344
    .language:       OpenCL C
    .language_version:
      - 2
      - 0
    .max_flat_workgroup_size: 512
    .name:           _ZN7rocprim17ROCPRIM_400000_NS6detail17trampoline_kernelINS0_14default_configENS1_35radix_sort_onesweep_config_selectorIjyEEZZNS1_29radix_sort_onesweep_iterationIS3_Lb0EPjS7_PyS8_jNS0_19identity_decomposerENS1_16block_id_wrapperIjLb1EEEEE10hipError_tT1_PNSt15iterator_traitsISD_E10value_typeET2_T3_PNSE_ISJ_E10value_typeET4_T5_PSO_SP_PNS1_23onesweep_lookback_stateEbbT6_jjT7_P12ihipStream_tbENKUlT_T0_SD_SI_E_clIS7_S7_S8_S8_EEDaSW_SX_SD_SI_EUlSW_E_NS1_11comp_targetILNS1_3genE4ELNS1_11target_archE910ELNS1_3gpuE8ELNS1_3repE0EEENS1_47radix_sort_onesweep_sort_config_static_selectorELNS0_4arch9wavefront6targetE1EEEvSD_
    .private_segment_fixed_size: 0
    .sgpr_count:     76
    .sgpr_spill_count: 0
    .symbol:         _ZN7rocprim17ROCPRIM_400000_NS6detail17trampoline_kernelINS0_14default_configENS1_35radix_sort_onesweep_config_selectorIjyEEZZNS1_29radix_sort_onesweep_iterationIS3_Lb0EPjS7_PyS8_jNS0_19identity_decomposerENS1_16block_id_wrapperIjLb1EEEEE10hipError_tT1_PNSt15iterator_traitsISD_E10value_typeET2_T3_PNSE_ISJ_E10value_typeET4_T5_PSO_SP_PNS1_23onesweep_lookback_stateEbbT6_jjT7_P12ihipStream_tbENKUlT_T0_SD_SI_E_clIS7_S7_S8_S8_EEDaSW_SX_SD_SI_EUlSW_E_NS1_11comp_targetILNS1_3genE4ELNS1_11target_archE910ELNS1_3gpuE8ELNS1_3repE0EEENS1_47radix_sort_onesweep_sort_config_static_selectorELNS0_4arch9wavefront6targetE1EEEvSD_.kd
    .uniform_work_group_size: 1
    .uses_dynamic_stack: false
    .vgpr_count:     88
    .vgpr_spill_count: 0
    .wavefront_size: 64
  - .agpr_count:     0
    .args:
      - .offset:         0
        .size:           88
        .value_kind:     by_value
    .group_segment_fixed_size: 0
    .kernarg_segment_align: 8
    .kernarg_segment_size: 88
    .language:       OpenCL C
    .language_version:
      - 2
      - 0
    .max_flat_workgroup_size: 512
    .name:           _ZN7rocprim17ROCPRIM_400000_NS6detail17trampoline_kernelINS0_14default_configENS1_35radix_sort_onesweep_config_selectorIjyEEZZNS1_29radix_sort_onesweep_iterationIS3_Lb0EPjS7_PyS8_jNS0_19identity_decomposerENS1_16block_id_wrapperIjLb1EEEEE10hipError_tT1_PNSt15iterator_traitsISD_E10value_typeET2_T3_PNSE_ISJ_E10value_typeET4_T5_PSO_SP_PNS1_23onesweep_lookback_stateEbbT6_jjT7_P12ihipStream_tbENKUlT_T0_SD_SI_E_clIS7_S7_S8_S8_EEDaSW_SX_SD_SI_EUlSW_E_NS1_11comp_targetILNS1_3genE3ELNS1_11target_archE908ELNS1_3gpuE7ELNS1_3repE0EEENS1_47radix_sort_onesweep_sort_config_static_selectorELNS0_4arch9wavefront6targetE1EEEvSD_
    .private_segment_fixed_size: 0
    .sgpr_count:     4
    .sgpr_spill_count: 0
    .symbol:         _ZN7rocprim17ROCPRIM_400000_NS6detail17trampoline_kernelINS0_14default_configENS1_35radix_sort_onesweep_config_selectorIjyEEZZNS1_29radix_sort_onesweep_iterationIS3_Lb0EPjS7_PyS8_jNS0_19identity_decomposerENS1_16block_id_wrapperIjLb1EEEEE10hipError_tT1_PNSt15iterator_traitsISD_E10value_typeET2_T3_PNSE_ISJ_E10value_typeET4_T5_PSO_SP_PNS1_23onesweep_lookback_stateEbbT6_jjT7_P12ihipStream_tbENKUlT_T0_SD_SI_E_clIS7_S7_S8_S8_EEDaSW_SX_SD_SI_EUlSW_E_NS1_11comp_targetILNS1_3genE3ELNS1_11target_archE908ELNS1_3gpuE7ELNS1_3repE0EEENS1_47radix_sort_onesweep_sort_config_static_selectorELNS0_4arch9wavefront6targetE1EEEvSD_.kd
    .uniform_work_group_size: 1
    .uses_dynamic_stack: false
    .vgpr_count:     0
    .vgpr_spill_count: 0
    .wavefront_size: 64
  - .agpr_count:     0
    .args:
      - .offset:         0
        .size:           88
        .value_kind:     by_value
    .group_segment_fixed_size: 0
    .kernarg_segment_align: 8
    .kernarg_segment_size: 88
    .language:       OpenCL C
    .language_version:
      - 2
      - 0
    .max_flat_workgroup_size: 1024
    .name:           _ZN7rocprim17ROCPRIM_400000_NS6detail17trampoline_kernelINS0_14default_configENS1_35radix_sort_onesweep_config_selectorIjyEEZZNS1_29radix_sort_onesweep_iterationIS3_Lb0EPjS7_PyS8_jNS0_19identity_decomposerENS1_16block_id_wrapperIjLb1EEEEE10hipError_tT1_PNSt15iterator_traitsISD_E10value_typeET2_T3_PNSE_ISJ_E10value_typeET4_T5_PSO_SP_PNS1_23onesweep_lookback_stateEbbT6_jjT7_P12ihipStream_tbENKUlT_T0_SD_SI_E_clIS7_S7_S8_S8_EEDaSW_SX_SD_SI_EUlSW_E_NS1_11comp_targetILNS1_3genE10ELNS1_11target_archE1201ELNS1_3gpuE5ELNS1_3repE0EEENS1_47radix_sort_onesweep_sort_config_static_selectorELNS0_4arch9wavefront6targetE1EEEvSD_
    .private_segment_fixed_size: 0
    .sgpr_count:     4
    .sgpr_spill_count: 0
    .symbol:         _ZN7rocprim17ROCPRIM_400000_NS6detail17trampoline_kernelINS0_14default_configENS1_35radix_sort_onesweep_config_selectorIjyEEZZNS1_29radix_sort_onesweep_iterationIS3_Lb0EPjS7_PyS8_jNS0_19identity_decomposerENS1_16block_id_wrapperIjLb1EEEEE10hipError_tT1_PNSt15iterator_traitsISD_E10value_typeET2_T3_PNSE_ISJ_E10value_typeET4_T5_PSO_SP_PNS1_23onesweep_lookback_stateEbbT6_jjT7_P12ihipStream_tbENKUlT_T0_SD_SI_E_clIS7_S7_S8_S8_EEDaSW_SX_SD_SI_EUlSW_E_NS1_11comp_targetILNS1_3genE10ELNS1_11target_archE1201ELNS1_3gpuE5ELNS1_3repE0EEENS1_47radix_sort_onesweep_sort_config_static_selectorELNS0_4arch9wavefront6targetE1EEEvSD_.kd
    .uniform_work_group_size: 1
    .uses_dynamic_stack: false
    .vgpr_count:     0
    .vgpr_spill_count: 0
    .wavefront_size: 64
  - .agpr_count:     0
    .args:
      - .offset:         0
        .size:           88
        .value_kind:     by_value
    .group_segment_fixed_size: 0
    .kernarg_segment_align: 8
    .kernarg_segment_size: 88
    .language:       OpenCL C
    .language_version:
      - 2
      - 0
    .max_flat_workgroup_size: 1024
    .name:           _ZN7rocprim17ROCPRIM_400000_NS6detail17trampoline_kernelINS0_14default_configENS1_35radix_sort_onesweep_config_selectorIjyEEZZNS1_29radix_sort_onesweep_iterationIS3_Lb0EPjS7_PyS8_jNS0_19identity_decomposerENS1_16block_id_wrapperIjLb1EEEEE10hipError_tT1_PNSt15iterator_traitsISD_E10value_typeET2_T3_PNSE_ISJ_E10value_typeET4_T5_PSO_SP_PNS1_23onesweep_lookback_stateEbbT6_jjT7_P12ihipStream_tbENKUlT_T0_SD_SI_E_clIS7_S7_S8_S8_EEDaSW_SX_SD_SI_EUlSW_E_NS1_11comp_targetILNS1_3genE9ELNS1_11target_archE1100ELNS1_3gpuE3ELNS1_3repE0EEENS1_47radix_sort_onesweep_sort_config_static_selectorELNS0_4arch9wavefront6targetE1EEEvSD_
    .private_segment_fixed_size: 0
    .sgpr_count:     4
    .sgpr_spill_count: 0
    .symbol:         _ZN7rocprim17ROCPRIM_400000_NS6detail17trampoline_kernelINS0_14default_configENS1_35radix_sort_onesweep_config_selectorIjyEEZZNS1_29radix_sort_onesweep_iterationIS3_Lb0EPjS7_PyS8_jNS0_19identity_decomposerENS1_16block_id_wrapperIjLb1EEEEE10hipError_tT1_PNSt15iterator_traitsISD_E10value_typeET2_T3_PNSE_ISJ_E10value_typeET4_T5_PSO_SP_PNS1_23onesweep_lookback_stateEbbT6_jjT7_P12ihipStream_tbENKUlT_T0_SD_SI_E_clIS7_S7_S8_S8_EEDaSW_SX_SD_SI_EUlSW_E_NS1_11comp_targetILNS1_3genE9ELNS1_11target_archE1100ELNS1_3gpuE3ELNS1_3repE0EEENS1_47radix_sort_onesweep_sort_config_static_selectorELNS0_4arch9wavefront6targetE1EEEvSD_.kd
    .uniform_work_group_size: 1
    .uses_dynamic_stack: false
    .vgpr_count:     0
    .vgpr_spill_count: 0
    .wavefront_size: 64
  - .agpr_count:     0
    .args:
      - .offset:         0
        .size:           88
        .value_kind:     by_value
    .group_segment_fixed_size: 0
    .kernarg_segment_align: 8
    .kernarg_segment_size: 88
    .language:       OpenCL C
    .language_version:
      - 2
      - 0
    .max_flat_workgroup_size: 1024
    .name:           _ZN7rocprim17ROCPRIM_400000_NS6detail17trampoline_kernelINS0_14default_configENS1_35radix_sort_onesweep_config_selectorIjyEEZZNS1_29radix_sort_onesweep_iterationIS3_Lb0EPjS7_PyS8_jNS0_19identity_decomposerENS1_16block_id_wrapperIjLb1EEEEE10hipError_tT1_PNSt15iterator_traitsISD_E10value_typeET2_T3_PNSE_ISJ_E10value_typeET4_T5_PSO_SP_PNS1_23onesweep_lookback_stateEbbT6_jjT7_P12ihipStream_tbENKUlT_T0_SD_SI_E_clIS7_S7_S8_S8_EEDaSW_SX_SD_SI_EUlSW_E_NS1_11comp_targetILNS1_3genE8ELNS1_11target_archE1030ELNS1_3gpuE2ELNS1_3repE0EEENS1_47radix_sort_onesweep_sort_config_static_selectorELNS0_4arch9wavefront6targetE1EEEvSD_
    .private_segment_fixed_size: 0
    .sgpr_count:     4
    .sgpr_spill_count: 0
    .symbol:         _ZN7rocprim17ROCPRIM_400000_NS6detail17trampoline_kernelINS0_14default_configENS1_35radix_sort_onesweep_config_selectorIjyEEZZNS1_29radix_sort_onesweep_iterationIS3_Lb0EPjS7_PyS8_jNS0_19identity_decomposerENS1_16block_id_wrapperIjLb1EEEEE10hipError_tT1_PNSt15iterator_traitsISD_E10value_typeET2_T3_PNSE_ISJ_E10value_typeET4_T5_PSO_SP_PNS1_23onesweep_lookback_stateEbbT6_jjT7_P12ihipStream_tbENKUlT_T0_SD_SI_E_clIS7_S7_S8_S8_EEDaSW_SX_SD_SI_EUlSW_E_NS1_11comp_targetILNS1_3genE8ELNS1_11target_archE1030ELNS1_3gpuE2ELNS1_3repE0EEENS1_47radix_sort_onesweep_sort_config_static_selectorELNS0_4arch9wavefront6targetE1EEEvSD_.kd
    .uniform_work_group_size: 1
    .uses_dynamic_stack: false
    .vgpr_count:     0
    .vgpr_spill_count: 0
    .wavefront_size: 64
  - .agpr_count:     0
    .args:
      - .offset:         0
        .size:           88
        .value_kind:     by_value
    .group_segment_fixed_size: 0
    .kernarg_segment_align: 8
    .kernarg_segment_size: 88
    .language:       OpenCL C
    .language_version:
      - 2
      - 0
    .max_flat_workgroup_size: 512
    .name:           _ZN7rocprim17ROCPRIM_400000_NS6detail17trampoline_kernelINS0_14default_configENS1_35radix_sort_onesweep_config_selectorIjyEEZZNS1_29radix_sort_onesweep_iterationIS3_Lb0EPjS7_PyS8_jNS0_19identity_decomposerENS1_16block_id_wrapperIjLb0EEEEE10hipError_tT1_PNSt15iterator_traitsISD_E10value_typeET2_T3_PNSE_ISJ_E10value_typeET4_T5_PSO_SP_PNS1_23onesweep_lookback_stateEbbT6_jjT7_P12ihipStream_tbENKUlT_T0_SD_SI_E_clIS7_S7_S8_S8_EEDaSW_SX_SD_SI_EUlSW_E_NS1_11comp_targetILNS1_3genE0ELNS1_11target_archE4294967295ELNS1_3gpuE0ELNS1_3repE0EEENS1_47radix_sort_onesweep_sort_config_static_selectorELNS0_4arch9wavefront6targetE1EEEvSD_
    .private_segment_fixed_size: 0
    .sgpr_count:     4
    .sgpr_spill_count: 0
    .symbol:         _ZN7rocprim17ROCPRIM_400000_NS6detail17trampoline_kernelINS0_14default_configENS1_35radix_sort_onesweep_config_selectorIjyEEZZNS1_29radix_sort_onesweep_iterationIS3_Lb0EPjS7_PyS8_jNS0_19identity_decomposerENS1_16block_id_wrapperIjLb0EEEEE10hipError_tT1_PNSt15iterator_traitsISD_E10value_typeET2_T3_PNSE_ISJ_E10value_typeET4_T5_PSO_SP_PNS1_23onesweep_lookback_stateEbbT6_jjT7_P12ihipStream_tbENKUlT_T0_SD_SI_E_clIS7_S7_S8_S8_EEDaSW_SX_SD_SI_EUlSW_E_NS1_11comp_targetILNS1_3genE0ELNS1_11target_archE4294967295ELNS1_3gpuE0ELNS1_3repE0EEENS1_47radix_sort_onesweep_sort_config_static_selectorELNS0_4arch9wavefront6targetE1EEEvSD_.kd
    .uniform_work_group_size: 1
    .uses_dynamic_stack: false
    .vgpr_count:     0
    .vgpr_spill_count: 0
    .wavefront_size: 64
  - .agpr_count:     0
    .args:
      - .offset:         0
        .size:           88
        .value_kind:     by_value
    .group_segment_fixed_size: 0
    .kernarg_segment_align: 8
    .kernarg_segment_size: 88
    .language:       OpenCL C
    .language_version:
      - 2
      - 0
    .max_flat_workgroup_size: 1024
    .name:           _ZN7rocprim17ROCPRIM_400000_NS6detail17trampoline_kernelINS0_14default_configENS1_35radix_sort_onesweep_config_selectorIjyEEZZNS1_29radix_sort_onesweep_iterationIS3_Lb0EPjS7_PyS8_jNS0_19identity_decomposerENS1_16block_id_wrapperIjLb0EEEEE10hipError_tT1_PNSt15iterator_traitsISD_E10value_typeET2_T3_PNSE_ISJ_E10value_typeET4_T5_PSO_SP_PNS1_23onesweep_lookback_stateEbbT6_jjT7_P12ihipStream_tbENKUlT_T0_SD_SI_E_clIS7_S7_S8_S8_EEDaSW_SX_SD_SI_EUlSW_E_NS1_11comp_targetILNS1_3genE6ELNS1_11target_archE950ELNS1_3gpuE13ELNS1_3repE0EEENS1_47radix_sort_onesweep_sort_config_static_selectorELNS0_4arch9wavefront6targetE1EEEvSD_
    .private_segment_fixed_size: 0
    .sgpr_count:     4
    .sgpr_spill_count: 0
    .symbol:         _ZN7rocprim17ROCPRIM_400000_NS6detail17trampoline_kernelINS0_14default_configENS1_35radix_sort_onesweep_config_selectorIjyEEZZNS1_29radix_sort_onesweep_iterationIS3_Lb0EPjS7_PyS8_jNS0_19identity_decomposerENS1_16block_id_wrapperIjLb0EEEEE10hipError_tT1_PNSt15iterator_traitsISD_E10value_typeET2_T3_PNSE_ISJ_E10value_typeET4_T5_PSO_SP_PNS1_23onesweep_lookback_stateEbbT6_jjT7_P12ihipStream_tbENKUlT_T0_SD_SI_E_clIS7_S7_S8_S8_EEDaSW_SX_SD_SI_EUlSW_E_NS1_11comp_targetILNS1_3genE6ELNS1_11target_archE950ELNS1_3gpuE13ELNS1_3repE0EEENS1_47radix_sort_onesweep_sort_config_static_selectorELNS0_4arch9wavefront6targetE1EEEvSD_.kd
    .uniform_work_group_size: 1
    .uses_dynamic_stack: false
    .vgpr_count:     0
    .vgpr_spill_count: 0
    .wavefront_size: 64
  - .agpr_count:     0
    .args:
      - .offset:         0
        .size:           88
        .value_kind:     by_value
    .group_segment_fixed_size: 0
    .kernarg_segment_align: 8
    .kernarg_segment_size: 88
    .language:       OpenCL C
    .language_version:
      - 2
      - 0
    .max_flat_workgroup_size: 1024
    .name:           _ZN7rocprim17ROCPRIM_400000_NS6detail17trampoline_kernelINS0_14default_configENS1_35radix_sort_onesweep_config_selectorIjyEEZZNS1_29radix_sort_onesweep_iterationIS3_Lb0EPjS7_PyS8_jNS0_19identity_decomposerENS1_16block_id_wrapperIjLb0EEEEE10hipError_tT1_PNSt15iterator_traitsISD_E10value_typeET2_T3_PNSE_ISJ_E10value_typeET4_T5_PSO_SP_PNS1_23onesweep_lookback_stateEbbT6_jjT7_P12ihipStream_tbENKUlT_T0_SD_SI_E_clIS7_S7_S8_S8_EEDaSW_SX_SD_SI_EUlSW_E_NS1_11comp_targetILNS1_3genE5ELNS1_11target_archE942ELNS1_3gpuE9ELNS1_3repE0EEENS1_47radix_sort_onesweep_sort_config_static_selectorELNS0_4arch9wavefront6targetE1EEEvSD_
    .private_segment_fixed_size: 0
    .sgpr_count:     4
    .sgpr_spill_count: 0
    .symbol:         _ZN7rocprim17ROCPRIM_400000_NS6detail17trampoline_kernelINS0_14default_configENS1_35radix_sort_onesweep_config_selectorIjyEEZZNS1_29radix_sort_onesweep_iterationIS3_Lb0EPjS7_PyS8_jNS0_19identity_decomposerENS1_16block_id_wrapperIjLb0EEEEE10hipError_tT1_PNSt15iterator_traitsISD_E10value_typeET2_T3_PNSE_ISJ_E10value_typeET4_T5_PSO_SP_PNS1_23onesweep_lookback_stateEbbT6_jjT7_P12ihipStream_tbENKUlT_T0_SD_SI_E_clIS7_S7_S8_S8_EEDaSW_SX_SD_SI_EUlSW_E_NS1_11comp_targetILNS1_3genE5ELNS1_11target_archE942ELNS1_3gpuE9ELNS1_3repE0EEENS1_47radix_sort_onesweep_sort_config_static_selectorELNS0_4arch9wavefront6targetE1EEEvSD_.kd
    .uniform_work_group_size: 1
    .uses_dynamic_stack: false
    .vgpr_count:     0
    .vgpr_spill_count: 0
    .wavefront_size: 64
  - .agpr_count:     0
    .args:
      - .offset:         0
        .size:           88
        .value_kind:     by_value
    .group_segment_fixed_size: 0
    .kernarg_segment_align: 8
    .kernarg_segment_size: 88
    .language:       OpenCL C
    .language_version:
      - 2
      - 0
    .max_flat_workgroup_size: 512
    .name:           _ZN7rocprim17ROCPRIM_400000_NS6detail17trampoline_kernelINS0_14default_configENS1_35radix_sort_onesweep_config_selectorIjyEEZZNS1_29radix_sort_onesweep_iterationIS3_Lb0EPjS7_PyS8_jNS0_19identity_decomposerENS1_16block_id_wrapperIjLb0EEEEE10hipError_tT1_PNSt15iterator_traitsISD_E10value_typeET2_T3_PNSE_ISJ_E10value_typeET4_T5_PSO_SP_PNS1_23onesweep_lookback_stateEbbT6_jjT7_P12ihipStream_tbENKUlT_T0_SD_SI_E_clIS7_S7_S8_S8_EEDaSW_SX_SD_SI_EUlSW_E_NS1_11comp_targetILNS1_3genE2ELNS1_11target_archE906ELNS1_3gpuE6ELNS1_3repE0EEENS1_47radix_sort_onesweep_sort_config_static_selectorELNS0_4arch9wavefront6targetE1EEEvSD_
    .private_segment_fixed_size: 0
    .sgpr_count:     4
    .sgpr_spill_count: 0
    .symbol:         _ZN7rocprim17ROCPRIM_400000_NS6detail17trampoline_kernelINS0_14default_configENS1_35radix_sort_onesweep_config_selectorIjyEEZZNS1_29radix_sort_onesweep_iterationIS3_Lb0EPjS7_PyS8_jNS0_19identity_decomposerENS1_16block_id_wrapperIjLb0EEEEE10hipError_tT1_PNSt15iterator_traitsISD_E10value_typeET2_T3_PNSE_ISJ_E10value_typeET4_T5_PSO_SP_PNS1_23onesweep_lookback_stateEbbT6_jjT7_P12ihipStream_tbENKUlT_T0_SD_SI_E_clIS7_S7_S8_S8_EEDaSW_SX_SD_SI_EUlSW_E_NS1_11comp_targetILNS1_3genE2ELNS1_11target_archE906ELNS1_3gpuE6ELNS1_3repE0EEENS1_47radix_sort_onesweep_sort_config_static_selectorELNS0_4arch9wavefront6targetE1EEEvSD_.kd
    .uniform_work_group_size: 1
    .uses_dynamic_stack: false
    .vgpr_count:     0
    .vgpr_spill_count: 0
    .wavefront_size: 64
  - .agpr_count:     0
    .args:
      - .offset:         0
        .size:           88
        .value_kind:     by_value
      - .offset:         88
        .size:           4
        .value_kind:     hidden_block_count_x
      - .offset:         92
        .size:           4
        .value_kind:     hidden_block_count_y
      - .offset:         96
        .size:           4
        .value_kind:     hidden_block_count_z
      - .offset:         100
        .size:           2
        .value_kind:     hidden_group_size_x
      - .offset:         102
        .size:           2
        .value_kind:     hidden_group_size_y
      - .offset:         104
        .size:           2
        .value_kind:     hidden_group_size_z
      - .offset:         106
        .size:           2
        .value_kind:     hidden_remainder_x
      - .offset:         108
        .size:           2
        .value_kind:     hidden_remainder_y
      - .offset:         110
        .size:           2
        .value_kind:     hidden_remainder_z
      - .offset:         128
        .size:           8
        .value_kind:     hidden_global_offset_x
      - .offset:         136
        .size:           8
        .value_kind:     hidden_global_offset_y
      - .offset:         144
        .size:           8
        .value_kind:     hidden_global_offset_z
      - .offset:         152
        .size:           2
        .value_kind:     hidden_grid_dims
    .group_segment_fixed_size: 10280
    .kernarg_segment_align: 8
    .kernarg_segment_size: 344
    .language:       OpenCL C
    .language_version:
      - 2
      - 0
    .max_flat_workgroup_size: 512
    .name:           _ZN7rocprim17ROCPRIM_400000_NS6detail17trampoline_kernelINS0_14default_configENS1_35radix_sort_onesweep_config_selectorIjyEEZZNS1_29radix_sort_onesweep_iterationIS3_Lb0EPjS7_PyS8_jNS0_19identity_decomposerENS1_16block_id_wrapperIjLb0EEEEE10hipError_tT1_PNSt15iterator_traitsISD_E10value_typeET2_T3_PNSE_ISJ_E10value_typeET4_T5_PSO_SP_PNS1_23onesweep_lookback_stateEbbT6_jjT7_P12ihipStream_tbENKUlT_T0_SD_SI_E_clIS7_S7_S8_S8_EEDaSW_SX_SD_SI_EUlSW_E_NS1_11comp_targetILNS1_3genE4ELNS1_11target_archE910ELNS1_3gpuE8ELNS1_3repE0EEENS1_47radix_sort_onesweep_sort_config_static_selectorELNS0_4arch9wavefront6targetE1EEEvSD_
    .private_segment_fixed_size: 0
    .sgpr_count:     73
    .sgpr_spill_count: 0
    .symbol:         _ZN7rocprim17ROCPRIM_400000_NS6detail17trampoline_kernelINS0_14default_configENS1_35radix_sort_onesweep_config_selectorIjyEEZZNS1_29radix_sort_onesweep_iterationIS3_Lb0EPjS7_PyS8_jNS0_19identity_decomposerENS1_16block_id_wrapperIjLb0EEEEE10hipError_tT1_PNSt15iterator_traitsISD_E10value_typeET2_T3_PNSE_ISJ_E10value_typeET4_T5_PSO_SP_PNS1_23onesweep_lookback_stateEbbT6_jjT7_P12ihipStream_tbENKUlT_T0_SD_SI_E_clIS7_S7_S8_S8_EEDaSW_SX_SD_SI_EUlSW_E_NS1_11comp_targetILNS1_3genE4ELNS1_11target_archE910ELNS1_3gpuE8ELNS1_3repE0EEENS1_47radix_sort_onesweep_sort_config_static_selectorELNS0_4arch9wavefront6targetE1EEEvSD_.kd
    .uniform_work_group_size: 1
    .uses_dynamic_stack: false
    .vgpr_count:     88
    .vgpr_spill_count: 0
    .wavefront_size: 64
  - .agpr_count:     0
    .args:
      - .offset:         0
        .size:           88
        .value_kind:     by_value
    .group_segment_fixed_size: 0
    .kernarg_segment_align: 8
    .kernarg_segment_size: 88
    .language:       OpenCL C
    .language_version:
      - 2
      - 0
    .max_flat_workgroup_size: 512
    .name:           _ZN7rocprim17ROCPRIM_400000_NS6detail17trampoline_kernelINS0_14default_configENS1_35radix_sort_onesweep_config_selectorIjyEEZZNS1_29radix_sort_onesweep_iterationIS3_Lb0EPjS7_PyS8_jNS0_19identity_decomposerENS1_16block_id_wrapperIjLb0EEEEE10hipError_tT1_PNSt15iterator_traitsISD_E10value_typeET2_T3_PNSE_ISJ_E10value_typeET4_T5_PSO_SP_PNS1_23onesweep_lookback_stateEbbT6_jjT7_P12ihipStream_tbENKUlT_T0_SD_SI_E_clIS7_S7_S8_S8_EEDaSW_SX_SD_SI_EUlSW_E_NS1_11comp_targetILNS1_3genE3ELNS1_11target_archE908ELNS1_3gpuE7ELNS1_3repE0EEENS1_47radix_sort_onesweep_sort_config_static_selectorELNS0_4arch9wavefront6targetE1EEEvSD_
    .private_segment_fixed_size: 0
    .sgpr_count:     4
    .sgpr_spill_count: 0
    .symbol:         _ZN7rocprim17ROCPRIM_400000_NS6detail17trampoline_kernelINS0_14default_configENS1_35radix_sort_onesweep_config_selectorIjyEEZZNS1_29radix_sort_onesweep_iterationIS3_Lb0EPjS7_PyS8_jNS0_19identity_decomposerENS1_16block_id_wrapperIjLb0EEEEE10hipError_tT1_PNSt15iterator_traitsISD_E10value_typeET2_T3_PNSE_ISJ_E10value_typeET4_T5_PSO_SP_PNS1_23onesweep_lookback_stateEbbT6_jjT7_P12ihipStream_tbENKUlT_T0_SD_SI_E_clIS7_S7_S8_S8_EEDaSW_SX_SD_SI_EUlSW_E_NS1_11comp_targetILNS1_3genE3ELNS1_11target_archE908ELNS1_3gpuE7ELNS1_3repE0EEENS1_47radix_sort_onesweep_sort_config_static_selectorELNS0_4arch9wavefront6targetE1EEEvSD_.kd
    .uniform_work_group_size: 1
    .uses_dynamic_stack: false
    .vgpr_count:     0
    .vgpr_spill_count: 0
    .wavefront_size: 64
  - .agpr_count:     0
    .args:
      - .offset:         0
        .size:           88
        .value_kind:     by_value
    .group_segment_fixed_size: 0
    .kernarg_segment_align: 8
    .kernarg_segment_size: 88
    .language:       OpenCL C
    .language_version:
      - 2
      - 0
    .max_flat_workgroup_size: 1024
    .name:           _ZN7rocprim17ROCPRIM_400000_NS6detail17trampoline_kernelINS0_14default_configENS1_35radix_sort_onesweep_config_selectorIjyEEZZNS1_29radix_sort_onesweep_iterationIS3_Lb0EPjS7_PyS8_jNS0_19identity_decomposerENS1_16block_id_wrapperIjLb0EEEEE10hipError_tT1_PNSt15iterator_traitsISD_E10value_typeET2_T3_PNSE_ISJ_E10value_typeET4_T5_PSO_SP_PNS1_23onesweep_lookback_stateEbbT6_jjT7_P12ihipStream_tbENKUlT_T0_SD_SI_E_clIS7_S7_S8_S8_EEDaSW_SX_SD_SI_EUlSW_E_NS1_11comp_targetILNS1_3genE10ELNS1_11target_archE1201ELNS1_3gpuE5ELNS1_3repE0EEENS1_47radix_sort_onesweep_sort_config_static_selectorELNS0_4arch9wavefront6targetE1EEEvSD_
    .private_segment_fixed_size: 0
    .sgpr_count:     4
    .sgpr_spill_count: 0
    .symbol:         _ZN7rocprim17ROCPRIM_400000_NS6detail17trampoline_kernelINS0_14default_configENS1_35radix_sort_onesweep_config_selectorIjyEEZZNS1_29radix_sort_onesweep_iterationIS3_Lb0EPjS7_PyS8_jNS0_19identity_decomposerENS1_16block_id_wrapperIjLb0EEEEE10hipError_tT1_PNSt15iterator_traitsISD_E10value_typeET2_T3_PNSE_ISJ_E10value_typeET4_T5_PSO_SP_PNS1_23onesweep_lookback_stateEbbT6_jjT7_P12ihipStream_tbENKUlT_T0_SD_SI_E_clIS7_S7_S8_S8_EEDaSW_SX_SD_SI_EUlSW_E_NS1_11comp_targetILNS1_3genE10ELNS1_11target_archE1201ELNS1_3gpuE5ELNS1_3repE0EEENS1_47radix_sort_onesweep_sort_config_static_selectorELNS0_4arch9wavefront6targetE1EEEvSD_.kd
    .uniform_work_group_size: 1
    .uses_dynamic_stack: false
    .vgpr_count:     0
    .vgpr_spill_count: 0
    .wavefront_size: 64
  - .agpr_count:     0
    .args:
      - .offset:         0
        .size:           88
        .value_kind:     by_value
    .group_segment_fixed_size: 0
    .kernarg_segment_align: 8
    .kernarg_segment_size: 88
    .language:       OpenCL C
    .language_version:
      - 2
      - 0
    .max_flat_workgroup_size: 1024
    .name:           _ZN7rocprim17ROCPRIM_400000_NS6detail17trampoline_kernelINS0_14default_configENS1_35radix_sort_onesweep_config_selectorIjyEEZZNS1_29radix_sort_onesweep_iterationIS3_Lb0EPjS7_PyS8_jNS0_19identity_decomposerENS1_16block_id_wrapperIjLb0EEEEE10hipError_tT1_PNSt15iterator_traitsISD_E10value_typeET2_T3_PNSE_ISJ_E10value_typeET4_T5_PSO_SP_PNS1_23onesweep_lookback_stateEbbT6_jjT7_P12ihipStream_tbENKUlT_T0_SD_SI_E_clIS7_S7_S8_S8_EEDaSW_SX_SD_SI_EUlSW_E_NS1_11comp_targetILNS1_3genE9ELNS1_11target_archE1100ELNS1_3gpuE3ELNS1_3repE0EEENS1_47radix_sort_onesweep_sort_config_static_selectorELNS0_4arch9wavefront6targetE1EEEvSD_
    .private_segment_fixed_size: 0
    .sgpr_count:     4
    .sgpr_spill_count: 0
    .symbol:         _ZN7rocprim17ROCPRIM_400000_NS6detail17trampoline_kernelINS0_14default_configENS1_35radix_sort_onesweep_config_selectorIjyEEZZNS1_29radix_sort_onesweep_iterationIS3_Lb0EPjS7_PyS8_jNS0_19identity_decomposerENS1_16block_id_wrapperIjLb0EEEEE10hipError_tT1_PNSt15iterator_traitsISD_E10value_typeET2_T3_PNSE_ISJ_E10value_typeET4_T5_PSO_SP_PNS1_23onesweep_lookback_stateEbbT6_jjT7_P12ihipStream_tbENKUlT_T0_SD_SI_E_clIS7_S7_S8_S8_EEDaSW_SX_SD_SI_EUlSW_E_NS1_11comp_targetILNS1_3genE9ELNS1_11target_archE1100ELNS1_3gpuE3ELNS1_3repE0EEENS1_47radix_sort_onesweep_sort_config_static_selectorELNS0_4arch9wavefront6targetE1EEEvSD_.kd
    .uniform_work_group_size: 1
    .uses_dynamic_stack: false
    .vgpr_count:     0
    .vgpr_spill_count: 0
    .wavefront_size: 64
  - .agpr_count:     0
    .args:
      - .offset:         0
        .size:           88
        .value_kind:     by_value
    .group_segment_fixed_size: 0
    .kernarg_segment_align: 8
    .kernarg_segment_size: 88
    .language:       OpenCL C
    .language_version:
      - 2
      - 0
    .max_flat_workgroup_size: 1024
    .name:           _ZN7rocprim17ROCPRIM_400000_NS6detail17trampoline_kernelINS0_14default_configENS1_35radix_sort_onesweep_config_selectorIjyEEZZNS1_29radix_sort_onesweep_iterationIS3_Lb0EPjS7_PyS8_jNS0_19identity_decomposerENS1_16block_id_wrapperIjLb0EEEEE10hipError_tT1_PNSt15iterator_traitsISD_E10value_typeET2_T3_PNSE_ISJ_E10value_typeET4_T5_PSO_SP_PNS1_23onesweep_lookback_stateEbbT6_jjT7_P12ihipStream_tbENKUlT_T0_SD_SI_E_clIS7_S7_S8_S8_EEDaSW_SX_SD_SI_EUlSW_E_NS1_11comp_targetILNS1_3genE8ELNS1_11target_archE1030ELNS1_3gpuE2ELNS1_3repE0EEENS1_47radix_sort_onesweep_sort_config_static_selectorELNS0_4arch9wavefront6targetE1EEEvSD_
    .private_segment_fixed_size: 0
    .sgpr_count:     4
    .sgpr_spill_count: 0
    .symbol:         _ZN7rocprim17ROCPRIM_400000_NS6detail17trampoline_kernelINS0_14default_configENS1_35radix_sort_onesweep_config_selectorIjyEEZZNS1_29radix_sort_onesweep_iterationIS3_Lb0EPjS7_PyS8_jNS0_19identity_decomposerENS1_16block_id_wrapperIjLb0EEEEE10hipError_tT1_PNSt15iterator_traitsISD_E10value_typeET2_T3_PNSE_ISJ_E10value_typeET4_T5_PSO_SP_PNS1_23onesweep_lookback_stateEbbT6_jjT7_P12ihipStream_tbENKUlT_T0_SD_SI_E_clIS7_S7_S8_S8_EEDaSW_SX_SD_SI_EUlSW_E_NS1_11comp_targetILNS1_3genE8ELNS1_11target_archE1030ELNS1_3gpuE2ELNS1_3repE0EEENS1_47radix_sort_onesweep_sort_config_static_selectorELNS0_4arch9wavefront6targetE1EEEvSD_.kd
    .uniform_work_group_size: 1
    .uses_dynamic_stack: false
    .vgpr_count:     0
    .vgpr_spill_count: 0
    .wavefront_size: 64
  - .agpr_count:     0
    .args:
      - .offset:         0
        .size:           16
        .value_kind:     by_value
      - .offset:         16
        .size:           8
        .value_kind:     by_value
      - .offset:         24
        .size:           8
        .value_kind:     by_value
    .group_segment_fixed_size: 0
    .kernarg_segment_align: 8
    .kernarg_segment_size: 32
    .language:       OpenCL C
    .language_version:
      - 2
      - 0
    .max_flat_workgroup_size: 256
    .name:           _ZN6thrust23THRUST_200600_302600_NS11hip_rocprim14__parallel_for6kernelILj256ENS1_10__tabulate7functorIPjNS0_6system6detail7generic6detail22compute_sequence_valueIivEElEElLj1EEEvT0_T1_SF_
    .private_segment_fixed_size: 0
    .sgpr_count:     16
    .sgpr_spill_count: 0
    .symbol:         _ZN6thrust23THRUST_200600_302600_NS11hip_rocprim14__parallel_for6kernelILj256ENS1_10__tabulate7functorIPjNS0_6system6detail7generic6detail22compute_sequence_valueIivEElEElLj1EEEvT0_T1_SF_.kd
    .uniform_work_group_size: 1
    .uses_dynamic_stack: false
    .vgpr_count:     4
    .vgpr_spill_count: 0
    .wavefront_size: 64
  - .agpr_count:     0
    .args:
      - .address_space:  global
        .offset:         0
        .size:           8
        .value_kind:     global_buffer
      - .address_space:  global
        .offset:         8
        .size:           8
        .value_kind:     global_buffer
      - .address_space:  global
        .offset:         16
        .size:           8
        .value_kind:     global_buffer
      - .address_space:  global
        .offset:         24
        .size:           8
        .value_kind:     global_buffer
      - .offset:         32
        .size:           4
        .value_kind:     by_value
      - .offset:         36
        .size:           4
        .value_kind:     by_value
      - .offset:         40
        .size:           4
        .value_kind:     hidden_block_count_x
      - .offset:         44
        .size:           4
        .value_kind:     hidden_block_count_y
      - .offset:         48
        .size:           4
        .value_kind:     hidden_block_count_z
      - .offset:         52
        .size:           2
        .value_kind:     hidden_group_size_x
      - .offset:         54
        .size:           2
        .value_kind:     hidden_group_size_y
      - .offset:         56
        .size:           2
        .value_kind:     hidden_group_size_z
      - .offset:         58
        .size:           2
        .value_kind:     hidden_remainder_x
      - .offset:         60
        .size:           2
        .value_kind:     hidden_remainder_y
      - .offset:         62
        .size:           2
        .value_kind:     hidden_remainder_z
      - .offset:         80
        .size:           8
        .value_kind:     hidden_global_offset_x
      - .offset:         88
        .size:           8
        .value_kind:     hidden_global_offset_y
      - .offset:         96
        .size:           8
        .value_kind:     hidden_global_offset_z
      - .offset:         104
        .size:           2
        .value_kind:     hidden_grid_dims
    .group_segment_fixed_size: 0
    .kernarg_segment_align: 8
    .kernarg_segment_size: 296
    .language:       OpenCL C
    .language_version:
      - 2
      - 0
    .max_flat_workgroup_size: 1024
    .name:           _Z29insert_batch_no_update_kernelIjjEvPT_PT0_PKS0_PKS2_ii
    .private_segment_fixed_size: 0
    .sgpr_count:     18
    .sgpr_spill_count: 0
    .symbol:         _Z29insert_batch_no_update_kernelIjjEvPT_PT0_PKS0_PKS2_ii.kd
    .uniform_work_group_size: 1
    .uses_dynamic_stack: false
    .vgpr_count:     12
    .vgpr_spill_count: 0
    .wavefront_size: 64
amdhsa.target:   amdgcn-amd-amdhsa--gfx90a
amdhsa.version:
  - 1
  - 2
...

	.end_amdgpu_metadata
